;; amdgpu-corpus repo=pytorch/pytorch kind=compiled arch=gfx90a opt=O3
	.text
	.amdgcn_target "amdgcn-amd-amdhsa--gfx90a"
	.amdhsa_code_object_version 6
	.section	.text._ZN2at4cuda12_GLOBAL__N_121kernelPointwiseApply2IZNS_6native9templates4cuda28bernoulli_tensor_cuda_kernelIddEEvRKNS_10TensorBaseES9_NS_15PhiloxCudaStateEEUliRdSB_SB_SB_RKdSD_SD_SD_E_dSC_jLi1ELi1ELi4ELi512ELi2EEEvNS0_6detail10TensorInfoIT0_T2_EENSG_IT1_SI_EESI_T_,"axG",@progbits,_ZN2at4cuda12_GLOBAL__N_121kernelPointwiseApply2IZNS_6native9templates4cuda28bernoulli_tensor_cuda_kernelIddEEvRKNS_10TensorBaseES9_NS_15PhiloxCudaStateEEUliRdSB_SB_SB_RKdSD_SD_SD_E_dSC_jLi1ELi1ELi4ELi512ELi2EEEvNS0_6detail10TensorInfoIT0_T2_EENSG_IT1_SI_EESI_T_,comdat
	.globl	_ZN2at4cuda12_GLOBAL__N_121kernelPointwiseApply2IZNS_6native9templates4cuda28bernoulli_tensor_cuda_kernelIddEEvRKNS_10TensorBaseES9_NS_15PhiloxCudaStateEEUliRdSB_SB_SB_RKdSD_SD_SD_E_dSC_jLi1ELi1ELi4ELi512ELi2EEEvNS0_6detail10TensorInfoIT0_T2_EENSG_IT1_SI_EESI_T_ ; -- Begin function _ZN2at4cuda12_GLOBAL__N_121kernelPointwiseApply2IZNS_6native9templates4cuda28bernoulli_tensor_cuda_kernelIddEEvRKNS_10TensorBaseES9_NS_15PhiloxCudaStateEEUliRdSB_SB_SB_RKdSD_SD_SD_E_dSC_jLi1ELi1ELi4ELi512ELi2EEEvNS0_6detail10TensorInfoIT0_T2_EENSG_IT1_SI_EESI_T_
	.p2align	8
	.type	_ZN2at4cuda12_GLOBAL__N_121kernelPointwiseApply2IZNS_6native9templates4cuda28bernoulli_tensor_cuda_kernelIddEEvRKNS_10TensorBaseES9_NS_15PhiloxCudaStateEEUliRdSB_SB_SB_RKdSD_SD_SD_E_dSC_jLi1ELi1ELi4ELi512ELi2EEEvNS0_6detail10TensorInfoIT0_T2_EENSG_IT1_SI_EESI_T_,@function
_ZN2at4cuda12_GLOBAL__N_121kernelPointwiseApply2IZNS_6native9templates4cuda28bernoulli_tensor_cuda_kernelIddEEvRKNS_10TensorBaseES9_NS_15PhiloxCudaStateEEUliRdSB_SB_SB_RKdSD_SD_SD_E_dSC_jLi1ELi1ELi4ELi512ELi2EEEvNS0_6detail10TensorInfoIT0_T2_EENSG_IT1_SI_EESI_T_: ; @_ZN2at4cuda12_GLOBAL__N_121kernelPointwiseApply2IZNS_6native9templates4cuda28bernoulli_tensor_cuda_kernelIddEEvRKNS_10TensorBaseES9_NS_15PhiloxCudaStateEEUliRdSB_SB_SB_RKdSD_SD_SD_E_dSC_jLi1ELi1ELi4ELi512ELi2EEEvNS0_6detail10TensorInfoIT0_T2_EENSG_IT1_SI_EESI_T_
; %bb.0:
	s_load_dword s2, s[4:5], 0x1e4
	s_load_dword s33, s[4:5], 0x1b0
	s_add_u32 s0, s4, 0x1d8
	s_addc_u32 s1, s5, 0
	s_waitcnt lgkmcnt(0)
	s_and_b32 s2, s2, 0xffff
	s_mul_i32 s6, s6, s2
	v_add_u32_e32 v5, s6, v0
	v_lshlrev_b32_e32 v24, 2, v5
	v_cmp_gt_u32_e32 vcc, s33, v24
	s_and_saveexec_b64 s[6:7], vcc
	s_cbranch_execz .LBB0_43
; %bb.1:
	s_load_dword s3, s[0:1], 0x0
	s_load_dword s16, s[4:5], 0x1d0
	s_load_dwordx2 s[6:7], s[4:5], 0x0
	s_load_dword s17, s[4:5], 0x6c
	s_load_dwordx2 s[12:13], s[4:5], 0xd8
	;; [unrolled: 2-line block ×3, first 2 shown]
	s_load_dwordx4 s[8:11], s[4:5], 0x1b8
	s_mov_b32 s50, 0xcd9e8d57
	s_waitcnt lgkmcnt(0)
	v_mul_lo_u32 v2, s17, v24
	s_bitcmp1_b32 s16, 0
	v_mad_u64_u32 v[0:1], s[0:1], v5, s50, 0
	v_add_u32_e32 v25, s17, v2
	v_add_u32_e32 v2, 2, v24
	s_mul_i32 s2, s3, s2
	s_cselect_b64 s[0:1], -1, 0
	v_mul_lo_u32 v26, s17, v2
	v_mul_lo_u32 v7, s17, v5
	;; [unrolled: 1-line block ×4, first 2 shown]
	s_lshl_b32 s52, s2, 2
	s_mul_i32 s3, s2, s17
	v_add_u32_e32 v6, 3, v24
	v_lshlrev_b32_e32 v28, 2, v7
	v_mul_lo_u32 v7, s18, v24
	s_mul_i32 s2, s2, s18
	v_lshlrev_b32_e32 v32, 2, v2
	v_cndmask_b32_e64 v2, 0, 1, s[0:1]
	s_mov_b32 s51, 0
	v_mov_b32_e32 v3, 0
	v_mov_b32_e32 v4, v1
	v_sub_u32_e32 v1, s33, v24
	s_lshl_b32 s53, s3, 2
	v_mul_lo_u32 v27, s17, v6
	v_add_u32_e32 v29, s18, v7
	s_lshl_b32 s54, s2, 2
	v_mul_lo_u32 v31, s18, v6
	s_mov_b64 s[18:19], 0
	v_mov_b32_e32 v33, s13
	v_cmp_ne_u32_e64 s[0:1], 1, v2
	s_mov_b32 s55, 0xd2511f53
	s_mov_b32 s56, 0xf1bbcdc8
	v_mov_b32_e32 v34, 0x3ff00000
	s_mov_b32 s57, 0
                                        ; implicit-def: $sgpr20_sgpr21
                                        ; implicit-def: $sgpr22_sgpr23
                                        ; implicit-def: $sgpr24_sgpr25
                                        ; implicit-def: $sgpr16_sgpr17
                                        ; implicit-def: $sgpr26_sgpr27
                                        ; implicit-def: $sgpr28_sgpr29
                                        ; implicit-def: $sgpr30_sgpr31
                                        ; implicit-def: $sgpr34_sgpr35
	s_branch .LBB0_3
.LBB0_2:                                ;   in Loop: Header=BB0_3 Depth=1
	s_or_b64 exec, exec, s[4:5]
	s_and_b64 s[2:3], exec, s[2:3]
	s_or_b64 s[18:19], s[2:3], s[18:19]
	s_andn2_b64 s[2:3], s[16:17], exec
	s_and_b64 s[4:5], s[34:35], exec
	s_or_b64 s[16:17], s[2:3], s[4:5]
	s_andn2_b64 s[2:3], s[24:25], exec
	s_and_b64 s[4:5], s[30:31], exec
	;; [unrolled: 3-line block ×4, first 2 shown]
	s_or_b64 s[20:21], s[2:3], s[4:5]
	s_andn2_b64 exec, exec, s[18:19]
	s_cbranch_execz .LBB0_39
.LBB0_3:                                ; =>This Inner Loop Header: Depth=1
	v_add_u32_e32 v2, s51, v31
	v_cmp_lt_i32_e64 s[2:3], 3, v1
	v_cndmask_b32_e64 v2, 0, v2, s[2:3]
	v_lshlrev_b64 v[6:7], 3, v[2:3]
	v_add_co_u32_e32 v6, vcc, s12, v6
	v_addc_co_u32_e32 v7, vcc, v33, v7, vcc
	global_load_dwordx2 v[8:9], v[6:7], off
	s_and_b64 vcc, exec, s[0:1]
	v_pk_mov_b32 v[6:7], s[10:11], s[10:11] op_sel:[0,1]
	v_pk_mov_b32 v[10:11], s[8:9], s[8:9] op_sel:[0,1]
	s_cbranch_vccnz .LBB0_5
; %bb.4:                                ;   in Loop: Header=BB0_3 Depth=1
	v_pk_mov_b32 v[6:7], s[10:11], s[10:11] op_sel:[0,1]
	flat_load_dwordx2 v[6:7], v[6:7]
	v_pk_mov_b32 v[10:11], s[8:9], s[8:9] op_sel:[0,1]
	flat_load_dwordx2 v[10:11], v[10:11]
	v_mov_b32_e32 v2, s15
	s_waitcnt vmcnt(0) lgkmcnt(0)
	v_add_co_u32_e32 v6, vcc, s14, v6
	v_addc_co_u32_e32 v7, vcc, v7, v2, vcc
.LBB0_5:                                ;   in Loop: Header=BB0_3 Depth=1
	v_alignbit_b32 v20, v7, v6, 2
	v_lshrrev_b32_e32 v21, 2, v7
	v_xor_b32_e32 v12, v4, v10
	v_and_b32_e32 v2, 3, v6
	v_mad_u64_u32 v[6:7], s[4:5], v20, s55, 0
	v_xor_b32_e32 v12, v12, v21
	v_xor_b32_e32 v7, v7, v11
	v_add_u32_e32 v39, 0xbb67ae85, v11
	v_mad_u64_u32 v[12:13], s[4:5], v12, s55, 0
	v_mad_u64_u32 v[14:15], s[4:5], v7, s50, 0
	v_xor_b32_e32 v13, v39, v13
	v_add_u32_e32 v38, 0x9e3779b9, v10
	v_xor_b32_e32 v7, v0, v15
	v_xor_b32_e32 v13, v13, v6
	v_xor_b32_e32 v7, v7, v38
	v_add_u32_e32 v40, 0x3c6ef372, v10
	v_mad_u64_u32 v[16:17], s[4:5], v13, s50, 0
	v_add_u32_e32 v41, 0x76cf5d0a, v11
	v_mad_u64_u32 v[6:7], s[4:5], v7, s55, 0
	v_xor_b32_e32 v13, v40, v17
	v_xor_b32_e32 v13, v13, v14
	v_xor_b32_e32 v7, v41, v7
	v_xor_b32_e32 v7, v7, v12
	v_add_u32_e32 v43, 0x32370b8f, v11
	v_mad_u64_u32 v[12:13], s[4:5], v13, s55, 0
	v_add_u32_e32 v42, 0xdaa66d2b, v10
	v_mad_u64_u32 v[14:15], s[4:5], v7, s50, 0
	v_xor_b32_e32 v13, v43, v13
	;; [unrolled: 8-line block ×5, first 2 shown]
	v_xor_b32_e32 v13, v13, v14
	v_xor_b32_e32 v7, v49, v7
	v_xor_b32_e32 v7, v7, v12
	v_add_u32_e32 v51, 0x1fd5c5a3, v11
	v_mad_u64_u32 v[12:13], s[4:5], v13, s55, 0
	v_xor_b32_e32 v13, v51, v13
	v_xor_b32_e32 v6, v13, v6
	v_add_u32_e32 v50, 0x5384540f, v10
	v_mad_u64_u32 v[18:19], s[4:5], v7, s50, 0
	v_add_co_u32_e32 v36, vcc, s56, v10
	v_mad_u64_u32 v[14:15], s[4:5], v6, s50, 0
	v_xor_b32_e32 v7, v50, v19
	v_xor_b32_e32 v6, v36, v15
	;; [unrolled: 1-line block ×4, first 2 shown]
	v_mad_u64_u32 v[16:17], s[4:5], v7, s55, 0
	v_mad_u64_u32 v[6:7], s[4:5], v6, s55, 0
	v_add_u32_e32 v37, 0x96a522ad, v11
	v_xor_b32_e32 v7, v7, v16
	v_xor_b32_e32 v35, v37, v7
	v_add_co_u32_e32 v7, vcc, 1, v20
	v_cndmask_b32_e64 v16, 0, 1, vcc
	v_addc_co_u32_e32 v22, vcc, 0, v21, vcc
	v_cmp_eq_u32_e32 vcc, 0, v22
	v_cndmask_b32_e32 v16, 0, v16, vcc
	v_add_u32_e32 v20, v16, v5
	v_cmp_eq_u32_e32 vcc, 0, v20
	v_mad_u64_u32 v[18:19], s[4:5], v7, s55, 0
	v_mad_u64_u32 v[20:21], s[4:5], v20, s50, 0
	v_add_u32_e32 v15, 0x8ff34781, v10
	v_cndmask_b32_e32 v16, 0, v16, vcc
	v_xor_b32_e32 v7, v21, v10
	v_xor_b32_e32 v10, v19, v11
	;; [unrolled: 1-line block ×4, first 2 shown]
	v_mad_u64_u32 v[22:23], s[4:5], v16, s50, 0
	v_add_u32_e32 v13, 0xdb3d7428, v11
	v_mad_u64_u32 v[10:11], s[4:5], v7, s55, 0
	v_xor_b32_e32 v7, v38, v23
	v_xor_b32_e32 v7, v7, v20
	v_xor_b32_e32 v11, v39, v11
	v_xor_b32_e32 v11, v11, v18
	v_mad_u64_u32 v[18:19], s[4:5], v7, s55, 0
	v_mad_u64_u32 v[20:21], s[4:5], v11, s50, 0
	v_xor_b32_e32 v11, v41, v19
	v_xor_b32_e32 v7, v40, v21
	v_xor_b32_e32 v16, v11, v10
	v_xor_b32_e32 v7, v7, v22
	v_mad_u64_u32 v[22:23], s[4:5], v16, s50, 0
	;; [unrolled: 6-line block ×7, first 2 shown]
	v_xor_b32_e32 v7, v13, v21
	v_xor_b32_e32 v7, v7, v10
	v_mad_u64_u32 v[22:23], s[4:5], v11, s50, 0
	v_mad_u64_u32 v[10:11], s[4:5], v7, s50, 0
	v_xor_b32_e32 v7, v11, v22
	v_xor_b32_e32 v7, v15, v7
	v_cmp_lt_i32_e32 vcc, 1, v2
                                        ; implicit-def: $vgpr19
	s_and_saveexec_b64 s[4:5], vcc
	s_xor_b64 s[4:5], exec, s[4:5]
	s_cbranch_execz .LBB0_11
; %bb.6:                                ;   in Loop: Header=BB0_3 Depth=1
	v_cmp_lt_i32_e32 vcc, 2, v2
                                        ; implicit-def: $vgpr19
	s_and_saveexec_b64 s[36:37], vcc
	s_xor_b64 s[36:37], exec, s[36:37]
; %bb.7:                                ;   in Loop: Header=BB0_3 Depth=1
	v_xor_b32_e32 v2, v36, v23
	v_xor_b32_e32 v2, v2, v18
	v_mul_hi_u32 v2, v2, s55
	v_xor_b32_e32 v2, v2, v20
	v_xor_b32_e32 v19, v37, v2
                                        ; implicit-def: $vgpr35
; %bb.8:                                ;   in Loop: Header=BB0_3 Depth=1
	s_andn2_saveexec_b64 s[36:37], s[36:37]
; %bb.9:                                ;   in Loop: Header=BB0_3 Depth=1
	v_mov_b32_e32 v19, v10
	v_mov_b32_e32 v10, v7
	;; [unrolled: 1-line block ×4, first 2 shown]
; %bb.10:                               ;   in Loop: Header=BB0_3 Depth=1
	s_or_b64 exec, exec, s[36:37]
                                        ; implicit-def: $vgpr12_vgpr13
                                        ; implicit-def: $vgpr14_vgpr15
                                        ; implicit-def: $vgpr2
                                        ; implicit-def: $vgpr35
                                        ; implicit-def: $vgpr16_vgpr17
                                        ; implicit-def: $vgpr13
                                        ; implicit-def: $vgpr15
.LBB0_11:                               ;   in Loop: Header=BB0_3 Depth=1
	s_andn2_saveexec_b64 s[4:5], s[4:5]
	s_cbranch_execz .LBB0_15
; %bb.12:                               ;   in Loop: Header=BB0_3 Depth=1
	v_xor_b32_e32 v10, v13, v17
	v_xor_b32_e32 v10, v10, v12
	v_mad_u64_u32 v[12:13], s[36:37], v10, s50, 0
	v_xor_b32_e32 v10, v13, v14
	v_xor_b32_e32 v11, v15, v10
	v_cmp_eq_u32_e32 vcc, 1, v2
	v_mov_b32_e32 v19, v6
	v_mov_b32_e32 v10, v35
	;; [unrolled: 1-line block ×3, first 2 shown]
	s_and_saveexec_b64 s[36:37], vcc
; %bb.13:                               ;   in Loop: Header=BB0_3 Depth=1
	v_mov_b32_e32 v19, v7
	v_mov_b32_e32 v10, v6
	;; [unrolled: 1-line block ×4, first 2 shown]
; %bb.14:                               ;   in Loop: Header=BB0_3 Depth=1
	s_or_b64 exec, exec, s[36:37]
	v_mov_b32_e32 v6, v11
	v_mov_b32_e32 v7, v2
.LBB0_15:                               ;   in Loop: Header=BB0_3 Depth=1
	s_or_b64 exec, exec, s[4:5]
	v_min_i32_e32 v11, 4, v1
	v_cmp_lt_i32_e32 vcc, 2, v11
	s_mov_b64 s[36:37], 0
	s_mov_b64 s[4:5], 0
                                        ; implicit-def: $sgpr38_sgpr39
                                        ; implicit-def: $sgpr40_sgpr41
                                        ; implicit-def: $sgpr42_sgpr43
	s_and_saveexec_b64 s[44:45], vcc
	s_xor_b64 s[44:45], exec, s[44:45]
	s_cbranch_execz .LBB0_25
; %bb.16:                               ;   in Loop: Header=BB0_3 Depth=1
	v_cmp_lt_i32_e32 vcc, 3, v11
	s_mov_b64 s[4:5], -1
                                        ; implicit-def: $sgpr38_sgpr39
                                        ; implicit-def: $sgpr46_sgpr47
	s_and_saveexec_b64 s[40:41], vcc
	s_cbranch_execz .LBB0_20
; %bb.17:                               ;   in Loop: Header=BB0_3 Depth=1
	s_waitcnt vmcnt(0)
	v_cmp_le_f64_e32 vcc, 0, v[8:9]
	v_cmp_ge_f64_e64 s[4:5], 1.0, v[8:9]
	s_and_b64 s[46:47], vcc, s[4:5]
	s_mov_b64 s[38:39], 0
	s_mov_b64 s[4:5], 0
	s_and_saveexec_b64 s[42:43], s[46:47]
	s_cbranch_execz .LBB0_19
; %bb.18:                               ;   in Loop: Header=BB0_3 Depth=1
	v_cvt_f32_u32_e32 v2, v19
	v_mov_b32_e32 v14, 0x2f800000
	v_add_u32_e32 v12, s57, v27
	s_mov_b64 s[4:5], exec
	v_fmac_f32_e32 v14, 0x2f800000, v2
	v_cndmask_b32_e64 v2, 0, v12, s[2:3]
	v_lshlrev_b64 v[12:13], 3, v[2:3]
	v_mov_b32_e32 v2, s7
	v_add_co_u32_e32 v12, vcc, s6, v12
	v_addc_co_u32_e32 v13, vcc, v2, v13, vcc
	v_cvt_f64_f32_e32 v[14:15], v14
	v_cmp_ge_f64_e32 vcc, v[8:9], v[14:15]
	v_cndmask_b32_e32 v9, 0, v34, vcc
	v_mov_b32_e32 v8, v3
	global_store_dwordx2 v[12:13], v[8:9], off
.LBB0_19:                               ;   in Loop: Header=BB0_3 Depth=1
	s_or_b64 exec, exec, s[42:43]
	s_mov_b64 s[46:47], -1
	s_orn2_b64 s[4:5], s[4:5], exec
.LBB0_20:                               ;   in Loop: Header=BB0_3 Depth=1
	s_or_b64 exec, exec, s[40:41]
	s_mov_b64 s[2:3], 0
	s_mov_b64 s[42:43], s[38:39]
	s_and_saveexec_b64 s[40:41], s[4:5]
	s_cbranch_execz .LBB0_24
; %bb.21:                               ;   in Loop: Header=BB0_3 Depth=1
	v_add_u32_e32 v2, s51, v30
	v_cmp_lt_i32_e32 vcc, 2, v1
	v_cndmask_b32_e32 v2, 0, v2, vcc
	s_waitcnt vmcnt(0)
	v_lshlrev_b64 v[8:9], 3, v[2:3]
	v_mov_b32_e32 v2, s13
	v_add_co_u32_e64 v8, s[2:3], s12, v8
	v_addc_co_u32_e64 v9, s[2:3], v2, v9, s[2:3]
	global_load_dwordx2 v[8:9], v[8:9], off
	s_waitcnt vmcnt(0)
	v_cmp_le_f64_e64 s[2:3], 0, v[8:9]
	v_cmp_ge_f64_e64 s[4:5], 1.0, v[8:9]
	s_and_b64 s[4:5], s[2:3], s[4:5]
	s_mov_b64 s[2:3], 0
	s_and_saveexec_b64 s[42:43], s[4:5]
	s_xor_b64 s[4:5], exec, s[42:43]
	s_cbranch_execz .LBB0_23
; %bb.22:                               ;   in Loop: Header=BB0_3 Depth=1
	v_cvt_f32_u32_e32 v2, v10
	v_mov_b32_e32 v10, 0x2f800000
	v_add_u32_e32 v12, s57, v26
	s_mov_b64 s[2:3], exec
	v_fmac_f32_e32 v10, 0x2f800000, v2
	v_cndmask_b32_e32 v2, 0, v12, vcc
	v_lshlrev_b64 v[12:13], 3, v[2:3]
	v_mov_b32_e32 v2, s7
	v_add_co_u32_e32 v12, vcc, s6, v12
	v_addc_co_u32_e32 v13, vcc, v2, v13, vcc
	v_cvt_f64_f32_e32 v[14:15], v10
	v_cmp_ge_f64_e32 vcc, v[8:9], v[14:15]
	v_cndmask_b32_e32 v9, 0, v34, vcc
	v_mov_b32_e32 v8, v3
	global_store_dwordx2 v[12:13], v[8:9], off
.LBB0_23:                               ;   in Loop: Header=BB0_3 Depth=1
	s_or_b64 exec, exec, s[4:5]
	s_andn2_b64 s[42:43], s[38:39], exec
	s_or_b64 s[38:39], s[38:39], exec
	s_andn2_b64 s[46:47], s[46:47], exec
	s_and_b64 s[2:3], s[2:3], exec
.LBB0_24:                               ;   in Loop: Header=BB0_3 Depth=1
	s_or_b64 exec, exec, s[40:41]
	s_and_b64 s[42:43], s[42:43], exec
	s_and_b64 s[40:41], s[38:39], exec
	;; [unrolled: 1-line block ×4, first 2 shown]
.LBB0_25:                               ;   in Loop: Header=BB0_3 Depth=1
	s_andn2_saveexec_b64 s[2:3], s[44:45]
; %bb.26:                               ;   in Loop: Header=BB0_3 Depth=1
	v_cmp_lt_i32_e32 vcc, 1, v11
	s_andn2_b64 s[4:5], s[4:5], exec
	s_and_b64 s[44:45], vcc, exec
	s_mov_b64 s[36:37], exec
	s_andn2_b64 s[42:43], s[42:43], exec
	s_andn2_b64 s[40:41], s[40:41], exec
	;; [unrolled: 1-line block ×3, first 2 shown]
	s_or_b64 s[4:5], s[4:5], s[44:45]
; %bb.27:                               ;   in Loop: Header=BB0_3 Depth=1
	s_or_b64 exec, exec, s[2:3]
	s_mov_b64 s[44:45], 0
	s_mov_b64 s[2:3], 0
	;; [unrolled: 1-line block ×3, first 2 shown]
	s_and_saveexec_b64 s[48:49], s[4:5]
	s_cbranch_execnz .LBB0_30
; %bb.28:                               ;   in Loop: Header=BB0_3 Depth=1
	s_or_b64 exec, exec, s[48:49]
	s_and_saveexec_b64 s[4:5], s[36:37]
	s_cbranch_execnz .LBB0_33
.LBB0_29:                               ;   in Loop: Header=BB0_3 Depth=1
	s_or_b64 exec, exec, s[4:5]
	s_and_saveexec_b64 s[36:37], s[2:3]
	s_cbranch_execnz .LBB0_34
	s_branch .LBB0_37
.LBB0_30:                               ;   in Loop: Header=BB0_3 Depth=1
	v_add_u32_e32 v2, s51, v29
	v_cmp_lt_i32_e32 vcc, 1, v1
	v_cndmask_b32_e32 v2, 0, v2, vcc
	s_waitcnt vmcnt(0)
	v_lshlrev_b64 v[8:9], 3, v[2:3]
	v_mov_b32_e32 v2, s13
	v_add_co_u32_e64 v8, s[2:3], s12, v8
	v_addc_co_u32_e64 v9, s[2:3], v2, v9, s[2:3]
	global_load_dwordx2 v[8:9], v[8:9], off
	s_waitcnt vmcnt(0)
	v_cmp_le_f64_e64 s[2:3], 0, v[8:9]
	v_cmp_ge_f64_e64 s[4:5], 1.0, v[8:9]
	s_and_b64 s[4:5], s[2:3], s[4:5]
	s_mov_b64 s[2:3], 0
	s_and_saveexec_b64 s[46:47], s[4:5]
	s_xor_b64 s[4:5], exec, s[46:47]
	s_cbranch_execz .LBB0_32
; %bb.31:                               ;   in Loop: Header=BB0_3 Depth=1
	v_cvt_f32_u32_e32 v2, v7
	v_mov_b32_e32 v7, 0x2f800000
	v_add_u32_e32 v10, s57, v25
	s_mov_b64 s[2:3], exec
	v_fmac_f32_e32 v7, 0x2f800000, v2
	v_cndmask_b32_e32 v2, 0, v10, vcc
	v_lshlrev_b64 v[12:13], 3, v[2:3]
	v_mov_b32_e32 v2, s7
	v_add_co_u32_e32 v12, vcc, s6, v12
	v_addc_co_u32_e32 v13, vcc, v2, v13, vcc
	v_cvt_f64_f32_e32 v[14:15], v7
	v_cmp_ge_f64_e32 vcc, v[8:9], v[14:15]
	v_cndmask_b32_e32 v9, 0, v34, vcc
	v_mov_b32_e32 v8, v3
	global_store_dwordx2 v[12:13], v[8:9], off
.LBB0_32:                               ;   in Loop: Header=BB0_3 Depth=1
	s_or_b64 exec, exec, s[4:5]
	s_andn2_b64 s[46:47], s[42:43], exec
	s_or_b64 s[42:43], s[42:43], exec
	s_andn2_b64 s[40:41], s[40:41], exec
	s_andn2_b64 s[38:39], s[38:39], exec
	s_and_b64 s[2:3], s[2:3], exec
	s_andn2_b64 s[36:37], s[36:37], exec
	s_or_b64 exec, exec, s[48:49]
	s_and_saveexec_b64 s[4:5], s[36:37]
	s_cbranch_execz .LBB0_29
.LBB0_33:                               ;   in Loop: Header=BB0_3 Depth=1
	v_cmp_eq_u32_e32 vcc, 1, v11
	s_andn2_b64 s[2:3], s[2:3], exec
	s_and_b64 s[36:37], vcc, exec
	s_mov_b64 s[44:45], exec
	s_andn2_b64 s[46:47], s[46:47], exec
	s_andn2_b64 s[42:43], s[42:43], exec
	s_andn2_b64 s[40:41], s[40:41], exec
	s_andn2_b64 s[38:39], s[38:39], exec
	s_or_b64 s[2:3], s[2:3], s[36:37]
	s_or_b64 exec, exec, s[4:5]
	s_and_saveexec_b64 s[36:37], s[2:3]
	s_cbranch_execz .LBB0_37
.LBB0_34:                               ;   in Loop: Header=BB0_3 Depth=1
	v_add_u32_e32 v2, s51, v32
	v_cmp_lt_i32_e32 vcc, 0, v1
	v_cndmask_b32_e32 v2, 0, v2, vcc
	s_waitcnt vmcnt(0)
	v_lshlrev_b64 v[8:9], 3, v[2:3]
	v_mov_b32_e32 v2, s13
	v_add_co_u32_e64 v8, s[2:3], s12, v8
	v_addc_co_u32_e64 v9, s[2:3], v2, v9, s[2:3]
	global_load_dwordx2 v[8:9], v[8:9], off
	s_waitcnt vmcnt(0)
	v_cmp_le_f64_e64 s[2:3], 0, v[8:9]
	v_cmp_ge_f64_e64 s[4:5], 1.0, v[8:9]
	s_and_b64 s[48:49], s[2:3], s[4:5]
	s_mov_b64 s[2:3], 0
	s_and_saveexec_b64 s[4:5], s[48:49]
	s_cbranch_execz .LBB0_36
; %bb.35:                               ;   in Loop: Header=BB0_3 Depth=1
	v_cvt_f32_u32_e32 v2, v6
	v_mov_b32_e32 v10, 0x2f800000
	v_add_u32_e32 v6, s57, v28
	s_mov_b64 s[2:3], exec
	v_fmac_f32_e32 v10, 0x2f800000, v2
	v_cndmask_b32_e32 v2, 0, v6, vcc
	v_lshlrev_b64 v[6:7], 3, v[2:3]
	v_mov_b32_e32 v2, s7
	v_add_co_u32_e32 v6, vcc, s6, v6
	v_addc_co_u32_e32 v7, vcc, v2, v7, vcc
	v_cvt_f64_f32_e32 v[10:11], v10
	v_cmp_ge_f64_e32 vcc, v[8:9], v[10:11]
	v_cndmask_b32_e32 v9, 0, v34, vcc
	v_mov_b32_e32 v8, v3
	global_store_dwordx2 v[6:7], v[8:9], off
.LBB0_36:                               ;   in Loop: Header=BB0_3 Depth=1
	s_or_b64 exec, exec, s[4:5]
	s_andn2_b64 s[4:5], s[44:45], exec
	s_and_b64 s[2:3], s[2:3], exec
	s_or_b64 s[46:47], s[46:47], exec
	s_andn2_b64 s[42:43], s[42:43], exec
	s_andn2_b64 s[40:41], s[40:41], exec
	;; [unrolled: 1-line block ×3, first 2 shown]
	s_or_b64 s[44:45], s[4:5], s[2:3]
.LBB0_37:                               ;   in Loop: Header=BB0_3 Depth=1
	s_or_b64 exec, exec, s[36:37]
	s_andn2_b64 s[4:5], s[34:35], exec
	s_and_b64 s[34:35], s[46:47], exec
	s_or_b64 s[34:35], s[4:5], s[34:35]
	s_andn2_b64 s[4:5], s[30:31], exec
	s_and_b64 s[30:31], s[42:43], exec
	s_or_b64 s[30:31], s[4:5], s[30:31]
	;; [unrolled: 3-line block ×3, first 2 shown]
	s_andn2_b64 s[4:5], s[26:27], exec
	s_and_b64 s[26:27], s[38:39], exec
	s_mov_b64 s[2:3], -1
	s_or_b64 s[26:27], s[4:5], s[26:27]
	s_and_saveexec_b64 s[4:5], s[44:45]
	s_cbranch_execz .LBB0_2
; %bb.38:                               ;   in Loop: Header=BB0_3 Depth=1
	v_add_u32_e32 v24, s52, v24
	v_cmp_le_u32_e32 vcc, s33, v24
	v_subrev_u32_e32 v1, s52, v1
	s_add_i32 s57, s57, s53
	s_add_i32 s51, s51, s54
	s_andn2_b64 s[34:35], s[34:35], exec
	s_andn2_b64 s[30:31], s[30:31], exec
	;; [unrolled: 1-line block ×4, first 2 shown]
	s_orn2_b64 s[2:3], vcc, exec
	s_branch .LBB0_2
.LBB0_39:
	s_or_b64 exec, exec, s[18:19]
	s_xor_b64 s[6:7], s[24:25], -1
	s_xor_b64 s[8:9], s[22:23], -1
	;; [unrolled: 1-line block ×3, first 2 shown]
	s_mov_b64 s[2:3], 0
	s_and_saveexec_b64 s[4:5], s[0:1]
	s_xor_b64 s[0:1], exec, s[4:5]
	s_cbranch_execnz .LBB0_44
; %bb.40:
	s_andn2_saveexec_b64 s[0:1], s[0:1]
	s_cbranch_execnz .LBB0_52
.LBB0_41:
	s_or_b64 exec, exec, s[0:1]
	s_and_b64 exec, exec, s[2:3]
.LBB0_42:
	; divergent unreachable
.LBB0_43:
	s_endpgm
.LBB0_44:
	s_mov_b64 s[4:5], 0
	s_and_saveexec_b64 s[2:3], s[8:9]
	s_xor_b64 s[2:3], exec, s[2:3]
	s_cbranch_execz .LBB0_50
; %bb.45:
	s_and_saveexec_b64 s[8:9], s[6:7]
	s_xor_b64 s[6:7], exec, s[8:9]
	s_cbranch_execz .LBB0_48
; %bb.46:
	s_and_saveexec_b64 s[8:9], s[16:17]
	s_xor_b64 s[8:9], exec, s[8:9]
	s_cbranch_execnz .LBB0_55
.LBB0_47:
	s_or_b64 exec, exec, s[8:9]
	s_and_b64 s[4:5], s[4:5], exec
.LBB0_48:
	s_andn2_saveexec_b64 s[6:7], s[6:7]
	s_cbranch_execnz .LBB0_54
.LBB0_49:
	s_or_b64 exec, exec, s[6:7]
	s_and_b64 s[4:5], s[4:5], exec
.LBB0_50:
	s_andn2_saveexec_b64 s[2:3], s[2:3]
	s_cbranch_execnz .LBB0_53
.LBB0_51:
	s_or_b64 exec, exec, s[2:3]
	s_and_b64 s[2:3], s[4:5], exec
	s_andn2_saveexec_b64 s[0:1], s[0:1]
	s_cbranch_execz .LBB0_41
.LBB0_52:
	s_or_b64 s[2:3], s[2:3], exec
	s_trap 2
	s_or_b64 exec, exec, s[0:1]
	s_and_b64 exec, exec, s[2:3]
	s_cbranch_execnz .LBB0_42
	s_branch .LBB0_43
.LBB0_53:
	s_or_b64 s[4:5], s[4:5], exec
	s_trap 2
	s_branch .LBB0_51
.LBB0_54:
	s_trap 2
	s_or_b64 s[4:5], s[4:5], exec
	s_branch .LBB0_49
.LBB0_55:
	s_mov_b64 s[4:5], exec
	s_trap 2
	s_branch .LBB0_47
	.section	.rodata,"a",@progbits
	.p2align	6, 0x0
	.amdhsa_kernel _ZN2at4cuda12_GLOBAL__N_121kernelPointwiseApply2IZNS_6native9templates4cuda28bernoulli_tensor_cuda_kernelIddEEvRKNS_10TensorBaseES9_NS_15PhiloxCudaStateEEUliRdSB_SB_SB_RKdSD_SD_SD_E_dSC_jLi1ELi1ELi4ELi512ELi2EEEvNS0_6detail10TensorInfoIT0_T2_EENSG_IT1_SI_EESI_T_
		.amdhsa_group_segment_fixed_size 0
		.amdhsa_private_segment_fixed_size 0
		.amdhsa_kernarg_size 728
		.amdhsa_user_sgpr_count 6
		.amdhsa_user_sgpr_private_segment_buffer 1
		.amdhsa_user_sgpr_dispatch_ptr 0
		.amdhsa_user_sgpr_queue_ptr 0
		.amdhsa_user_sgpr_kernarg_segment_ptr 1
		.amdhsa_user_sgpr_dispatch_id 0
		.amdhsa_user_sgpr_flat_scratch_init 0
		.amdhsa_user_sgpr_kernarg_preload_length 0
		.amdhsa_user_sgpr_kernarg_preload_offset 0
		.amdhsa_user_sgpr_private_segment_size 0
		.amdhsa_uses_dynamic_stack 0
		.amdhsa_system_sgpr_private_segment_wavefront_offset 0
		.amdhsa_system_sgpr_workgroup_id_x 1
		.amdhsa_system_sgpr_workgroup_id_y 0
		.amdhsa_system_sgpr_workgroup_id_z 0
		.amdhsa_system_sgpr_workgroup_info 0
		.amdhsa_system_vgpr_workitem_id 0
		.amdhsa_next_free_vgpr 52
		.amdhsa_next_free_sgpr 58
		.amdhsa_accum_offset 52
		.amdhsa_reserve_vcc 1
		.amdhsa_reserve_flat_scratch 0
		.amdhsa_float_round_mode_32 0
		.amdhsa_float_round_mode_16_64 0
		.amdhsa_float_denorm_mode_32 3
		.amdhsa_float_denorm_mode_16_64 3
		.amdhsa_dx10_clamp 1
		.amdhsa_ieee_mode 1
		.amdhsa_fp16_overflow 0
		.amdhsa_tg_split 0
		.amdhsa_exception_fp_ieee_invalid_op 0
		.amdhsa_exception_fp_denorm_src 0
		.amdhsa_exception_fp_ieee_div_zero 0
		.amdhsa_exception_fp_ieee_overflow 0
		.amdhsa_exception_fp_ieee_underflow 0
		.amdhsa_exception_fp_ieee_inexact 0
		.amdhsa_exception_int_div_zero 0
	.end_amdhsa_kernel
	.section	.text._ZN2at4cuda12_GLOBAL__N_121kernelPointwiseApply2IZNS_6native9templates4cuda28bernoulli_tensor_cuda_kernelIddEEvRKNS_10TensorBaseES9_NS_15PhiloxCudaStateEEUliRdSB_SB_SB_RKdSD_SD_SD_E_dSC_jLi1ELi1ELi4ELi512ELi2EEEvNS0_6detail10TensorInfoIT0_T2_EENSG_IT1_SI_EESI_T_,"axG",@progbits,_ZN2at4cuda12_GLOBAL__N_121kernelPointwiseApply2IZNS_6native9templates4cuda28bernoulli_tensor_cuda_kernelIddEEvRKNS_10TensorBaseES9_NS_15PhiloxCudaStateEEUliRdSB_SB_SB_RKdSD_SD_SD_E_dSC_jLi1ELi1ELi4ELi512ELi2EEEvNS0_6detail10TensorInfoIT0_T2_EENSG_IT1_SI_EESI_T_,comdat
.Lfunc_end0:
	.size	_ZN2at4cuda12_GLOBAL__N_121kernelPointwiseApply2IZNS_6native9templates4cuda28bernoulli_tensor_cuda_kernelIddEEvRKNS_10TensorBaseES9_NS_15PhiloxCudaStateEEUliRdSB_SB_SB_RKdSD_SD_SD_E_dSC_jLi1ELi1ELi4ELi512ELi2EEEvNS0_6detail10TensorInfoIT0_T2_EENSG_IT1_SI_EESI_T_, .Lfunc_end0-_ZN2at4cuda12_GLOBAL__N_121kernelPointwiseApply2IZNS_6native9templates4cuda28bernoulli_tensor_cuda_kernelIddEEvRKNS_10TensorBaseES9_NS_15PhiloxCudaStateEEUliRdSB_SB_SB_RKdSD_SD_SD_E_dSC_jLi1ELi1ELi4ELi512ELi2EEEvNS0_6detail10TensorInfoIT0_T2_EENSG_IT1_SI_EESI_T_
                                        ; -- End function
	.section	.AMDGPU.csdata,"",@progbits
; Kernel info:
; codeLenInByte = 2704
; NumSgprs: 62
; NumVgprs: 52
; NumAgprs: 0
; TotalNumVgprs: 52
; ScratchSize: 0
; MemoryBound: 0
; FloatMode: 240
; IeeeMode: 1
; LDSByteSize: 0 bytes/workgroup (compile time only)
; SGPRBlocks: 7
; VGPRBlocks: 6
; NumSGPRsForWavesPerEU: 62
; NumVGPRsForWavesPerEU: 52
; AccumOffset: 52
; Occupancy: 8
; WaveLimiterHint : 1
; COMPUTE_PGM_RSRC2:SCRATCH_EN: 0
; COMPUTE_PGM_RSRC2:USER_SGPR: 6
; COMPUTE_PGM_RSRC2:TRAP_HANDLER: 0
; COMPUTE_PGM_RSRC2:TGID_X_EN: 1
; COMPUTE_PGM_RSRC2:TGID_Y_EN: 0
; COMPUTE_PGM_RSRC2:TGID_Z_EN: 0
; COMPUTE_PGM_RSRC2:TIDIG_COMP_CNT: 0
; COMPUTE_PGM_RSRC3_GFX90A:ACCUM_OFFSET: 12
; COMPUTE_PGM_RSRC3_GFX90A:TG_SPLIT: 0
	.section	.text._ZN2at4cuda12_GLOBAL__N_121kernelPointwiseApply2IZNS_6native9templates4cuda28bernoulli_tensor_cuda_kernelIddEEvRKNS_10TensorBaseES9_NS_15PhiloxCudaStateEEUliRdSB_SB_SB_RKdSD_SD_SD_E_dSC_jLi1ELi2ELi4ELi512ELi2EEEvNS0_6detail10TensorInfoIT0_T2_EENSG_IT1_SI_EESI_T_,"axG",@progbits,_ZN2at4cuda12_GLOBAL__N_121kernelPointwiseApply2IZNS_6native9templates4cuda28bernoulli_tensor_cuda_kernelIddEEvRKNS_10TensorBaseES9_NS_15PhiloxCudaStateEEUliRdSB_SB_SB_RKdSD_SD_SD_E_dSC_jLi1ELi2ELi4ELi512ELi2EEEvNS0_6detail10TensorInfoIT0_T2_EENSG_IT1_SI_EESI_T_,comdat
	.globl	_ZN2at4cuda12_GLOBAL__N_121kernelPointwiseApply2IZNS_6native9templates4cuda28bernoulli_tensor_cuda_kernelIddEEvRKNS_10TensorBaseES9_NS_15PhiloxCudaStateEEUliRdSB_SB_SB_RKdSD_SD_SD_E_dSC_jLi1ELi2ELi4ELi512ELi2EEEvNS0_6detail10TensorInfoIT0_T2_EENSG_IT1_SI_EESI_T_ ; -- Begin function _ZN2at4cuda12_GLOBAL__N_121kernelPointwiseApply2IZNS_6native9templates4cuda28bernoulli_tensor_cuda_kernelIddEEvRKNS_10TensorBaseES9_NS_15PhiloxCudaStateEEUliRdSB_SB_SB_RKdSD_SD_SD_E_dSC_jLi1ELi2ELi4ELi512ELi2EEEvNS0_6detail10TensorInfoIT0_T2_EENSG_IT1_SI_EESI_T_
	.p2align	8
	.type	_ZN2at4cuda12_GLOBAL__N_121kernelPointwiseApply2IZNS_6native9templates4cuda28bernoulli_tensor_cuda_kernelIddEEvRKNS_10TensorBaseES9_NS_15PhiloxCudaStateEEUliRdSB_SB_SB_RKdSD_SD_SD_E_dSC_jLi1ELi2ELi4ELi512ELi2EEEvNS0_6detail10TensorInfoIT0_T2_EENSG_IT1_SI_EESI_T_,@function
_ZN2at4cuda12_GLOBAL__N_121kernelPointwiseApply2IZNS_6native9templates4cuda28bernoulli_tensor_cuda_kernelIddEEvRKNS_10TensorBaseES9_NS_15PhiloxCudaStateEEUliRdSB_SB_SB_RKdSD_SD_SD_E_dSC_jLi1ELi2ELi4ELi512ELi2EEEvNS0_6detail10TensorInfoIT0_T2_EENSG_IT1_SI_EESI_T_: ; @_ZN2at4cuda12_GLOBAL__N_121kernelPointwiseApply2IZNS_6native9templates4cuda28bernoulli_tensor_cuda_kernelIddEEvRKNS_10TensorBaseES9_NS_15PhiloxCudaStateEEUliRdSB_SB_SB_RKdSD_SD_SD_E_dSC_jLi1ELi2ELi4ELi512ELi2EEEvNS0_6detail10TensorInfoIT0_T2_EENSG_IT1_SI_EESI_T_
; %bb.0:
	s_load_dword s2, s[4:5], 0x1e4
	s_load_dword s33, s[4:5], 0x1b0
	s_add_u32 s0, s4, 0x1d8
	s_addc_u32 s1, s5, 0
	s_waitcnt lgkmcnt(0)
	s_and_b32 s2, s2, 0xffff
	s_mul_i32 s6, s6, s2
	v_add_u32_e32 v1, s6, v0
	v_lshlrev_b32_e32 v0, 2, v1
	v_cmp_gt_u32_e32 vcc, s33, v0
	s_and_saveexec_b64 s[6:7], vcc
	s_cbranch_execz .LBB1_51
; %bb.1:
	s_load_dwordx2 s[12:13], s[4:5], 0x0
	s_load_dword s3, s[4:5], 0x6c
	s_load_dwordx2 s[14:15], s[4:5], 0xd8
	s_load_dword s56, s[4:5], 0xe4
	s_load_dword s6, s[0:1], 0x0
	s_load_dwordx2 s[16:17], s[4:5], 0x1c8
	s_load_dword s7, s[4:5], 0x1d0
	s_load_dwordx2 s[18:19], s[4:5], 0x144
	s_load_dwordx4 s[8:11], s[4:5], 0x1b8
	s_waitcnt lgkmcnt(0)
	v_cvt_f32_u32_e32 v2, s56
	s_mov_b32 s57, 0xcd9e8d57
	s_bitcmp1_b32 s7, 0
	s_cselect_b64 s[22:23], -1, 0
	v_rcp_iflag_f32_e32 v4, v2
	v_mad_u64_u32 v[2:3], s[0:1], v1, s57, 0
	s_sub_i32 s60, 0, s56
	v_mul_f32_e32 v4, 0x4f7ffffe, v4
	v_cvt_u32_f32_e32 v4, v4
	v_mov_b32_e32 v6, v3
	s_mul_i32 s6, s6, s2
	s_lshl_b32 s59, s6, 2
	v_mul_lo_u32 v3, s60, v4
	v_mul_hi_u32 v3, v4, v3
	v_add_u32_e32 v3, v4, v3
	v_add_u32_e32 v4, 2, v0
	v_mul_lo_u32 v34, v0, s3
	v_mul_lo_u32 v36, s3, v4
	v_add_u32_e32 v4, 3, v0
	s_mov_b32 s58, 0
	v_mov_b32_e32 v5, 0
	v_sub_u32_e32 v7, s33, v0
	v_add_u32_e32 v35, s3, v34
	s_mul_i32 s61, s59, s3
	v_mul_lo_u32 v37, s3, v4
	s_mov_b64 s[24:25], 0
	s_mov_b32 s62, 0xd2511f53
	s_mov_b32 s63, 0xf1bbcdc8
	v_mov_b32_e32 v38, 0x3ff00000
                                        ; implicit-def: $sgpr26_sgpr27
                                        ; implicit-def: $sgpr28_sgpr29
                                        ; implicit-def: $sgpr30_sgpr31
                                        ; implicit-def: $sgpr20_sgpr21
                                        ; implicit-def: $sgpr34_sgpr35
                                        ; implicit-def: $sgpr36_sgpr37
                                        ; implicit-def: $sgpr38_sgpr39
                                        ; implicit-def: $sgpr40_sgpr41
	s_branch .LBB1_3
.LBB1_2:                                ;   in Loop: Header=BB1_3 Depth=1
	s_or_b64 exec, exec, s[2:3]
	s_and_b64 s[0:1], exec, s[0:1]
	s_or_b64 s[24:25], s[0:1], s[24:25]
	s_andn2_b64 s[0:1], s[20:21], exec
	s_and_b64 s[2:3], s[40:41], exec
	s_or_b64 s[20:21], s[0:1], s[2:3]
	s_andn2_b64 s[0:1], s[30:31], exec
	s_and_b64 s[2:3], s[38:39], exec
	;; [unrolled: 3-line block ×4, first 2 shown]
	s_or_b64 s[26:27], s[0:1], s[2:3]
	s_andn2_b64 exec, exec, s[24:25]
	s_cbranch_execz .LBB1_47
.LBB1_3:                                ; =>This Inner Loop Header: Depth=1
	v_pk_mov_b32 v[10:11], 0, 0
	v_cmp_lt_i32_e64 s[0:1], 0, v7
	v_pk_mov_b32 v[8:9], v[10:11], v[10:11] op_sel:[0,1]
	s_and_saveexec_b64 s[2:3], s[0:1]
	s_cbranch_execz .LBB1_5
; %bb.4:                                ;   in Loop: Header=BB1_3 Depth=1
	v_mul_hi_u32 v4, v3, v0
	v_not_b32_e32 v12, v4
	v_mad_u64_u32 v[8:9], s[4:5], s60, v4, v[0:1]
	v_add_u32_e32 v9, 1, v4
	v_cmp_le_u32_e32 vcc, s56, v8
	v_mad_u64_u32 v[12:13], s[4:5], s56, v12, v[0:1]
	v_cndmask_b32_e32 v4, v4, v9, vcc
	v_cndmask_b32_e32 v8, v8, v12, vcc
	v_add_u32_e32 v9, 1, v4
	v_cmp_le_u32_e32 vcc, s56, v8
	v_cndmask_b32_e32 v12, v4, v9, vcc
	v_mad_u64_u32 v[8:9], s[4:5], s60, v12, v[0:1]
	v_mul_lo_u32 v4, v8, s19
	v_mad_u64_u32 v[8:9], s[4:5], v12, s18, v[4:5]
	v_mov_b32_e32 v9, v5
.LBB1_5:                                ;   in Loop: Header=BB1_3 Depth=1
	s_or_b64 exec, exec, s[2:3]
	v_cmp_lt_i32_e64 s[2:3], 1, v7
	s_and_saveexec_b64 s[4:5], s[2:3]
	s_cbranch_execz .LBB1_7
; %bb.6:                                ;   in Loop: Header=BB1_3 Depth=1
	v_add_u32_e32 v4, 1, v0
	v_mul_hi_u32 v10, v4, v3
	v_mul_lo_u32 v11, v10, s56
	v_sub_u32_e32 v11, v4, v11
	v_add_u32_e32 v12, 1, v10
	v_cmp_le_u32_e32 vcc, s56, v11
	v_cndmask_b32_e32 v10, v10, v12, vcc
	v_subrev_u32_e32 v12, s56, v11
	v_cndmask_b32_e32 v11, v11, v12, vcc
	v_add_u32_e32 v12, 1, v10
	v_cmp_le_u32_e32 vcc, s56, v11
	v_cndmask_b32_e32 v10, v10, v12, vcc
	v_mul_lo_u32 v11, v10, s56
	v_sub_u32_e32 v4, v4, v11
	v_mul_lo_u32 v4, v4, s19
	v_mad_u64_u32 v[10:11], s[6:7], v10, s18, v[4:5]
	v_mov_b32_e32 v11, v5
.LBB1_7:                                ;   in Loop: Header=BB1_3 Depth=1
	s_or_b64 exec, exec, s[4:5]
	v_pk_mov_b32 v[16:17], 0, 0
	v_cmp_lt_i32_e64 s[4:5], 2, v7
	v_pk_mov_b32 v[14:15], v[16:17], v[16:17] op_sel:[0,1]
	s_and_saveexec_b64 s[6:7], s[4:5]
	s_cbranch_execz .LBB1_9
; %bb.8:                                ;   in Loop: Header=BB1_3 Depth=1
	v_add_u32_e32 v4, 2, v0
	v_mul_hi_u32 v12, v4, v3
	v_mul_lo_u32 v13, v12, s56
	v_sub_u32_e32 v13, v4, v13
	v_add_u32_e32 v14, 1, v12
	v_cmp_le_u32_e32 vcc, s56, v13
	v_cndmask_b32_e32 v12, v12, v14, vcc
	v_subrev_u32_e32 v14, s56, v13
	v_cndmask_b32_e32 v13, v13, v14, vcc
	v_add_u32_e32 v14, 1, v12
	v_cmp_le_u32_e32 vcc, s56, v13
	v_cndmask_b32_e32 v12, v12, v14, vcc
	v_mul_lo_u32 v13, v12, s56
	v_sub_u32_e32 v4, v4, v13
	v_mul_lo_u32 v4, v4, s19
	v_mad_u64_u32 v[14:15], s[42:43], v12, s18, v[4:5]
	v_mov_b32_e32 v15, v5
.LBB1_9:                                ;   in Loop: Header=BB1_3 Depth=1
	s_or_b64 exec, exec, s[6:7]
	v_cmp_lt_i32_e32 vcc, 3, v7
	v_pk_mov_b32 v[12:13], v[16:17], v[16:17] op_sel:[0,1]
	s_and_saveexec_b64 s[6:7], vcc
	s_cbranch_execz .LBB1_11
; %bb.10:                               ;   in Loop: Header=BB1_3 Depth=1
	v_add_u32_e32 v12, 3, v0
	v_mul_hi_u32 v13, v12, v3
	v_mul_lo_u32 v16, v13, s56
	v_sub_u32_e32 v16, v12, v16
	v_add_u32_e32 v17, 1, v13
	v_cmp_le_u32_e32 vcc, s56, v16
	v_cndmask_b32_e32 v13, v13, v17, vcc
	v_subrev_u32_e32 v17, s56, v16
	v_cndmask_b32_e32 v16, v16, v17, vcc
	v_add_u32_e32 v17, 1, v13
	v_cmp_le_u32_e32 vcc, s56, v16
	v_cndmask_b32_e32 v13, v13, v17, vcc
	v_mul_lo_u32 v16, v13, s56
	v_sub_u32_e32 v12, v12, v16
	v_mul_lo_u32 v12, v12, s19
	v_add_u32_e32 v4, s58, v37
	v_mad_u64_u32 v[12:13], s[42:43], v13, s18, v[12:13]
	v_mov_b32_e32 v13, v5
	v_pk_mov_b32 v[16:17], v[4:5], v[4:5] op_sel:[0,1]
.LBB1_11:                               ;   in Loop: Header=BB1_3 Depth=1
	s_or_b64 exec, exec, s[6:7]
	v_lshlrev_b64 v[12:13], 3, v[12:13]
	v_mov_b32_e32 v4, s15
	v_add_co_u32_e32 v12, vcc, s14, v12
	v_addc_co_u32_e32 v13, vcc, v4, v13, vcc
	global_load_dwordx2 v[18:19], v[12:13], off
	s_andn2_b64 vcc, exec, s[22:23]
	v_pk_mov_b32 v[12:13], s[10:11], s[10:11] op_sel:[0,1]
	v_pk_mov_b32 v[20:21], s[8:9], s[8:9] op_sel:[0,1]
	s_cbranch_vccnz .LBB1_13
; %bb.12:                               ;   in Loop: Header=BB1_3 Depth=1
	v_pk_mov_b32 v[12:13], s[10:11], s[10:11] op_sel:[0,1]
	flat_load_dwordx2 v[12:13], v[12:13]
	v_pk_mov_b32 v[20:21], s[8:9], s[8:9] op_sel:[0,1]
	flat_load_dwordx2 v[20:21], v[20:21]
	v_mov_b32_e32 v4, s17
	s_waitcnt vmcnt(0) lgkmcnt(0)
	v_add_co_u32_e32 v12, vcc, s16, v12
	v_addc_co_u32_e32 v13, vcc, v13, v4, vcc
.LBB1_13:                               ;   in Loop: Header=BB1_3 Depth=1
	v_alignbit_b32 v30, v13, v12, 2
	v_lshrrev_b32_e32 v31, 2, v13
	v_xor_b32_e32 v22, v6, v20
	v_and_b32_e32 v4, 3, v12
	v_mad_u64_u32 v[12:13], s[6:7], v30, s62, 0
	v_xor_b32_e32 v22, v22, v31
	v_xor_b32_e32 v13, v13, v21
	v_add_u32_e32 v43, 0xbb67ae85, v21
	v_mad_u64_u32 v[22:23], s[6:7], v22, s62, 0
	v_mad_u64_u32 v[24:25], s[6:7], v13, s57, 0
	v_xor_b32_e32 v23, v43, v23
	v_add_u32_e32 v42, 0x9e3779b9, v20
	v_xor_b32_e32 v13, v2, v25
	v_xor_b32_e32 v23, v23, v12
	v_xor_b32_e32 v13, v13, v42
	v_add_u32_e32 v44, 0x3c6ef372, v20
	v_mad_u64_u32 v[26:27], s[6:7], v23, s57, 0
	v_add_u32_e32 v45, 0x76cf5d0a, v21
	v_mad_u64_u32 v[12:13], s[6:7], v13, s62, 0
	v_xor_b32_e32 v23, v44, v27
	v_xor_b32_e32 v23, v23, v24
	v_xor_b32_e32 v13, v45, v13
	v_xor_b32_e32 v13, v13, v22
	v_add_u32_e32 v47, 0x32370b8f, v21
	v_mad_u64_u32 v[22:23], s[6:7], v23, s62, 0
	v_add_u32_e32 v46, 0xdaa66d2b, v20
	v_mad_u64_u32 v[24:25], s[6:7], v13, s57, 0
	v_xor_b32_e32 v23, v47, v23
	;; [unrolled: 8-line block ×5, first 2 shown]
	v_xor_b32_e32 v23, v23, v24
	v_xor_b32_e32 v13, v53, v13
	;; [unrolled: 1-line block ×3, first 2 shown]
	v_add_u32_e32 v55, 0x1fd5c5a3, v21
	v_mad_u64_u32 v[22:23], s[6:7], v23, s62, 0
	v_xor_b32_e32 v23, v55, v23
	v_xor_b32_e32 v12, v23, v12
	v_add_u32_e32 v54, 0x5384540f, v20
	v_mad_u64_u32 v[28:29], s[6:7], v13, s57, 0
	v_add_co_u32_e32 v40, vcc, s63, v20
	v_mad_u64_u32 v[24:25], s[6:7], v12, s57, 0
	v_xor_b32_e32 v13, v54, v29
	v_xor_b32_e32 v12, v40, v25
	;; [unrolled: 1-line block ×4, first 2 shown]
	v_mad_u64_u32 v[26:27], s[6:7], v13, s62, 0
	v_mad_u64_u32 v[12:13], s[6:7], v12, s62, 0
	v_add_u32_e32 v41, 0x96a522ad, v21
	v_xor_b32_e32 v13, v13, v26
	v_xor_b32_e32 v39, v41, v13
	v_add_co_u32_e32 v13, vcc, 1, v30
	v_cndmask_b32_e64 v26, 0, 1, vcc
	v_addc_co_u32_e32 v32, vcc, 0, v31, vcc
	v_cmp_eq_u32_e32 vcc, 0, v32
	v_cndmask_b32_e32 v26, 0, v26, vcc
	v_add_u32_e32 v30, v26, v1
	v_cmp_eq_u32_e32 vcc, 0, v30
	v_mad_u64_u32 v[28:29], s[6:7], v13, s62, 0
	v_mad_u64_u32 v[30:31], s[6:7], v30, s57, 0
	v_add_u32_e32 v25, 0x8ff34781, v20
	v_cndmask_b32_e32 v26, 0, v26, vcc
	v_xor_b32_e32 v13, v31, v20
	v_xor_b32_e32 v20, v29, v21
	;; [unrolled: 1-line block ×4, first 2 shown]
	v_mad_u64_u32 v[32:33], s[6:7], v26, s57, 0
	v_add_u32_e32 v23, 0xdb3d7428, v21
	v_mad_u64_u32 v[20:21], s[6:7], v13, s62, 0
	v_xor_b32_e32 v13, v42, v33
	v_xor_b32_e32 v13, v13, v30
	v_xor_b32_e32 v21, v43, v21
	v_xor_b32_e32 v21, v21, v28
	v_mad_u64_u32 v[28:29], s[6:7], v13, s62, 0
	v_mad_u64_u32 v[30:31], s[6:7], v21, s57, 0
	v_xor_b32_e32 v21, v45, v29
	v_xor_b32_e32 v13, v44, v31
	v_xor_b32_e32 v26, v21, v20
	v_xor_b32_e32 v13, v13, v32
	v_mad_u64_u32 v[32:33], s[6:7], v26, s57, 0
	;; [unrolled: 6-line block ×7, first 2 shown]
	v_xor_b32_e32 v13, v23, v31
	v_xor_b32_e32 v13, v13, v20
	v_mad_u64_u32 v[32:33], s[6:7], v21, s57, 0
	v_mad_u64_u32 v[20:21], s[6:7], v13, s57, 0
	v_xor_b32_e32 v13, v21, v32
	v_xor_b32_e32 v13, v25, v13
	v_cmp_lt_i32_e32 vcc, 1, v4
                                        ; implicit-def: $vgpr29
	s_and_saveexec_b64 s[6:7], vcc
	s_xor_b64 s[6:7], exec, s[6:7]
	s_cbranch_execz .LBB1_19
; %bb.14:                               ;   in Loop: Header=BB1_3 Depth=1
	v_cmp_lt_i32_e32 vcc, 2, v4
                                        ; implicit-def: $vgpr29
	s_and_saveexec_b64 s[42:43], vcc
	s_xor_b64 s[42:43], exec, s[42:43]
; %bb.15:                               ;   in Loop: Header=BB1_3 Depth=1
	v_xor_b32_e32 v4, v40, v33
	v_xor_b32_e32 v4, v4, v28
	v_mul_hi_u32 v4, v4, s62
	v_xor_b32_e32 v4, v4, v30
	v_xor_b32_e32 v29, v41, v4
                                        ; implicit-def: $vgpr39
; %bb.16:                               ;   in Loop: Header=BB1_3 Depth=1
	s_andn2_saveexec_b64 s[42:43], s[42:43]
; %bb.17:                               ;   in Loop: Header=BB1_3 Depth=1
	v_mov_b32_e32 v29, v20
	v_mov_b32_e32 v20, v13
	;; [unrolled: 1-line block ×4, first 2 shown]
; %bb.18:                               ;   in Loop: Header=BB1_3 Depth=1
	s_or_b64 exec, exec, s[42:43]
                                        ; implicit-def: $vgpr22_vgpr23
                                        ; implicit-def: $vgpr24_vgpr25
                                        ; implicit-def: $vgpr4
                                        ; implicit-def: $vgpr39
                                        ; implicit-def: $vgpr26_vgpr27
                                        ; implicit-def: $vgpr23
                                        ; implicit-def: $vgpr25
.LBB1_19:                               ;   in Loop: Header=BB1_3 Depth=1
	s_andn2_saveexec_b64 s[6:7], s[6:7]
	s_cbranch_execz .LBB1_23
; %bb.20:                               ;   in Loop: Header=BB1_3 Depth=1
	v_xor_b32_e32 v20, v23, v27
	v_xor_b32_e32 v20, v20, v22
	v_mad_u64_u32 v[22:23], s[42:43], v20, s57, 0
	v_xor_b32_e32 v20, v23, v24
	v_xor_b32_e32 v21, v25, v20
	v_cmp_eq_u32_e32 vcc, 1, v4
	v_mov_b32_e32 v29, v12
	v_mov_b32_e32 v20, v39
	;; [unrolled: 1-line block ×3, first 2 shown]
	s_and_saveexec_b64 s[42:43], vcc
; %bb.21:                               ;   in Loop: Header=BB1_3 Depth=1
	v_mov_b32_e32 v29, v13
	v_mov_b32_e32 v20, v12
	;; [unrolled: 1-line block ×4, first 2 shown]
; %bb.22:                               ;   in Loop: Header=BB1_3 Depth=1
	s_or_b64 exec, exec, s[42:43]
	v_mov_b32_e32 v12, v21
	v_mov_b32_e32 v13, v4
.LBB1_23:                               ;   in Loop: Header=BB1_3 Depth=1
	s_or_b64 exec, exec, s[6:7]
	v_min_i32_e32 v21, 4, v7
	v_cmp_lt_i32_e32 vcc, 2, v21
	s_mov_b64 s[42:43], 0
	s_mov_b64 s[54:55], 0
                                        ; implicit-def: $sgpr6_sgpr7
                                        ; implicit-def: $sgpr44_sgpr45
                                        ; implicit-def: $sgpr46_sgpr47
	s_and_saveexec_b64 s[48:49], vcc
	s_xor_b64 s[48:49], exec, s[48:49]
	s_cbranch_execz .LBB1_33
; %bb.24:                               ;   in Loop: Header=BB1_3 Depth=1
	v_cmp_lt_i32_e32 vcc, 3, v21
	s_mov_b64 s[6:7], -1
                                        ; implicit-def: $sgpr44_sgpr45
                                        ; implicit-def: $sgpr50_sgpr51
	s_and_saveexec_b64 s[46:47], vcc
	s_cbranch_execz .LBB1_28
; %bb.25:                               ;   in Loop: Header=BB1_3 Depth=1
	s_waitcnt vmcnt(0)
	v_cmp_le_f64_e32 vcc, 0, v[18:19]
	v_cmp_ge_f64_e64 s[6:7], 1.0, v[18:19]
	s_and_b64 s[52:53], vcc, s[6:7]
	s_mov_b64 s[44:45], 0
	s_mov_b64 s[6:7], 0
	s_and_saveexec_b64 s[50:51], s[52:53]
	s_cbranch_execz .LBB1_27
; %bb.26:                               ;   in Loop: Header=BB1_3 Depth=1
	v_cvt_f32_u32_e32 v4, v29
	v_mov_b32_e32 v22, 0x2f800000
	v_lshlrev_b64 v[16:17], 3, v[16:17]
	v_add_co_u32_e32 v16, vcc, s12, v16
	v_fmac_f32_e32 v22, 0x2f800000, v4
	v_mov_b32_e32 v4, s13
	v_addc_co_u32_e32 v17, vcc, v4, v17, vcc
	v_cvt_f64_f32_e32 v[22:23], v22
	v_cmp_ge_f64_e32 vcc, v[18:19], v[22:23]
	s_mov_b64 s[6:7], exec
	v_cndmask_b32_e32 v19, 0, v38, vcc
	v_mov_b32_e32 v18, v5
	global_store_dwordx2 v[16:17], v[18:19], off
.LBB1_27:                               ;   in Loop: Header=BB1_3 Depth=1
	s_or_b64 exec, exec, s[50:51]
	s_mov_b64 s[50:51], -1
	s_orn2_b64 s[6:7], s[6:7], exec
.LBB1_28:                               ;   in Loop: Header=BB1_3 Depth=1
	s_or_b64 exec, exec, s[46:47]
	s_mov_b64 s[52:53], 0
	s_mov_b64 s[54:55], s[44:45]
	s_and_saveexec_b64 s[46:47], s[6:7]
	s_cbranch_execz .LBB1_32
; %bb.29:                               ;   in Loop: Header=BB1_3 Depth=1
	v_lshlrev_b64 v[14:15], 3, v[14:15]
	v_mov_b32_e32 v4, s15
	v_add_co_u32_e32 v14, vcc, s14, v14
	v_addc_co_u32_e32 v15, vcc, v4, v15, vcc
	global_load_dwordx2 v[14:15], v[14:15], off
	s_waitcnt vmcnt(0)
	v_cmp_le_f64_e32 vcc, 0, v[14:15]
	v_cmp_ge_f64_e64 s[6:7], 1.0, v[14:15]
	s_and_b64 s[52:53], vcc, s[6:7]
	s_mov_b64 s[6:7], 0
	s_and_saveexec_b64 s[54:55], s[52:53]
	s_xor_b64 s[52:53], exec, s[54:55]
	s_cbranch_execz .LBB1_31
; %bb.30:                               ;   in Loop: Header=BB1_3 Depth=1
	v_cvt_f32_u32_e32 v4, v20
	v_mov_b32_e32 v18, 0x2f800000
	v_add_u32_e32 v16, s58, v36
	s_mov_b64 s[6:7], exec
	v_fmac_f32_e32 v18, 0x2f800000, v4
	v_cndmask_b32_e64 v4, 0, v16, s[4:5]
	v_lshlrev_b64 v[16:17], 3, v[4:5]
	v_mov_b32_e32 v4, s13
	v_add_co_u32_e32 v16, vcc, s12, v16
	v_addc_co_u32_e32 v17, vcc, v4, v17, vcc
	v_cvt_f64_f32_e32 v[18:19], v18
	v_cmp_ge_f64_e32 vcc, v[14:15], v[18:19]
	v_cndmask_b32_e32 v15, 0, v38, vcc
	v_mov_b32_e32 v14, v5
	global_store_dwordx2 v[16:17], v[14:15], off
.LBB1_31:                               ;   in Loop: Header=BB1_3 Depth=1
	s_or_b64 exec, exec, s[52:53]
	s_andn2_b64 s[54:55], s[44:45], exec
	s_or_b64 s[44:45], s[44:45], exec
	s_andn2_b64 s[50:51], s[50:51], exec
	s_and_b64 s[52:53], s[6:7], exec
.LBB1_32:                               ;   in Loop: Header=BB1_3 Depth=1
	s_or_b64 exec, exec, s[46:47]
	s_and_b64 s[46:47], s[54:55], exec
	s_and_b64 s[44:45], s[44:45], exec
	;; [unrolled: 1-line block ×4, first 2 shown]
.LBB1_33:                               ;   in Loop: Header=BB1_3 Depth=1
	s_andn2_saveexec_b64 s[4:5], s[48:49]
; %bb.34:                               ;   in Loop: Header=BB1_3 Depth=1
	v_cmp_lt_i32_e32 vcc, 1, v21
	s_andn2_b64 s[48:49], s[54:55], exec
	s_and_b64 s[50:51], vcc, exec
	s_mov_b64 s[42:43], exec
	s_andn2_b64 s[46:47], s[46:47], exec
	s_andn2_b64 s[44:45], s[44:45], exec
	;; [unrolled: 1-line block ×3, first 2 shown]
	s_or_b64 s[54:55], s[48:49], s[50:51]
; %bb.35:                               ;   in Loop: Header=BB1_3 Depth=1
	s_or_b64 exec, exec, s[4:5]
	s_mov_b64 s[48:49], 0
	s_mov_b64 s[50:51], 0
	;; [unrolled: 1-line block ×3, first 2 shown]
	s_and_saveexec_b64 s[52:53], s[54:55]
	s_cbranch_execnz .LBB1_38
; %bb.36:                               ;   in Loop: Header=BB1_3 Depth=1
	s_or_b64 exec, exec, s[52:53]
	s_and_saveexec_b64 s[2:3], s[42:43]
	s_cbranch_execnz .LBB1_41
.LBB1_37:                               ;   in Loop: Header=BB1_3 Depth=1
	s_or_b64 exec, exec, s[2:3]
	s_and_saveexec_b64 s[42:43], s[50:51]
	s_cbranch_execnz .LBB1_42
	s_branch .LBB1_45
.LBB1_38:                               ;   in Loop: Header=BB1_3 Depth=1
	v_lshlrev_b64 v[10:11], 3, v[10:11]
	v_mov_b32_e32 v4, s15
	v_add_co_u32_e32 v10, vcc, s14, v10
	v_addc_co_u32_e32 v11, vcc, v4, v11, vcc
	global_load_dwordx2 v[10:11], v[10:11], off
	s_waitcnt vmcnt(0)
	v_cmp_le_f64_e32 vcc, 0, v[10:11]
	v_cmp_ge_f64_e64 s[4:5], 1.0, v[10:11]
	s_and_b64 s[4:5], vcc, s[4:5]
	s_and_saveexec_b64 s[54:55], s[4:5]
	s_xor_b64 s[4:5], exec, s[54:55]
	s_cbranch_execz .LBB1_40
; %bb.39:                               ;   in Loop: Header=BB1_3 Depth=1
	v_cvt_f32_u32_e32 v4, v13
	v_mov_b32_e32 v13, 0x2f800000
	v_add_u32_e32 v14, s58, v35
	s_mov_b64 s[50:51], exec
	v_fmac_f32_e32 v13, 0x2f800000, v4
	v_cndmask_b32_e64 v4, 0, v14, s[2:3]
	v_lshlrev_b64 v[14:15], 3, v[4:5]
	v_mov_b32_e32 v4, s13
	v_add_co_u32_e32 v14, vcc, s12, v14
	v_addc_co_u32_e32 v15, vcc, v4, v15, vcc
	v_cvt_f64_f32_e32 v[16:17], v13
	v_cmp_ge_f64_e32 vcc, v[10:11], v[16:17]
	v_cndmask_b32_e32 v11, 0, v38, vcc
	v_mov_b32_e32 v10, v5
	global_store_dwordx2 v[14:15], v[10:11], off
.LBB1_40:                               ;   in Loop: Header=BB1_3 Depth=1
	s_or_b64 exec, exec, s[4:5]
	s_andn2_b64 s[4:5], s[46:47], exec
	s_or_b64 s[46:47], s[46:47], exec
	s_andn2_b64 s[44:45], s[44:45], exec
	s_andn2_b64 s[6:7], s[6:7], exec
	s_and_b64 s[50:51], s[50:51], exec
	s_andn2_b64 s[42:43], s[42:43], exec
	s_or_b64 exec, exec, s[52:53]
	s_and_saveexec_b64 s[2:3], s[42:43]
	s_cbranch_execz .LBB1_37
.LBB1_41:                               ;   in Loop: Header=BB1_3 Depth=1
	v_cmp_eq_u32_e32 vcc, 1, v21
	s_andn2_b64 s[42:43], s[50:51], exec
	s_and_b64 s[50:51], vcc, exec
	s_mov_b64 s[48:49], exec
	s_andn2_b64 s[4:5], s[4:5], exec
	s_andn2_b64 s[46:47], s[46:47], exec
	;; [unrolled: 1-line block ×4, first 2 shown]
	s_or_b64 s[50:51], s[42:43], s[50:51]
	s_or_b64 exec, exec, s[2:3]
	s_and_saveexec_b64 s[42:43], s[50:51]
	s_cbranch_execz .LBB1_45
.LBB1_42:                               ;   in Loop: Header=BB1_3 Depth=1
	v_lshlrev_b64 v[8:9], 3, v[8:9]
	v_mov_b32_e32 v4, s15
	v_add_co_u32_e32 v8, vcc, s14, v8
	v_addc_co_u32_e32 v9, vcc, v4, v9, vcc
	global_load_dwordx2 v[8:9], v[8:9], off
	s_waitcnt vmcnt(0)
	v_cmp_le_f64_e32 vcc, 0, v[8:9]
	v_cmp_ge_f64_e64 s[2:3], 1.0, v[8:9]
	s_and_b64 s[52:53], vcc, s[2:3]
	s_mov_b64 s[2:3], 0
	s_and_saveexec_b64 s[50:51], s[52:53]
	s_cbranch_execz .LBB1_44
; %bb.43:                               ;   in Loop: Header=BB1_3 Depth=1
	v_cvt_f32_u32_e32 v4, v12
	v_mov_b32_e32 v12, 0x2f800000
	v_add_u32_e32 v10, s58, v34
	s_mov_b64 s[2:3], exec
	v_fmac_f32_e32 v12, 0x2f800000, v4
	v_cndmask_b32_e64 v4, 0, v10, s[0:1]
	v_lshlrev_b64 v[10:11], 3, v[4:5]
	v_mov_b32_e32 v4, s13
	v_add_co_u32_e32 v10, vcc, s12, v10
	v_addc_co_u32_e32 v11, vcc, v4, v11, vcc
	v_cvt_f64_f32_e32 v[12:13], v12
	v_cmp_ge_f64_e32 vcc, v[8:9], v[12:13]
	v_cndmask_b32_e32 v9, 0, v38, vcc
	v_mov_b32_e32 v8, v5
	global_store_dwordx2 v[10:11], v[8:9], off
.LBB1_44:                               ;   in Loop: Header=BB1_3 Depth=1
	s_or_b64 exec, exec, s[50:51]
	s_andn2_b64 s[0:1], s[48:49], exec
	s_and_b64 s[2:3], s[2:3], exec
	s_or_b64 s[4:5], s[4:5], exec
	s_andn2_b64 s[46:47], s[46:47], exec
	s_andn2_b64 s[44:45], s[44:45], exec
	;; [unrolled: 1-line block ×3, first 2 shown]
	s_or_b64 s[48:49], s[0:1], s[2:3]
.LBB1_45:                               ;   in Loop: Header=BB1_3 Depth=1
	s_or_b64 exec, exec, s[42:43]
	s_andn2_b64 s[2:3], s[40:41], exec
	s_and_b64 s[4:5], s[4:5], exec
	s_or_b64 s[40:41], s[2:3], s[4:5]
	s_andn2_b64 s[2:3], s[38:39], exec
	s_and_b64 s[4:5], s[46:47], exec
	s_or_b64 s[38:39], s[2:3], s[4:5]
	;; [unrolled: 3-line block ×3, first 2 shown]
	s_andn2_b64 s[2:3], s[34:35], exec
	s_and_b64 s[4:5], s[6:7], exec
	s_mov_b64 s[0:1], -1
	s_or_b64 s[34:35], s[2:3], s[4:5]
	s_and_saveexec_b64 s[2:3], s[48:49]
	s_cbranch_execz .LBB1_2
; %bb.46:                               ;   in Loop: Header=BB1_3 Depth=1
	v_add_u32_e32 v0, s59, v0
	v_cmp_le_u32_e32 vcc, s33, v0
	v_subrev_u32_e32 v7, s59, v7
	s_add_i32 s58, s58, s61
	s_andn2_b64 s[40:41], s[40:41], exec
	s_andn2_b64 s[38:39], s[38:39], exec
	;; [unrolled: 1-line block ×4, first 2 shown]
	s_orn2_b64 s[0:1], vcc, exec
	s_branch .LBB1_2
.LBB1_47:
	s_or_b64 exec, exec, s[24:25]
	s_xor_b64 s[6:7], s[30:31], -1
	s_xor_b64 s[8:9], s[28:29], -1
	;; [unrolled: 1-line block ×3, first 2 shown]
	s_mov_b64 s[2:3], 0
	s_and_saveexec_b64 s[4:5], s[0:1]
	s_xor_b64 s[0:1], exec, s[4:5]
	s_cbranch_execnz .LBB1_52
; %bb.48:
	s_andn2_saveexec_b64 s[0:1], s[0:1]
	s_cbranch_execnz .LBB1_60
.LBB1_49:
	s_or_b64 exec, exec, s[0:1]
	s_and_b64 exec, exec, s[2:3]
.LBB1_50:
	; divergent unreachable
.LBB1_51:
	s_endpgm
.LBB1_52:
	s_mov_b64 s[4:5], 0
	s_and_saveexec_b64 s[2:3], s[8:9]
	s_xor_b64 s[2:3], exec, s[2:3]
	s_cbranch_execz .LBB1_58
; %bb.53:
	s_and_saveexec_b64 s[8:9], s[6:7]
	s_xor_b64 s[6:7], exec, s[8:9]
	s_cbranch_execz .LBB1_56
; %bb.54:
	s_and_saveexec_b64 s[8:9], s[20:21]
	s_xor_b64 s[8:9], exec, s[8:9]
	s_cbranch_execnz .LBB1_63
.LBB1_55:
	s_or_b64 exec, exec, s[8:9]
	s_and_b64 s[4:5], s[4:5], exec
.LBB1_56:
	s_andn2_saveexec_b64 s[6:7], s[6:7]
	s_cbranch_execnz .LBB1_62
.LBB1_57:
	s_or_b64 exec, exec, s[6:7]
	s_and_b64 s[4:5], s[4:5], exec
.LBB1_58:
	s_andn2_saveexec_b64 s[2:3], s[2:3]
	s_cbranch_execnz .LBB1_61
.LBB1_59:
	s_or_b64 exec, exec, s[2:3]
	s_and_b64 s[2:3], s[4:5], exec
	s_andn2_saveexec_b64 s[0:1], s[0:1]
	s_cbranch_execz .LBB1_49
.LBB1_60:
	s_or_b64 s[2:3], s[2:3], exec
	s_trap 2
	s_or_b64 exec, exec, s[0:1]
	s_and_b64 exec, exec, s[2:3]
	s_cbranch_execnz .LBB1_50
	s_branch .LBB1_51
.LBB1_61:
	s_or_b64 s[4:5], s[4:5], exec
	s_trap 2
	s_branch .LBB1_59
.LBB1_62:
	s_trap 2
	s_or_b64 s[4:5], s[4:5], exec
	s_branch .LBB1_57
.LBB1_63:
	s_mov_b64 s[4:5], exec
	s_trap 2
	s_branch .LBB1_55
	.section	.rodata,"a",@progbits
	.p2align	6, 0x0
	.amdhsa_kernel _ZN2at4cuda12_GLOBAL__N_121kernelPointwiseApply2IZNS_6native9templates4cuda28bernoulli_tensor_cuda_kernelIddEEvRKNS_10TensorBaseES9_NS_15PhiloxCudaStateEEUliRdSB_SB_SB_RKdSD_SD_SD_E_dSC_jLi1ELi2ELi4ELi512ELi2EEEvNS0_6detail10TensorInfoIT0_T2_EENSG_IT1_SI_EESI_T_
		.amdhsa_group_segment_fixed_size 0
		.amdhsa_private_segment_fixed_size 0
		.amdhsa_kernarg_size 728
		.amdhsa_user_sgpr_count 6
		.amdhsa_user_sgpr_private_segment_buffer 1
		.amdhsa_user_sgpr_dispatch_ptr 0
		.amdhsa_user_sgpr_queue_ptr 0
		.amdhsa_user_sgpr_kernarg_segment_ptr 1
		.amdhsa_user_sgpr_dispatch_id 0
		.amdhsa_user_sgpr_flat_scratch_init 0
		.amdhsa_user_sgpr_kernarg_preload_length 0
		.amdhsa_user_sgpr_kernarg_preload_offset 0
		.amdhsa_user_sgpr_private_segment_size 0
		.amdhsa_uses_dynamic_stack 0
		.amdhsa_system_sgpr_private_segment_wavefront_offset 0
		.amdhsa_system_sgpr_workgroup_id_x 1
		.amdhsa_system_sgpr_workgroup_id_y 0
		.amdhsa_system_sgpr_workgroup_id_z 0
		.amdhsa_system_sgpr_workgroup_info 0
		.amdhsa_system_vgpr_workitem_id 0
		.amdhsa_next_free_vgpr 56
		.amdhsa_next_free_sgpr 64
		.amdhsa_accum_offset 56
		.amdhsa_reserve_vcc 1
		.amdhsa_reserve_flat_scratch 0
		.amdhsa_float_round_mode_32 0
		.amdhsa_float_round_mode_16_64 0
		.amdhsa_float_denorm_mode_32 3
		.amdhsa_float_denorm_mode_16_64 3
		.amdhsa_dx10_clamp 1
		.amdhsa_ieee_mode 1
		.amdhsa_fp16_overflow 0
		.amdhsa_tg_split 0
		.amdhsa_exception_fp_ieee_invalid_op 0
		.amdhsa_exception_fp_denorm_src 0
		.amdhsa_exception_fp_ieee_div_zero 0
		.amdhsa_exception_fp_ieee_overflow 0
		.amdhsa_exception_fp_ieee_underflow 0
		.amdhsa_exception_fp_ieee_inexact 0
		.amdhsa_exception_int_div_zero 0
	.end_amdhsa_kernel
	.section	.text._ZN2at4cuda12_GLOBAL__N_121kernelPointwiseApply2IZNS_6native9templates4cuda28bernoulli_tensor_cuda_kernelIddEEvRKNS_10TensorBaseES9_NS_15PhiloxCudaStateEEUliRdSB_SB_SB_RKdSD_SD_SD_E_dSC_jLi1ELi2ELi4ELi512ELi2EEEvNS0_6detail10TensorInfoIT0_T2_EENSG_IT1_SI_EESI_T_,"axG",@progbits,_ZN2at4cuda12_GLOBAL__N_121kernelPointwiseApply2IZNS_6native9templates4cuda28bernoulli_tensor_cuda_kernelIddEEvRKNS_10TensorBaseES9_NS_15PhiloxCudaStateEEUliRdSB_SB_SB_RKdSD_SD_SD_E_dSC_jLi1ELi2ELi4ELi512ELi2EEEvNS0_6detail10TensorInfoIT0_T2_EENSG_IT1_SI_EESI_T_,comdat
.Lfunc_end1:
	.size	_ZN2at4cuda12_GLOBAL__N_121kernelPointwiseApply2IZNS_6native9templates4cuda28bernoulli_tensor_cuda_kernelIddEEvRKNS_10TensorBaseES9_NS_15PhiloxCudaStateEEUliRdSB_SB_SB_RKdSD_SD_SD_E_dSC_jLi1ELi2ELi4ELi512ELi2EEEvNS0_6detail10TensorInfoIT0_T2_EENSG_IT1_SI_EESI_T_, .Lfunc_end1-_ZN2at4cuda12_GLOBAL__N_121kernelPointwiseApply2IZNS_6native9templates4cuda28bernoulli_tensor_cuda_kernelIddEEvRKNS_10TensorBaseES9_NS_15PhiloxCudaStateEEUliRdSB_SB_SB_RKdSD_SD_SD_E_dSC_jLi1ELi2ELi4ELi512ELi2EEEvNS0_6detail10TensorInfoIT0_T2_EENSG_IT1_SI_EESI_T_
                                        ; -- End function
	.section	.AMDGPU.csdata,"",@progbits
; Kernel info:
; codeLenInByte = 3036
; NumSgprs: 68
; NumVgprs: 56
; NumAgprs: 0
; TotalNumVgprs: 56
; ScratchSize: 0
; MemoryBound: 0
; FloatMode: 240
; IeeeMode: 1
; LDSByteSize: 0 bytes/workgroup (compile time only)
; SGPRBlocks: 8
; VGPRBlocks: 6
; NumSGPRsForWavesPerEU: 68
; NumVGPRsForWavesPerEU: 56
; AccumOffset: 56
; Occupancy: 8
; WaveLimiterHint : 1
; COMPUTE_PGM_RSRC2:SCRATCH_EN: 0
; COMPUTE_PGM_RSRC2:USER_SGPR: 6
; COMPUTE_PGM_RSRC2:TRAP_HANDLER: 0
; COMPUTE_PGM_RSRC2:TGID_X_EN: 1
; COMPUTE_PGM_RSRC2:TGID_Y_EN: 0
; COMPUTE_PGM_RSRC2:TGID_Z_EN: 0
; COMPUTE_PGM_RSRC2:TIDIG_COMP_CNT: 0
; COMPUTE_PGM_RSRC3_GFX90A:ACCUM_OFFSET: 13
; COMPUTE_PGM_RSRC3_GFX90A:TG_SPLIT: 0
	.section	.text._ZN2at4cuda12_GLOBAL__N_121kernelPointwiseApply2IZNS_6native9templates4cuda28bernoulli_tensor_cuda_kernelIddEEvRKNS_10TensorBaseES9_NS_15PhiloxCudaStateEEUliRdSB_SB_SB_RKdSD_SD_SD_E_dSC_jLi1ELin1ELi4ELi512ELi2EEEvNS0_6detail10TensorInfoIT0_T2_EENSG_IT1_SI_EESI_T_,"axG",@progbits,_ZN2at4cuda12_GLOBAL__N_121kernelPointwiseApply2IZNS_6native9templates4cuda28bernoulli_tensor_cuda_kernelIddEEvRKNS_10TensorBaseES9_NS_15PhiloxCudaStateEEUliRdSB_SB_SB_RKdSD_SD_SD_E_dSC_jLi1ELin1ELi4ELi512ELi2EEEvNS0_6detail10TensorInfoIT0_T2_EENSG_IT1_SI_EESI_T_,comdat
	.globl	_ZN2at4cuda12_GLOBAL__N_121kernelPointwiseApply2IZNS_6native9templates4cuda28bernoulli_tensor_cuda_kernelIddEEvRKNS_10TensorBaseES9_NS_15PhiloxCudaStateEEUliRdSB_SB_SB_RKdSD_SD_SD_E_dSC_jLi1ELin1ELi4ELi512ELi2EEEvNS0_6detail10TensorInfoIT0_T2_EENSG_IT1_SI_EESI_T_ ; -- Begin function _ZN2at4cuda12_GLOBAL__N_121kernelPointwiseApply2IZNS_6native9templates4cuda28bernoulli_tensor_cuda_kernelIddEEvRKNS_10TensorBaseES9_NS_15PhiloxCudaStateEEUliRdSB_SB_SB_RKdSD_SD_SD_E_dSC_jLi1ELin1ELi4ELi512ELi2EEEvNS0_6detail10TensorInfoIT0_T2_EENSG_IT1_SI_EESI_T_
	.p2align	8
	.type	_ZN2at4cuda12_GLOBAL__N_121kernelPointwiseApply2IZNS_6native9templates4cuda28bernoulli_tensor_cuda_kernelIddEEvRKNS_10TensorBaseES9_NS_15PhiloxCudaStateEEUliRdSB_SB_SB_RKdSD_SD_SD_E_dSC_jLi1ELin1ELi4ELi512ELi2EEEvNS0_6detail10TensorInfoIT0_T2_EENSG_IT1_SI_EESI_T_,@function
_ZN2at4cuda12_GLOBAL__N_121kernelPointwiseApply2IZNS_6native9templates4cuda28bernoulli_tensor_cuda_kernelIddEEvRKNS_10TensorBaseES9_NS_15PhiloxCudaStateEEUliRdSB_SB_SB_RKdSD_SD_SD_E_dSC_jLi1ELin1ELi4ELi512ELi2EEEvNS0_6detail10TensorInfoIT0_T2_EENSG_IT1_SI_EESI_T_: ; @_ZN2at4cuda12_GLOBAL__N_121kernelPointwiseApply2IZNS_6native9templates4cuda28bernoulli_tensor_cuda_kernelIddEEvRKNS_10TensorBaseES9_NS_15PhiloxCudaStateEEUliRdSB_SB_SB_RKdSD_SD_SD_E_dSC_jLi1ELin1ELi4ELi512ELi2EEEvNS0_6detail10TensorInfoIT0_T2_EENSG_IT1_SI_EESI_T_
; %bb.0:
	s_load_dword s2, s[4:5], 0x1e4
	s_load_dword s33, s[4:5], 0x1b0
	s_add_u32 s0, s4, 0x1d8
	s_addc_u32 s1, s5, 0
	s_waitcnt lgkmcnt(0)
	s_and_b32 s2, s2, 0xffff
	s_mul_i32 s6, s6, s2
	v_add_u32_e32 v5, s6, v0
	v_lshlrev_b32_e32 v30, 2, v5
	v_cmp_gt_u32_e32 vcc, s33, v30
	s_and_saveexec_b64 s[6:7], vcc
	s_cbranch_execz .LBB2_65
; %bb.1:
	s_load_dword s3, s[0:1], 0x0
	s_load_dwordx4 s[12:15], s[4:5], 0x1b8
	s_load_dword s8, s[4:5], 0x1a8
	s_load_dwordx2 s[10:11], s[4:5], 0x0
	s_load_dword s60, s[4:5], 0x6c
	s_waitcnt lgkmcnt(0)
	s_mul_i32 s9, s3, s2
	s_load_dwordx2 s[16:17], s[4:5], 0x1c8
	s_load_dword s2, s[4:5], 0x1d0
	s_add_u32 s6, s4, 0xd8
	s_addc_u32 s7, s5, 0
	s_cmp_gt_i32 s8, 1
	s_mov_b32 s62, 0xcd9e8d57
	s_cselect_b64 s[0:1], -1, 0
	s_waitcnt lgkmcnt(0)
	s_bitcmp1_b32 s2, 0
	v_mad_u64_u32 v[0:1], s[2:3], v5, s62, 0
	s_cselect_b64 s[22:23], -1, 0
	s_add_i32 s2, s8, -1
	s_mov_b32 s3, 0
	s_load_dword s61, s[4:5], 0x144
	s_load_dwordx2 s[18:19], s[4:5], 0xd8
	s_lshl_b32 s63, s9, 2
	s_add_i32 s64, s8, 1
	s_lshl_b64 s[2:3], s[2:3], 2
	s_add_u32 s2, s2, s6
	s_addc_u32 s3, s3, s7
	v_mov_b32_e32 v4, v1
	s_add_u32 s24, s2, 8
	v_cndmask_b32_e64 v1, 0, 1, s[0:1]
	v_mov_b32_e32 v3, 0
	s_addc_u32 s25, s3, 0
	s_mov_b64 s[26:27], 0
	s_mov_b32 s65, 0xd2511f53
	v_cmp_ne_u32_e64 s[0:1], 1, v1
	s_mov_b32 s66, 0xf1bbcdc8
	v_mov_b32_e32 v1, 0x3ff00000
                                        ; implicit-def: $sgpr28_sgpr29
                                        ; implicit-def: $sgpr30_sgpr31
                                        ; implicit-def: $sgpr34_sgpr35
                                        ; implicit-def: $sgpr20_sgpr21
                                        ; implicit-def: $sgpr36_sgpr37
                                        ; implicit-def: $sgpr38_sgpr39
                                        ; implicit-def: $sgpr40_sgpr41
                                        ; implicit-def: $sgpr42_sgpr43
	s_branch .LBB2_3
.LBB2_2:                                ;   in Loop: Header=BB2_3 Depth=1
	s_or_b64 exec, exec, s[4:5]
	s_and_b64 s[2:3], exec, s[2:3]
	s_or_b64 s[26:27], s[2:3], s[26:27]
	s_andn2_b64 s[2:3], s[20:21], exec
	s_and_b64 s[4:5], s[42:43], exec
	s_or_b64 s[20:21], s[2:3], s[4:5]
	s_andn2_b64 s[2:3], s[34:35], exec
	s_and_b64 s[4:5], s[40:41], exec
	;; [unrolled: 3-line block ×4, first 2 shown]
	s_or_b64 s[28:29], s[2:3], s[4:5]
	s_andn2_b64 exec, exec, s[26:27]
	s_cbranch_execz .LBB2_61
.LBB2_3:                                ; =>This Loop Header: Depth=1
                                        ;     Child Loop BB2_6 Depth 2
                                        ;     Child Loop BB2_11 Depth 2
	;; [unrolled: 1-line block ×4, first 2 shown]
	v_sub_u32_e32 v32, s33, v30
	v_cmp_lt_i32_e64 s[2:3], 0, v32
	v_mov_b32_e32 v2, 0
	s_and_saveexec_b64 s[4:5], s[2:3]
	s_cbranch_execz .LBB2_8
; %bb.4:                                ;   in Loop: Header=BB2_3 Depth=1
	s_and_b64 vcc, exec, s[0:1]
	v_mov_b32_e32 v6, 0
	v_mov_b32_e32 v2, v30
	s_cbranch_vccnz .LBB2_7
; %bb.5:                                ;   in Loop: Header=BB2_3 Depth=1
	v_mov_b32_e32 v6, 0
	s_mov_b64 s[6:7], s[24:25]
	s_mov_b32 s8, s64
	v_mov_b32_e32 v2, v30
.LBB2_6:                                ;   Parent Loop BB2_3 Depth=1
                                        ; =>  This Inner Loop Header: Depth=2
	s_load_dword s9, s[6:7], 0x0
	s_load_dword s44, s[6:7], 0x64
	v_mov_b32_e32 v7, v2
	s_add_i32 s8, s8, -1
	s_waitcnt lgkmcnt(0)
	v_cvt_f32_u32_e32 v2, s9
	s_sub_i32 s45, 0, s9
	s_add_u32 s6, s6, -4
	s_addc_u32 s7, s7, -1
	v_rcp_iflag_f32_e32 v2, v2
	s_cmp_gt_u32 s8, 2
	v_mul_f32_e32 v2, 0x4f7ffffe, v2
	v_cvt_u32_f32_e32 v2, v2
	v_mul_lo_u32 v8, s45, v2
	v_mul_hi_u32 v8, v2, v8
	v_add_u32_e32 v2, v2, v8
	v_mul_hi_u32 v2, v7, v2
	v_mul_lo_u32 v8, v2, s9
	v_sub_u32_e32 v8, v7, v8
	v_add_u32_e32 v9, 1, v2
	v_cmp_le_u32_e32 vcc, s9, v8
	v_cndmask_b32_e32 v2, v2, v9, vcc
	v_subrev_u32_e32 v9, s9, v8
	v_cndmask_b32_e32 v8, v8, v9, vcc
	v_add_u32_e32 v9, 1, v2
	v_cmp_le_u32_e32 vcc, s9, v8
	v_cndmask_b32_e32 v2, v2, v9, vcc
	v_mul_lo_u32 v8, v2, s9
	v_sub_u32_e32 v7, v7, v8
	v_mad_u64_u32 v[6:7], s[44:45], s44, v7, v[6:7]
	s_cbranch_scc1 .LBB2_6
.LBB2_7:                                ;   in Loop: Header=BB2_3 Depth=1
	s_waitcnt lgkmcnt(0)
	v_mad_u64_u32 v[6:7], s[6:7], s61, v2, v[6:7]
	v_mov_b32_e32 v2, v6
.LBB2_8:                                ;   in Loop: Header=BB2_3 Depth=1
	s_or_b64 exec, exec, s[4:5]
	v_cmp_lt_i32_e64 s[4:5], 1, v32
	v_pk_mov_b32 v[6:7], 0, 0
	s_and_saveexec_b64 s[6:7], s[4:5]
	s_cbranch_execz .LBB2_13
; %bb.9:                                ;   in Loop: Header=BB2_3 Depth=1
	v_or_b32_e32 v8, 1, v30
	s_and_b64 vcc, exec, s[0:1]
	v_mov_b32_e32 v6, 0
	s_cbranch_vccnz .LBB2_12
; %bb.10:                               ;   in Loop: Header=BB2_3 Depth=1
	v_mov_b32_e32 v6, 0
	s_mov_b64 s[8:9], s[24:25]
	s_mov_b32 s44, s64
.LBB2_11:                               ;   Parent Loop BB2_3 Depth=1
                                        ; =>  This Inner Loop Header: Depth=2
	s_load_dword s45, s[8:9], 0x0
	s_load_dword s46, s[8:9], 0x64
	v_mov_b32_e32 v7, v8
	s_add_i32 s44, s44, -1
	s_waitcnt lgkmcnt(0)
	v_cvt_f32_u32_e32 v8, s45
	s_sub_i32 s47, 0, s45
	s_add_u32 s8, s8, -4
	s_addc_u32 s9, s9, -1
	v_rcp_iflag_f32_e32 v8, v8
	s_cmp_gt_u32 s44, 2
	v_mul_f32_e32 v8, 0x4f7ffffe, v8
	v_cvt_u32_f32_e32 v8, v8
	v_mul_lo_u32 v9, s47, v8
	v_mul_hi_u32 v9, v8, v9
	v_add_u32_e32 v8, v8, v9
	v_mul_hi_u32 v8, v7, v8
	v_mul_lo_u32 v9, v8, s45
	v_sub_u32_e32 v9, v7, v9
	v_add_u32_e32 v10, 1, v8
	v_cmp_le_u32_e32 vcc, s45, v9
	v_cndmask_b32_e32 v8, v8, v10, vcc
	v_subrev_u32_e32 v10, s45, v9
	v_cndmask_b32_e32 v9, v9, v10, vcc
	v_add_u32_e32 v10, 1, v8
	v_cmp_le_u32_e32 vcc, s45, v9
	v_cndmask_b32_e32 v8, v8, v10, vcc
	v_mul_lo_u32 v9, v8, s45
	v_sub_u32_e32 v7, v7, v9
	v_mad_u64_u32 v[6:7], s[46:47], s46, v7, v[6:7]
	s_cbranch_scc1 .LBB2_11
.LBB2_12:                               ;   in Loop: Header=BB2_3 Depth=1
	s_waitcnt lgkmcnt(0)
	v_mad_u64_u32 v[6:7], s[8:9], s61, v8, v[6:7]
	v_mov_b32_e32 v7, v3
.LBB2_13:                               ;   in Loop: Header=BB2_3 Depth=1
	s_or_b64 exec, exec, s[6:7]
	v_cmp_lt_i32_e64 s[6:7], 2, v32
	v_pk_mov_b32 v[10:11], 0, 0
	s_and_saveexec_b64 s[8:9], s[6:7]
	s_cbranch_execz .LBB2_18
; %bb.14:                               ;   in Loop: Header=BB2_3 Depth=1
	v_or_b32_e32 v10, 2, v30
	s_and_b64 vcc, exec, s[0:1]
	v_mov_b32_e32 v8, 0
	s_cbranch_vccnz .LBB2_17
; %bb.15:                               ;   in Loop: Header=BB2_3 Depth=1
	v_mov_b32_e32 v8, 0
	s_mov_b64 s[44:45], s[24:25]
	s_mov_b32 s46, s64
.LBB2_16:                               ;   Parent Loop BB2_3 Depth=1
                                        ; =>  This Inner Loop Header: Depth=2
	s_load_dword s47, s[44:45], 0x0
	s_load_dword s48, s[44:45], 0x64
	v_mov_b32_e32 v9, v10
	s_add_i32 s46, s46, -1
	s_waitcnt lgkmcnt(0)
	v_cvt_f32_u32_e32 v10, s47
	s_sub_i32 s49, 0, s47
	s_add_u32 s44, s44, -4
	s_addc_u32 s45, s45, -1
	v_rcp_iflag_f32_e32 v10, v10
	s_cmp_gt_u32 s46, 2
	v_mul_f32_e32 v10, 0x4f7ffffe, v10
	v_cvt_u32_f32_e32 v10, v10
	v_mul_lo_u32 v11, s49, v10
	v_mul_hi_u32 v11, v10, v11
	v_add_u32_e32 v10, v10, v11
	v_mul_hi_u32 v10, v9, v10
	v_mul_lo_u32 v11, v10, s47
	v_sub_u32_e32 v11, v9, v11
	v_add_u32_e32 v12, 1, v10
	v_cmp_le_u32_e32 vcc, s47, v11
	v_cndmask_b32_e32 v10, v10, v12, vcc
	v_subrev_u32_e32 v12, s47, v11
	v_cndmask_b32_e32 v11, v11, v12, vcc
	v_add_u32_e32 v12, 1, v10
	v_cmp_le_u32_e32 vcc, s47, v11
	v_cndmask_b32_e32 v10, v10, v12, vcc
	v_mul_lo_u32 v11, v10, s47
	v_sub_u32_e32 v9, v9, v11
	v_mad_u64_u32 v[8:9], s[48:49], s48, v9, v[8:9]
	s_cbranch_scc1 .LBB2_16
.LBB2_17:                               ;   in Loop: Header=BB2_3 Depth=1
	s_waitcnt lgkmcnt(0)
	v_mad_u64_u32 v[10:11], s[44:45], s61, v10, v[8:9]
	v_mov_b32_e32 v11, v3
.LBB2_18:                               ;   in Loop: Header=BB2_3 Depth=1
	s_or_b64 exec, exec, s[8:9]
	v_mul_lo_u32 v31, v30, s60
	v_add_u32_e32 v33, s60, v31
	v_pk_mov_b32 v[8:9], 0, 0
	v_add_u32_e32 v34, s60, v33
	v_cmp_lt_i32_e32 vcc, 3, v32
	v_pk_mov_b32 v[12:13], v[8:9], v[8:9] op_sel:[0,1]
	s_and_saveexec_b64 s[8:9], vcc
	s_cbranch_execz .LBB2_23
; %bb.19:                               ;   in Loop: Header=BB2_3 Depth=1
	s_waitcnt vmcnt(0)
	v_or_b32_e32 v14, 3, v30
	s_and_b64 vcc, exec, s[0:1]
	v_mov_b32_e32 v8, 0
	s_cbranch_vccnz .LBB2_22
; %bb.20:                               ;   in Loop: Header=BB2_3 Depth=1
	v_mov_b32_e32 v8, 0
	s_mov_b64 s[44:45], s[24:25]
	s_mov_b32 s46, s64
.LBB2_21:                               ;   Parent Loop BB2_3 Depth=1
                                        ; =>  This Inner Loop Header: Depth=2
	s_load_dword s47, s[44:45], 0x0
	s_load_dword s48, s[44:45], 0x64
	v_mov_b32_e32 v9, v14
	s_add_i32 s46, s46, -1
	s_waitcnt lgkmcnt(0)
	v_cvt_f32_u32_e32 v12, s47
	s_sub_i32 s49, 0, s47
	s_add_u32 s44, s44, -4
	s_addc_u32 s45, s45, -1
	v_rcp_iflag_f32_e32 v12, v12
	s_cmp_gt_u32 s46, 2
	v_mul_f32_e32 v12, 0x4f7ffffe, v12
	v_cvt_u32_f32_e32 v12, v12
	v_mul_lo_u32 v13, s49, v12
	v_mul_hi_u32 v13, v12, v13
	v_add_u32_e32 v12, v12, v13
	v_mul_hi_u32 v12, v9, v12
	v_mul_lo_u32 v13, v12, s47
	v_sub_u32_e32 v13, v9, v13
	v_add_u32_e32 v14, 1, v12
	v_cmp_le_u32_e32 vcc, s47, v13
	v_cndmask_b32_e32 v12, v12, v14, vcc
	v_subrev_u32_e32 v14, s47, v13
	v_cndmask_b32_e32 v13, v13, v14, vcc
	v_add_u32_e32 v14, 1, v12
	v_cmp_le_u32_e32 vcc, s47, v13
	v_cndmask_b32_e32 v14, v12, v14, vcc
	v_mul_lo_u32 v12, v14, s47
	v_sub_u32_e32 v9, v9, v12
	v_mad_u64_u32 v[8:9], s[48:49], s48, v9, v[8:9]
	s_cbranch_scc1 .LBB2_21
.LBB2_22:                               ;   in Loop: Header=BB2_3 Depth=1
	s_waitcnt lgkmcnt(0)
	v_mad_u64_u32 v[8:9], s[44:45], s61, v14, v[8:9]
	v_add_u32_e32 v12, s60, v34
	v_mov_b32_e32 v13, v3
	v_mov_b32_e32 v9, v3
.LBB2_23:                               ;   in Loop: Header=BB2_3 Depth=1
	s_or_b64 exec, exec, s[8:9]
	v_lshlrev_b64 v[8:9], 3, v[8:9]
	s_waitcnt vmcnt(0) lgkmcnt(0)
	v_mov_b32_e32 v14, s19
	v_add_co_u32_e32 v8, vcc, s18, v8
	v_addc_co_u32_e32 v9, vcc, v14, v9, vcc
	global_load_dwordx2 v[14:15], v[8:9], off
	s_andn2_b64 vcc, exec, s[22:23]
	v_pk_mov_b32 v[8:9], s[14:15], s[14:15] op_sel:[0,1]
	v_pk_mov_b32 v[16:17], s[12:13], s[12:13] op_sel:[0,1]
	s_cbranch_vccnz .LBB2_25
; %bb.24:                               ;   in Loop: Header=BB2_3 Depth=1
	v_pk_mov_b32 v[8:9], s[14:15], s[14:15] op_sel:[0,1]
	flat_load_dwordx2 v[8:9], v[8:9]
	v_pk_mov_b32 v[16:17], s[12:13], s[12:13] op_sel:[0,1]
	flat_load_dwordx2 v[16:17], v[16:17]
	v_mov_b32_e32 v18, s17
	s_waitcnt vmcnt(0) lgkmcnt(0)
	v_add_co_u32_e32 v8, vcc, s16, v8
	v_addc_co_u32_e32 v9, vcc, v9, v18, vcc
.LBB2_25:                               ;   in Loop: Header=BB2_3 Depth=1
	v_alignbit_b32 v26, v9, v8, 2
	v_lshrrev_b32_e32 v27, 2, v9
	v_xor_b32_e32 v18, v4, v16
	v_and_b32_e32 v35, 3, v8
	v_mad_u64_u32 v[8:9], s[8:9], v26, s65, 0
	v_xor_b32_e32 v18, v18, v27
	v_xor_b32_e32 v9, v9, v17
	v_add_u32_e32 v40, 0xbb67ae85, v17
	v_mad_u64_u32 v[18:19], s[8:9], v18, s65, 0
	v_mad_u64_u32 v[20:21], s[8:9], v9, s62, 0
	v_xor_b32_e32 v19, v40, v19
	v_add_u32_e32 v39, 0x9e3779b9, v16
	v_xor_b32_e32 v9, v0, v21
	v_xor_b32_e32 v19, v19, v8
	v_xor_b32_e32 v9, v9, v39
	v_add_u32_e32 v41, 0x3c6ef372, v16
	v_mad_u64_u32 v[22:23], s[8:9], v19, s62, 0
	v_add_u32_e32 v42, 0x76cf5d0a, v17
	v_mad_u64_u32 v[8:9], s[8:9], v9, s65, 0
	v_xor_b32_e32 v19, v41, v23
	v_xor_b32_e32 v19, v19, v20
	v_xor_b32_e32 v9, v42, v9
	v_xor_b32_e32 v9, v9, v18
	v_add_u32_e32 v44, 0x32370b8f, v17
	v_mad_u64_u32 v[18:19], s[8:9], v19, s65, 0
	v_add_u32_e32 v43, 0xdaa66d2b, v16
	v_mad_u64_u32 v[20:21], s[8:9], v9, s62, 0
	v_xor_b32_e32 v19, v44, v19
	;; [unrolled: 8-line block ×5, first 2 shown]
	v_xor_b32_e32 v19, v19, v20
	v_xor_b32_e32 v9, v50, v9
	;; [unrolled: 1-line block ×3, first 2 shown]
	v_add_u32_e32 v52, 0x1fd5c5a3, v17
	v_mad_u64_u32 v[18:19], s[8:9], v19, s65, 0
	v_xor_b32_e32 v19, v52, v19
	v_xor_b32_e32 v8, v19, v8
	v_add_u32_e32 v51, 0x5384540f, v16
	v_mad_u64_u32 v[24:25], s[8:9], v9, s62, 0
	v_add_co_u32_e32 v37, vcc, s66, v16
	v_mad_u64_u32 v[20:21], s[8:9], v8, s62, 0
	v_xor_b32_e32 v9, v51, v25
	v_xor_b32_e32 v8, v37, v21
	;; [unrolled: 1-line block ×4, first 2 shown]
	v_mad_u64_u32 v[22:23], s[8:9], v9, s65, 0
	v_mad_u64_u32 v[8:9], s[8:9], v8, s65, 0
	v_add_u32_e32 v38, 0x96a522ad, v17
	v_xor_b32_e32 v9, v9, v22
	v_xor_b32_e32 v36, v38, v9
	v_add_co_u32_e32 v9, vcc, 1, v26
	v_cndmask_b32_e64 v22, 0, 1, vcc
	v_addc_co_u32_e32 v28, vcc, 0, v27, vcc
	v_cmp_eq_u32_e32 vcc, 0, v28
	v_cndmask_b32_e32 v22, 0, v22, vcc
	v_add_u32_e32 v26, v22, v5
	v_cmp_eq_u32_e32 vcc, 0, v26
	v_mad_u64_u32 v[24:25], s[8:9], v9, s65, 0
	v_mad_u64_u32 v[26:27], s[8:9], v26, s62, 0
	v_add_u32_e32 v21, 0x8ff34781, v16
	v_cndmask_b32_e32 v22, 0, v22, vcc
	v_xor_b32_e32 v9, v27, v16
	v_xor_b32_e32 v16, v25, v17
	;; [unrolled: 1-line block ×4, first 2 shown]
	v_mad_u64_u32 v[28:29], s[8:9], v22, s62, 0
	v_add_u32_e32 v19, 0xdb3d7428, v17
	v_mad_u64_u32 v[16:17], s[8:9], v9, s65, 0
	v_xor_b32_e32 v9, v39, v29
	v_xor_b32_e32 v9, v9, v26
	v_xor_b32_e32 v17, v40, v17
	v_xor_b32_e32 v17, v17, v24
	v_mad_u64_u32 v[24:25], s[8:9], v9, s65, 0
	v_mad_u64_u32 v[26:27], s[8:9], v17, s62, 0
	v_xor_b32_e32 v17, v42, v25
	v_xor_b32_e32 v9, v41, v27
	v_xor_b32_e32 v22, v17, v16
	v_xor_b32_e32 v9, v9, v28
	v_mad_u64_u32 v[28:29], s[8:9], v22, s62, 0
	;; [unrolled: 6-line block ×7, first 2 shown]
	v_xor_b32_e32 v9, v19, v27
	v_xor_b32_e32 v9, v9, v16
	v_mad_u64_u32 v[28:29], s[8:9], v17, s62, 0
	v_mad_u64_u32 v[16:17], s[8:9], v9, s62, 0
	v_xor_b32_e32 v9, v17, v28
	v_xor_b32_e32 v9, v21, v9
	v_cmp_lt_i32_e32 vcc, 1, v35
                                        ; implicit-def: $vgpr25
	s_and_saveexec_b64 s[8:9], vcc
	s_xor_b64 s[8:9], exec, s[8:9]
	s_cbranch_execz .LBB2_31
; %bb.26:                               ;   in Loop: Header=BB2_3 Depth=1
	v_cmp_lt_i32_e32 vcc, 2, v35
                                        ; implicit-def: $vgpr25
	s_and_saveexec_b64 s[44:45], vcc
	s_xor_b64 s[44:45], exec, s[44:45]
; %bb.27:                               ;   in Loop: Header=BB2_3 Depth=1
	v_xor_b32_e32 v17, v37, v29
	v_xor_b32_e32 v17, v17, v24
	v_mul_hi_u32 v17, v17, s65
	v_xor_b32_e32 v17, v17, v26
	v_xor_b32_e32 v25, v38, v17
                                        ; implicit-def: $vgpr36
; %bb.28:                               ;   in Loop: Header=BB2_3 Depth=1
	s_andn2_saveexec_b64 s[44:45], s[44:45]
; %bb.29:                               ;   in Loop: Header=BB2_3 Depth=1
	v_mov_b32_e32 v25, v16
	v_mov_b32_e32 v16, v9
	;; [unrolled: 1-line block ×4, first 2 shown]
; %bb.30:                               ;   in Loop: Header=BB2_3 Depth=1
	s_or_b64 exec, exec, s[44:45]
                                        ; implicit-def: $vgpr18_vgpr19
                                        ; implicit-def: $vgpr20_vgpr21
                                        ; implicit-def: $vgpr35
                                        ; implicit-def: $vgpr36
                                        ; implicit-def: $vgpr22_vgpr23
                                        ; implicit-def: $vgpr19
                                        ; implicit-def: $vgpr21
.LBB2_31:                               ;   in Loop: Header=BB2_3 Depth=1
	s_andn2_saveexec_b64 s[8:9], s[8:9]
	s_cbranch_execz .LBB2_35
; %bb.32:                               ;   in Loop: Header=BB2_3 Depth=1
	v_xor_b32_e32 v16, v19, v23
	v_xor_b32_e32 v16, v16, v18
	v_mad_u64_u32 v[18:19], s[44:45], v16, s62, 0
	v_xor_b32_e32 v16, v19, v20
	v_xor_b32_e32 v17, v21, v16
	v_cmp_eq_u32_e32 vcc, 1, v35
	v_mov_b32_e32 v25, v8
	v_mov_b32_e32 v16, v36
	;; [unrolled: 1-line block ×3, first 2 shown]
	s_and_saveexec_b64 s[44:45], vcc
; %bb.33:                               ;   in Loop: Header=BB2_3 Depth=1
	v_mov_b32_e32 v25, v9
	v_mov_b32_e32 v16, v8
	;; [unrolled: 1-line block ×4, first 2 shown]
; %bb.34:                               ;   in Loop: Header=BB2_3 Depth=1
	s_or_b64 exec, exec, s[44:45]
	v_mov_b32_e32 v8, v17
	v_mov_b32_e32 v9, v19
.LBB2_35:                               ;   in Loop: Header=BB2_3 Depth=1
	s_or_b64 exec, exec, s[8:9]
	v_min_i32_e32 v17, 4, v32
	v_cmp_lt_i32_e32 vcc, 2, v17
	s_mov_b64 s[44:45], 0
	s_mov_b64 s[56:57], 0
	s_mov_b64 s[8:9], 0
                                        ; implicit-def: $sgpr46_sgpr47
                                        ; implicit-def: $sgpr48_sgpr49
                                        ; implicit-def: $sgpr50_sgpr51
	s_and_saveexec_b64 s[52:53], vcc
	s_xor_b64 s[52:53], exec, s[52:53]
	s_cbranch_execz .LBB2_47
; %bb.36:                               ;   in Loop: Header=BB2_3 Depth=1
	v_cmp_lt_i32_e32 vcc, 3, v17
	s_mov_b64 s[8:9], -1
	s_mov_b64 s[58:59], 0
                                        ; implicit-def: $sgpr46_sgpr47
                                        ; implicit-def: $sgpr54_sgpr55
	s_and_saveexec_b64 s[48:49], vcc
	s_cbranch_execz .LBB2_42
; %bb.37:                               ;   in Loop: Header=BB2_3 Depth=1
	v_cmp_eq_u32_e32 vcc, 4, v17
	s_mov_b64 s[8:9], 0
	s_mov_b64 s[58:59], -1
                                        ; implicit-def: $sgpr46_sgpr47
                                        ; implicit-def: $sgpr54_sgpr55
	s_and_saveexec_b64 s[50:51], vcc
	s_cbranch_execz .LBB2_41
; %bb.38:                               ;   in Loop: Header=BB2_3 Depth=1
	s_waitcnt vmcnt(0)
	v_cmp_le_f64_e32 vcc, 0, v[14:15]
	v_cmp_ge_f64_e64 s[8:9], 1.0, v[14:15]
	s_and_b64 s[58:59], vcc, s[8:9]
	s_mov_b64 s[46:47], 0
	s_mov_b64 s[8:9], 0
	s_and_saveexec_b64 s[54:55], s[58:59]
	s_cbranch_execz .LBB2_40
; %bb.39:                               ;   in Loop: Header=BB2_3 Depth=1
	v_cvt_f32_u32_e32 v18, v25
	v_mov_b32_e32 v19, 0x2f800000
	v_lshlrev_b64 v[12:13], 3, v[12:13]
	v_add_co_u32_e32 v12, vcc, s10, v12
	v_fmac_f32_e32 v19, 0x2f800000, v18
	v_mov_b32_e32 v18, s11
	v_addc_co_u32_e32 v13, vcc, v18, v13, vcc
	v_cvt_f64_f32_e32 v[18:19], v19
	v_cmp_ge_f64_e32 vcc, v[14:15], v[18:19]
	s_mov_b64 s[8:9], exec
	v_cndmask_b32_e32 v15, 0, v1, vcc
	v_mov_b32_e32 v14, v3
	global_store_dwordx2 v[12:13], v[14:15], off
.LBB2_40:                               ;   in Loop: Header=BB2_3 Depth=1
	s_or_b64 exec, exec, s[54:55]
	s_mov_b64 s[54:55], -1
	s_xor_b64 s[58:59], exec, -1
	s_and_b64 s[8:9], s[8:9], exec
.LBB2_41:                               ;   in Loop: Header=BB2_3 Depth=1
	s_or_b64 exec, exec, s[50:51]
	s_and_b64 s[58:59], s[58:59], exec
	s_orn2_b64 s[8:9], s[8:9], exec
.LBB2_42:                               ;   in Loop: Header=BB2_3 Depth=1
	s_or_b64 exec, exec, s[48:49]
	s_mov_b64 s[50:51], s[46:47]
	s_and_saveexec_b64 s[48:49], s[8:9]
	s_cbranch_execz .LBB2_46
; %bb.43:                               ;   in Loop: Header=BB2_3 Depth=1
	v_lshlrev_b64 v[10:11], 3, v[10:11]
	v_mov_b32_e32 v12, s19
	v_add_co_u32_e32 v10, vcc, s18, v10
	v_addc_co_u32_e32 v11, vcc, v12, v11, vcc
	global_load_dwordx2 v[10:11], v[10:11], off
	s_waitcnt vmcnt(0)
	v_cmp_le_f64_e32 vcc, 0, v[10:11]
	v_cmp_ge_f64_e64 s[8:9], 1.0, v[10:11]
	s_and_b64 s[50:51], vcc, s[8:9]
	s_mov_b64 s[8:9], 0
	s_and_saveexec_b64 s[56:57], s[50:51]
	s_xor_b64 s[50:51], exec, s[56:57]
	s_cbranch_execz .LBB2_45
; %bb.44:                               ;   in Loop: Header=BB2_3 Depth=1
	v_cvt_f32_u32_e32 v13, v16
	v_mov_b32_e32 v14, 0x2f800000
	v_cndmask_b32_e64 v12, 0, v34, s[6:7]
	v_mov_b32_e32 v15, s11
	v_fmac_f32_e32 v14, 0x2f800000, v13
	v_mov_b32_e32 v13, v3
	v_lshlrev_b64 v[12:13], 3, v[12:13]
	v_add_co_u32_e32 v12, vcc, s10, v12
	v_addc_co_u32_e32 v13, vcc, v15, v13, vcc
	v_cvt_f64_f32_e32 v[14:15], v14
	v_cmp_ge_f64_e32 vcc, v[10:11], v[14:15]
	v_cndmask_b32_e32 v11, 0, v1, vcc
	v_mov_b32_e32 v10, v3
	s_mov_b64 s[8:9], exec
	global_store_dwordx2 v[12:13], v[10:11], off
.LBB2_45:                               ;   in Loop: Header=BB2_3 Depth=1
	s_or_b64 exec, exec, s[50:51]
	s_andn2_b64 s[50:51], s[46:47], exec
	s_or_b64 s[46:47], s[46:47], exec
	s_andn2_b64 s[54:55], s[54:55], exec
	s_and_b64 s[56:57], s[8:9], exec
.LBB2_46:                               ;   in Loop: Header=BB2_3 Depth=1
	s_or_b64 exec, exec, s[48:49]
	s_and_b64 s[50:51], s[50:51], exec
	s_and_b64 s[48:49], s[46:47], exec
	;; [unrolled: 1-line block ×5, first 2 shown]
.LBB2_47:                               ;   in Loop: Header=BB2_3 Depth=1
	s_andn2_saveexec_b64 s[6:7], s[52:53]
; %bb.48:                               ;   in Loop: Header=BB2_3 Depth=1
	v_cmp_lt_i32_e32 vcc, 1, v17
	s_andn2_b64 s[52:53], s[56:57], exec
	s_and_b64 s[54:55], vcc, exec
	s_mov_b64 s[44:45], exec
	s_andn2_b64 s[50:51], s[50:51], exec
	s_andn2_b64 s[48:49], s[48:49], exec
	;; [unrolled: 1-line block ×3, first 2 shown]
	s_or_b64 s[56:57], s[52:53], s[54:55]
; %bb.49:                               ;   in Loop: Header=BB2_3 Depth=1
	s_or_b64 exec, exec, s[6:7]
	s_mov_b64 s[52:53], 0
	s_mov_b64 s[6:7], s[50:51]
	s_and_saveexec_b64 s[54:55], s[56:57]
	s_cbranch_execnz .LBB2_52
; %bb.50:                               ;   in Loop: Header=BB2_3 Depth=1
	s_or_b64 exec, exec, s[54:55]
	s_and_saveexec_b64 s[4:5], s[44:45]
	s_cbranch_execnz .LBB2_55
.LBB2_51:                               ;   in Loop: Header=BB2_3 Depth=1
	s_or_b64 exec, exec, s[4:5]
	s_and_saveexec_b64 s[44:45], s[52:53]
	s_cbranch_execnz .LBB2_56
	s_branch .LBB2_59
.LBB2_52:                               ;   in Loop: Header=BB2_3 Depth=1
	v_lshlrev_b64 v[6:7], 3, v[6:7]
	v_mov_b32_e32 v10, s19
	v_add_co_u32_e32 v6, vcc, s18, v6
	v_addc_co_u32_e32 v7, vcc, v10, v7, vcc
	global_load_dwordx2 v[6:7], v[6:7], off
	s_waitcnt vmcnt(0)
	v_cmp_le_f64_e32 vcc, 0, v[6:7]
	v_cmp_ge_f64_e64 s[6:7], 1.0, v[6:7]
	s_and_b64 s[6:7], vcc, s[6:7]
	s_and_saveexec_b64 s[56:57], s[6:7]
	s_xor_b64 s[6:7], exec, s[56:57]
	s_cbranch_execz .LBB2_54
; %bb.53:                               ;   in Loop: Header=BB2_3 Depth=1
	v_cvt_f32_u32_e32 v9, v9
	v_cndmask_b32_e64 v10, 0, v33, s[4:5]
	v_mov_b32_e32 v11, v3
	v_mov_b32_e32 v12, 0x2f800000
	v_lshlrev_b64 v[10:11], 3, v[10:11]
	v_fmac_f32_e32 v12, 0x2f800000, v9
	v_mov_b32_e32 v9, s11
	v_add_co_u32_e32 v10, vcc, s10, v10
	v_addc_co_u32_e32 v11, vcc, v9, v11, vcc
	v_cvt_f64_f32_e32 v[12:13], v12
	v_cmp_ge_f64_e32 vcc, v[6:7], v[12:13]
	v_cndmask_b32_e32 v7, 0, v1, vcc
	v_mov_b32_e32 v6, v3
	s_mov_b64 s[52:53], exec
	global_store_dwordx2 v[10:11], v[6:7], off
.LBB2_54:                               ;   in Loop: Header=BB2_3 Depth=1
	s_or_b64 exec, exec, s[6:7]
	s_andn2_b64 s[6:7], s[50:51], exec
	s_or_b64 s[50:51], s[50:51], exec
	s_andn2_b64 s[48:49], s[48:49], exec
	s_andn2_b64 s[46:47], s[46:47], exec
	s_and_b64 s[52:53], s[52:53], exec
	s_andn2_b64 s[44:45], s[44:45], exec
	s_or_b64 exec, exec, s[54:55]
	s_and_saveexec_b64 s[4:5], s[44:45]
	s_cbranch_execz .LBB2_51
.LBB2_55:                               ;   in Loop: Header=BB2_3 Depth=1
	v_cmp_eq_u32_e32 vcc, 1, v17
	s_andn2_b64 s[44:45], s[52:53], exec
	s_and_b64 s[52:53], vcc, exec
	s_andn2_b64 s[6:7], s[6:7], exec
	s_andn2_b64 s[50:51], s[50:51], exec
	;; [unrolled: 1-line block ×4, first 2 shown]
	s_or_b64 s[8:9], s[8:9], exec
	s_or_b64 s[52:53], s[44:45], s[52:53]
	s_or_b64 exec, exec, s[4:5]
	s_and_saveexec_b64 s[44:45], s[52:53]
	s_cbranch_execz .LBB2_59
.LBB2_56:                               ;   in Loop: Header=BB2_3 Depth=1
	v_lshlrev_b64 v[6:7], 3, v[2:3]
	v_mov_b32_e32 v2, s19
	v_add_co_u32_e32 v6, vcc, s18, v6
	v_addc_co_u32_e32 v7, vcc, v2, v7, vcc
	global_load_dwordx2 v[6:7], v[6:7], off
	s_waitcnt vmcnt(0)
	v_cmp_le_f64_e32 vcc, 0, v[6:7]
	v_cmp_ge_f64_e64 s[4:5], 1.0, v[6:7]
	s_and_b64 s[54:55], vcc, s[4:5]
	s_mov_b64 s[4:5], 0
	s_and_saveexec_b64 s[52:53], s[54:55]
	s_cbranch_execz .LBB2_58
; %bb.57:                               ;   in Loop: Header=BB2_3 Depth=1
	v_cvt_f32_u32_e32 v8, v8
	v_mov_b32_e32 v10, 0x2f800000
	v_cndmask_b32_e64 v2, 0, v31, s[2:3]
	s_mov_b64 s[4:5], exec
	v_fmac_f32_e32 v10, 0x2f800000, v8
	v_lshlrev_b64 v[8:9], 3, v[2:3]
	v_mov_b32_e32 v2, s11
	v_add_co_u32_e32 v8, vcc, s10, v8
	v_addc_co_u32_e32 v9, vcc, v2, v9, vcc
	v_cvt_f64_f32_e32 v[10:11], v10
	v_cmp_ge_f64_e32 vcc, v[6:7], v[10:11]
	v_cndmask_b32_e32 v7, 0, v1, vcc
	v_mov_b32_e32 v6, v3
	global_store_dwordx2 v[8:9], v[6:7], off
.LBB2_58:                               ;   in Loop: Header=BB2_3 Depth=1
	s_or_b64 exec, exec, s[52:53]
	s_andn2_b64 s[2:3], s[8:9], exec
	s_and_b64 s[4:5], s[4:5], exec
	s_or_b64 s[6:7], s[6:7], exec
	s_andn2_b64 s[50:51], s[50:51], exec
	s_andn2_b64 s[48:49], s[48:49], exec
	;; [unrolled: 1-line block ×3, first 2 shown]
	s_or_b64 s[8:9], s[2:3], s[4:5]
.LBB2_59:                               ;   in Loop: Header=BB2_3 Depth=1
	s_or_b64 exec, exec, s[44:45]
	s_andn2_b64 s[4:5], s[42:43], exec
	s_and_b64 s[6:7], s[6:7], exec
	s_or_b64 s[42:43], s[4:5], s[6:7]
	s_andn2_b64 s[4:5], s[40:41], exec
	s_and_b64 s[6:7], s[50:51], exec
	s_or_b64 s[40:41], s[4:5], s[6:7]
	;; [unrolled: 3-line block ×3, first 2 shown]
	s_andn2_b64 s[4:5], s[36:37], exec
	s_and_b64 s[6:7], s[46:47], exec
	s_mov_b64 s[2:3], -1
	s_or_b64 s[36:37], s[4:5], s[6:7]
	s_and_saveexec_b64 s[4:5], s[8:9]
	s_cbranch_execz .LBB2_2
; %bb.60:                               ;   in Loop: Header=BB2_3 Depth=1
	v_add_u32_e32 v30, s63, v30
	v_cmp_le_u32_e32 vcc, s33, v30
	s_andn2_b64 s[42:43], s[42:43], exec
	s_andn2_b64 s[40:41], s[40:41], exec
	;; [unrolled: 1-line block ×4, first 2 shown]
	s_orn2_b64 s[2:3], vcc, exec
	s_branch .LBB2_2
.LBB2_61:
	s_or_b64 exec, exec, s[26:27]
	s_xor_b64 s[6:7], s[34:35], -1
	s_xor_b64 s[8:9], s[30:31], -1
	s_xor_b64 s[0:1], s[28:29], -1
	s_mov_b64 s[2:3], 0
	s_and_saveexec_b64 s[4:5], s[0:1]
	s_xor_b64 s[0:1], exec, s[4:5]
	s_cbranch_execnz .LBB2_66
; %bb.62:
	s_andn2_saveexec_b64 s[0:1], s[0:1]
	s_cbranch_execnz .LBB2_74
.LBB2_63:
	s_or_b64 exec, exec, s[0:1]
	s_and_b64 exec, exec, s[2:3]
.LBB2_64:
	; divergent unreachable
.LBB2_65:
	s_endpgm
.LBB2_66:
	s_mov_b64 s[4:5], 0
	s_and_saveexec_b64 s[2:3], s[8:9]
	s_xor_b64 s[2:3], exec, s[2:3]
	s_cbranch_execz .LBB2_72
; %bb.67:
	s_and_saveexec_b64 s[8:9], s[6:7]
	s_xor_b64 s[6:7], exec, s[8:9]
	s_cbranch_execz .LBB2_70
; %bb.68:
	s_and_saveexec_b64 s[8:9], s[20:21]
	s_xor_b64 s[8:9], exec, s[8:9]
	s_cbranch_execnz .LBB2_77
.LBB2_69:
	s_or_b64 exec, exec, s[8:9]
	s_and_b64 s[4:5], s[4:5], exec
.LBB2_70:
	s_andn2_saveexec_b64 s[6:7], s[6:7]
	s_cbranch_execnz .LBB2_76
.LBB2_71:
	s_or_b64 exec, exec, s[6:7]
	s_and_b64 s[4:5], s[4:5], exec
.LBB2_72:
	s_andn2_saveexec_b64 s[2:3], s[2:3]
	s_cbranch_execnz .LBB2_75
.LBB2_73:
	s_or_b64 exec, exec, s[2:3]
	s_and_b64 s[2:3], s[4:5], exec
	s_andn2_saveexec_b64 s[0:1], s[0:1]
	s_cbranch_execz .LBB2_63
.LBB2_74:
	s_or_b64 s[2:3], s[2:3], exec
	s_trap 2
	s_or_b64 exec, exec, s[0:1]
	s_and_b64 exec, exec, s[2:3]
	s_cbranch_execnz .LBB2_64
	s_branch .LBB2_65
.LBB2_75:
	s_or_b64 s[4:5], s[4:5], exec
	s_trap 2
	s_branch .LBB2_73
.LBB2_76:
	s_trap 2
	s_or_b64 s[4:5], s[4:5], exec
	s_branch .LBB2_71
.LBB2_77:
	s_mov_b64 s[4:5], exec
	s_trap 2
	s_branch .LBB2_69
	.section	.rodata,"a",@progbits
	.p2align	6, 0x0
	.amdhsa_kernel _ZN2at4cuda12_GLOBAL__N_121kernelPointwiseApply2IZNS_6native9templates4cuda28bernoulli_tensor_cuda_kernelIddEEvRKNS_10TensorBaseES9_NS_15PhiloxCudaStateEEUliRdSB_SB_SB_RKdSD_SD_SD_E_dSC_jLi1ELin1ELi4ELi512ELi2EEEvNS0_6detail10TensorInfoIT0_T2_EENSG_IT1_SI_EESI_T_
		.amdhsa_group_segment_fixed_size 0
		.amdhsa_private_segment_fixed_size 0
		.amdhsa_kernarg_size 728
		.amdhsa_user_sgpr_count 6
		.amdhsa_user_sgpr_private_segment_buffer 1
		.amdhsa_user_sgpr_dispatch_ptr 0
		.amdhsa_user_sgpr_queue_ptr 0
		.amdhsa_user_sgpr_kernarg_segment_ptr 1
		.amdhsa_user_sgpr_dispatch_id 0
		.amdhsa_user_sgpr_flat_scratch_init 0
		.amdhsa_user_sgpr_kernarg_preload_length 0
		.amdhsa_user_sgpr_kernarg_preload_offset 0
		.amdhsa_user_sgpr_private_segment_size 0
		.amdhsa_uses_dynamic_stack 0
		.amdhsa_system_sgpr_private_segment_wavefront_offset 0
		.amdhsa_system_sgpr_workgroup_id_x 1
		.amdhsa_system_sgpr_workgroup_id_y 0
		.amdhsa_system_sgpr_workgroup_id_z 0
		.amdhsa_system_sgpr_workgroup_info 0
		.amdhsa_system_vgpr_workitem_id 0
		.amdhsa_next_free_vgpr 53
		.amdhsa_next_free_sgpr 67
		.amdhsa_accum_offset 56
		.amdhsa_reserve_vcc 1
		.amdhsa_reserve_flat_scratch 0
		.amdhsa_float_round_mode_32 0
		.amdhsa_float_round_mode_16_64 0
		.amdhsa_float_denorm_mode_32 3
		.amdhsa_float_denorm_mode_16_64 3
		.amdhsa_dx10_clamp 1
		.amdhsa_ieee_mode 1
		.amdhsa_fp16_overflow 0
		.amdhsa_tg_split 0
		.amdhsa_exception_fp_ieee_invalid_op 0
		.amdhsa_exception_fp_denorm_src 0
		.amdhsa_exception_fp_ieee_div_zero 0
		.amdhsa_exception_fp_ieee_overflow 0
		.amdhsa_exception_fp_ieee_underflow 0
		.amdhsa_exception_fp_ieee_inexact 0
		.amdhsa_exception_int_div_zero 0
	.end_amdhsa_kernel
	.section	.text._ZN2at4cuda12_GLOBAL__N_121kernelPointwiseApply2IZNS_6native9templates4cuda28bernoulli_tensor_cuda_kernelIddEEvRKNS_10TensorBaseES9_NS_15PhiloxCudaStateEEUliRdSB_SB_SB_RKdSD_SD_SD_E_dSC_jLi1ELin1ELi4ELi512ELi2EEEvNS0_6detail10TensorInfoIT0_T2_EENSG_IT1_SI_EESI_T_,"axG",@progbits,_ZN2at4cuda12_GLOBAL__N_121kernelPointwiseApply2IZNS_6native9templates4cuda28bernoulli_tensor_cuda_kernelIddEEvRKNS_10TensorBaseES9_NS_15PhiloxCudaStateEEUliRdSB_SB_SB_RKdSD_SD_SD_E_dSC_jLi1ELin1ELi4ELi512ELi2EEEvNS0_6detail10TensorInfoIT0_T2_EENSG_IT1_SI_EESI_T_,comdat
.Lfunc_end2:
	.size	_ZN2at4cuda12_GLOBAL__N_121kernelPointwiseApply2IZNS_6native9templates4cuda28bernoulli_tensor_cuda_kernelIddEEvRKNS_10TensorBaseES9_NS_15PhiloxCudaStateEEUliRdSB_SB_SB_RKdSD_SD_SD_E_dSC_jLi1ELin1ELi4ELi512ELi2EEEvNS0_6detail10TensorInfoIT0_T2_EENSG_IT1_SI_EESI_T_, .Lfunc_end2-_ZN2at4cuda12_GLOBAL__N_121kernelPointwiseApply2IZNS_6native9templates4cuda28bernoulli_tensor_cuda_kernelIddEEvRKNS_10TensorBaseES9_NS_15PhiloxCudaStateEEUliRdSB_SB_SB_RKdSD_SD_SD_E_dSC_jLi1ELin1ELi4ELi512ELi2EEEvNS0_6detail10TensorInfoIT0_T2_EENSG_IT1_SI_EESI_T_
                                        ; -- End function
	.section	.AMDGPU.csdata,"",@progbits
; Kernel info:
; codeLenInByte = 3536
; NumSgprs: 71
; NumVgprs: 53
; NumAgprs: 0
; TotalNumVgprs: 53
; ScratchSize: 0
; MemoryBound: 0
; FloatMode: 240
; IeeeMode: 1
; LDSByteSize: 0 bytes/workgroup (compile time only)
; SGPRBlocks: 8
; VGPRBlocks: 6
; NumSGPRsForWavesPerEU: 71
; NumVGPRsForWavesPerEU: 53
; AccumOffset: 56
; Occupancy: 8
; WaveLimiterHint : 1
; COMPUTE_PGM_RSRC2:SCRATCH_EN: 0
; COMPUTE_PGM_RSRC2:USER_SGPR: 6
; COMPUTE_PGM_RSRC2:TRAP_HANDLER: 0
; COMPUTE_PGM_RSRC2:TGID_X_EN: 1
; COMPUTE_PGM_RSRC2:TGID_Y_EN: 0
; COMPUTE_PGM_RSRC2:TGID_Z_EN: 0
; COMPUTE_PGM_RSRC2:TIDIG_COMP_CNT: 0
; COMPUTE_PGM_RSRC3_GFX90A:ACCUM_OFFSET: 13
; COMPUTE_PGM_RSRC3_GFX90A:TG_SPLIT: 0
	.section	.text._ZN2at4cuda12_GLOBAL__N_121kernelPointwiseApply2IZNS_6native9templates4cuda28bernoulli_tensor_cuda_kernelIddEEvRKNS_10TensorBaseES9_NS_15PhiloxCudaStateEEUliRdSB_SB_SB_RKdSD_SD_SD_E_dSC_jLi2ELi1ELi4ELi512ELi2EEEvNS0_6detail10TensorInfoIT0_T2_EENSG_IT1_SI_EESI_T_,"axG",@progbits,_ZN2at4cuda12_GLOBAL__N_121kernelPointwiseApply2IZNS_6native9templates4cuda28bernoulli_tensor_cuda_kernelIddEEvRKNS_10TensorBaseES9_NS_15PhiloxCudaStateEEUliRdSB_SB_SB_RKdSD_SD_SD_E_dSC_jLi2ELi1ELi4ELi512ELi2EEEvNS0_6detail10TensorInfoIT0_T2_EENSG_IT1_SI_EESI_T_,comdat
	.globl	_ZN2at4cuda12_GLOBAL__N_121kernelPointwiseApply2IZNS_6native9templates4cuda28bernoulli_tensor_cuda_kernelIddEEvRKNS_10TensorBaseES9_NS_15PhiloxCudaStateEEUliRdSB_SB_SB_RKdSD_SD_SD_E_dSC_jLi2ELi1ELi4ELi512ELi2EEEvNS0_6detail10TensorInfoIT0_T2_EENSG_IT1_SI_EESI_T_ ; -- Begin function _ZN2at4cuda12_GLOBAL__N_121kernelPointwiseApply2IZNS_6native9templates4cuda28bernoulli_tensor_cuda_kernelIddEEvRKNS_10TensorBaseES9_NS_15PhiloxCudaStateEEUliRdSB_SB_SB_RKdSD_SD_SD_E_dSC_jLi2ELi1ELi4ELi512ELi2EEEvNS0_6detail10TensorInfoIT0_T2_EENSG_IT1_SI_EESI_T_
	.p2align	8
	.type	_ZN2at4cuda12_GLOBAL__N_121kernelPointwiseApply2IZNS_6native9templates4cuda28bernoulli_tensor_cuda_kernelIddEEvRKNS_10TensorBaseES9_NS_15PhiloxCudaStateEEUliRdSB_SB_SB_RKdSD_SD_SD_E_dSC_jLi2ELi1ELi4ELi512ELi2EEEvNS0_6detail10TensorInfoIT0_T2_EENSG_IT1_SI_EESI_T_,@function
_ZN2at4cuda12_GLOBAL__N_121kernelPointwiseApply2IZNS_6native9templates4cuda28bernoulli_tensor_cuda_kernelIddEEvRKNS_10TensorBaseES9_NS_15PhiloxCudaStateEEUliRdSB_SB_SB_RKdSD_SD_SD_E_dSC_jLi2ELi1ELi4ELi512ELi2EEEvNS0_6detail10TensorInfoIT0_T2_EENSG_IT1_SI_EESI_T_: ; @_ZN2at4cuda12_GLOBAL__N_121kernelPointwiseApply2IZNS_6native9templates4cuda28bernoulli_tensor_cuda_kernelIddEEvRKNS_10TensorBaseES9_NS_15PhiloxCudaStateEEUliRdSB_SB_SB_RKdSD_SD_SD_E_dSC_jLi2ELi1ELi4ELi512ELi2EEEvNS0_6detail10TensorInfoIT0_T2_EENSG_IT1_SI_EESI_T_
; %bb.0:
	s_load_dword s2, s[4:5], 0x1e4
	s_load_dword s33, s[4:5], 0x1b0
	s_add_u32 s0, s4, 0x1d8
	s_addc_u32 s1, s5, 0
	s_waitcnt lgkmcnt(0)
	s_and_b32 s2, s2, 0xffff
	s_mul_i32 s6, s6, s2
	v_add_u32_e32 v1, s6, v0
	v_lshlrev_b32_e32 v0, 2, v1
	v_cmp_gt_u32_e32 vcc, s33, v0
	s_and_saveexec_b64 s[6:7], vcc
	s_cbranch_execz .LBB3_51
; %bb.1:
	s_load_dwordx2 s[12:13], s[4:5], 0x0
	s_load_dword s56, s[4:5], 0xc
	s_load_dwordx2 s[14:15], s[4:5], 0x6c
	s_load_dwordx2 s[16:17], s[4:5], 0xd8
	s_load_dword s3, s[0:1], 0x0
	s_load_dwordx2 s[18:19], s[4:5], 0x1c8
	s_load_dword s6, s[4:5], 0x1d0
	s_load_dword s7, s[4:5], 0x144
	s_load_dwordx4 s[8:11], s[4:5], 0x1b8
	s_waitcnt lgkmcnt(0)
	v_cvt_f32_u32_e32 v2, s56
	s_mov_b32 s57, 0xcd9e8d57
	s_bitcmp1_b32 s6, 0
	s_cselect_b64 s[22:23], -1, 0
	v_rcp_iflag_f32_e32 v4, v2
	v_mad_u64_u32 v[2:3], s[0:1], v1, s57, 0
	s_sub_i32 s60, 0, s56
	v_mul_f32_e32 v4, 0x4f7ffffe, v4
	v_cvt_u32_f32_e32 v4, v4
	v_mov_b32_e32 v6, v3
	s_mul_i32 s3, s3, s2
	s_lshl_b32 s59, s3, 2
	v_mul_lo_u32 v3, s60, v4
	v_mul_hi_u32 v3, v4, v3
	v_add_u32_e32 v3, v4, v3
	v_add_u32_e32 v4, 2, v0
	v_mul_lo_u32 v34, v0, s7
	v_mul_lo_u32 v36, s7, v4
	v_add_u32_e32 v4, 3, v0
	s_mov_b32 s58, 0
	v_mov_b32_e32 v5, 0
	v_sub_u32_e32 v7, s33, v0
	v_add_u32_e32 v35, s7, v34
	s_mul_i32 s61, s59, s7
	v_mul_lo_u32 v37, s7, v4
	s_mov_b64 s[24:25], 0
	s_mov_b32 s62, 0xd2511f53
	s_mov_b32 s63, 0xf1bbcdc8
	v_mov_b32_e32 v38, 0x3ff00000
                                        ; implicit-def: $sgpr26_sgpr27
                                        ; implicit-def: $sgpr28_sgpr29
                                        ; implicit-def: $sgpr30_sgpr31
                                        ; implicit-def: $sgpr20_sgpr21
                                        ; implicit-def: $sgpr34_sgpr35
                                        ; implicit-def: $sgpr36_sgpr37
                                        ; implicit-def: $sgpr38_sgpr39
                                        ; implicit-def: $sgpr40_sgpr41
	s_branch .LBB3_3
.LBB3_2:                                ;   in Loop: Header=BB3_3 Depth=1
	s_or_b64 exec, exec, s[2:3]
	s_and_b64 s[0:1], exec, s[0:1]
	s_or_b64 s[24:25], s[0:1], s[24:25]
	s_andn2_b64 s[0:1], s[20:21], exec
	s_and_b64 s[2:3], s[40:41], exec
	s_or_b64 s[20:21], s[0:1], s[2:3]
	s_andn2_b64 s[0:1], s[30:31], exec
	s_and_b64 s[2:3], s[38:39], exec
	;; [unrolled: 3-line block ×4, first 2 shown]
	s_or_b64 s[26:27], s[0:1], s[2:3]
	s_andn2_b64 exec, exec, s[24:25]
	s_cbranch_execz .LBB3_47
.LBB3_3:                                ; =>This Inner Loop Header: Depth=1
	v_pk_mov_b32 v[10:11], 0, 0
	v_cmp_lt_i32_e64 s[0:1], 0, v7
	v_pk_mov_b32 v[8:9], v[10:11], v[10:11] op_sel:[0,1]
	s_and_saveexec_b64 s[2:3], s[0:1]
	s_cbranch_execz .LBB3_5
; %bb.4:                                ;   in Loop: Header=BB3_3 Depth=1
	v_mul_hi_u32 v4, v3, v0
	v_not_b32_e32 v12, v4
	v_mad_u64_u32 v[8:9], s[4:5], s60, v4, v[0:1]
	v_add_u32_e32 v9, 1, v4
	v_cmp_le_u32_e32 vcc, s56, v8
	v_mad_u64_u32 v[12:13], s[4:5], s56, v12, v[0:1]
	v_cndmask_b32_e32 v4, v4, v9, vcc
	v_cndmask_b32_e32 v8, v8, v12, vcc
	v_add_u32_e32 v9, 1, v4
	v_cmp_le_u32_e32 vcc, s56, v8
	v_cndmask_b32_e32 v12, v4, v9, vcc
	v_mad_u64_u32 v[8:9], s[4:5], s60, v12, v[0:1]
	v_mul_lo_u32 v4, v8, s15
	v_mad_u64_u32 v[8:9], s[4:5], v12, s14, v[4:5]
	v_mov_b32_e32 v9, v5
.LBB3_5:                                ;   in Loop: Header=BB3_3 Depth=1
	s_or_b64 exec, exec, s[2:3]
	v_cmp_lt_i32_e64 s[2:3], 1, v7
	s_and_saveexec_b64 s[4:5], s[2:3]
	s_cbranch_execz .LBB3_7
; %bb.6:                                ;   in Loop: Header=BB3_3 Depth=1
	v_add_u32_e32 v4, 1, v0
	v_mul_hi_u32 v10, v4, v3
	v_mul_lo_u32 v11, v10, s56
	v_sub_u32_e32 v11, v4, v11
	v_add_u32_e32 v12, 1, v10
	v_cmp_le_u32_e32 vcc, s56, v11
	v_cndmask_b32_e32 v10, v10, v12, vcc
	v_subrev_u32_e32 v12, s56, v11
	v_cndmask_b32_e32 v11, v11, v12, vcc
	v_add_u32_e32 v12, 1, v10
	v_cmp_le_u32_e32 vcc, s56, v11
	v_cndmask_b32_e32 v10, v10, v12, vcc
	v_mul_lo_u32 v11, v10, s56
	v_sub_u32_e32 v4, v4, v11
	v_mul_lo_u32 v4, v4, s15
	v_mad_u64_u32 v[10:11], s[6:7], v10, s14, v[4:5]
	v_mov_b32_e32 v11, v5
.LBB3_7:                                ;   in Loop: Header=BB3_3 Depth=1
	s_or_b64 exec, exec, s[4:5]
	v_pk_mov_b32 v[16:17], 0, 0
	v_cmp_lt_i32_e64 s[4:5], 2, v7
	v_pk_mov_b32 v[14:15], v[16:17], v[16:17] op_sel:[0,1]
	s_and_saveexec_b64 s[6:7], s[4:5]
	s_cbranch_execz .LBB3_9
; %bb.8:                                ;   in Loop: Header=BB3_3 Depth=1
	v_add_u32_e32 v4, 2, v0
	v_mul_hi_u32 v12, v4, v3
	v_mul_lo_u32 v13, v12, s56
	v_sub_u32_e32 v13, v4, v13
	v_add_u32_e32 v14, 1, v12
	v_cmp_le_u32_e32 vcc, s56, v13
	v_cndmask_b32_e32 v12, v12, v14, vcc
	v_subrev_u32_e32 v14, s56, v13
	v_cndmask_b32_e32 v13, v13, v14, vcc
	v_add_u32_e32 v14, 1, v12
	v_cmp_le_u32_e32 vcc, s56, v13
	v_cndmask_b32_e32 v12, v12, v14, vcc
	v_mul_lo_u32 v13, v12, s56
	v_sub_u32_e32 v4, v4, v13
	v_mul_lo_u32 v4, v4, s15
	v_mad_u64_u32 v[14:15], s[42:43], v12, s14, v[4:5]
	v_mov_b32_e32 v15, v5
.LBB3_9:                                ;   in Loop: Header=BB3_3 Depth=1
	s_or_b64 exec, exec, s[6:7]
	v_cmp_lt_i32_e32 vcc, 3, v7
	s_and_saveexec_b64 s[42:43], vcc
	s_cbranch_execz .LBB3_11
; %bb.10:                               ;   in Loop: Header=BB3_3 Depth=1
	v_add_u32_e32 v4, 3, v0
	v_mul_hi_u32 v12, v4, v3
	v_mul_lo_u32 v13, v12, s56
	v_sub_u32_e32 v13, v4, v13
	v_add_u32_e32 v16, 1, v12
	v_cmp_le_u32_e64 s[6:7], s56, v13
	v_cndmask_b32_e64 v12, v12, v16, s[6:7]
	v_subrev_u32_e32 v16, s56, v13
	v_cndmask_b32_e64 v13, v13, v16, s[6:7]
	v_add_u32_e32 v16, 1, v12
	v_cmp_le_u32_e64 s[6:7], s56, v13
	v_cndmask_b32_e64 v12, v12, v16, s[6:7]
	v_mul_lo_u32 v13, v12, s56
	v_sub_u32_e32 v4, v4, v13
	v_mul_lo_u32 v4, v4, s15
	v_mad_u64_u32 v[16:17], s[6:7], v12, s14, v[4:5]
	v_mov_b32_e32 v17, v5
.LBB3_11:                               ;   in Loop: Header=BB3_3 Depth=1
	s_or_b64 exec, exec, s[42:43]
	v_add_u32_e32 v4, s58, v37
	v_cndmask_b32_e32 v4, 0, v4, vcc
	v_lshlrev_b64 v[12:13], 3, v[4:5]
	v_mov_b32_e32 v4, s17
	v_add_co_u32_e32 v12, vcc, s16, v12
	v_addc_co_u32_e32 v13, vcc, v4, v13, vcc
	global_load_dwordx2 v[18:19], v[12:13], off
	s_andn2_b64 vcc, exec, s[22:23]
	v_pk_mov_b32 v[12:13], s[10:11], s[10:11] op_sel:[0,1]
	v_pk_mov_b32 v[20:21], s[8:9], s[8:9] op_sel:[0,1]
	s_cbranch_vccnz .LBB3_13
; %bb.12:                               ;   in Loop: Header=BB3_3 Depth=1
	v_pk_mov_b32 v[12:13], s[10:11], s[10:11] op_sel:[0,1]
	flat_load_dwordx2 v[12:13], v[12:13]
	v_pk_mov_b32 v[20:21], s[8:9], s[8:9] op_sel:[0,1]
	flat_load_dwordx2 v[20:21], v[20:21]
	v_mov_b32_e32 v4, s19
	s_waitcnt vmcnt(0) lgkmcnt(0)
	v_add_co_u32_e32 v12, vcc, s18, v12
	v_addc_co_u32_e32 v13, vcc, v13, v4, vcc
.LBB3_13:                               ;   in Loop: Header=BB3_3 Depth=1
	v_alignbit_b32 v30, v13, v12, 2
	v_lshrrev_b32_e32 v31, 2, v13
	v_xor_b32_e32 v22, v6, v20
	v_and_b32_e32 v4, 3, v12
	v_mad_u64_u32 v[12:13], s[6:7], v30, s62, 0
	v_xor_b32_e32 v22, v22, v31
	v_xor_b32_e32 v13, v13, v21
	v_add_u32_e32 v43, 0xbb67ae85, v21
	v_mad_u64_u32 v[22:23], s[6:7], v22, s62, 0
	v_mad_u64_u32 v[24:25], s[6:7], v13, s57, 0
	v_xor_b32_e32 v23, v43, v23
	v_add_u32_e32 v42, 0x9e3779b9, v20
	v_xor_b32_e32 v13, v2, v25
	v_xor_b32_e32 v23, v23, v12
	v_xor_b32_e32 v13, v13, v42
	v_add_u32_e32 v44, 0x3c6ef372, v20
	v_mad_u64_u32 v[26:27], s[6:7], v23, s57, 0
	v_add_u32_e32 v45, 0x76cf5d0a, v21
	v_mad_u64_u32 v[12:13], s[6:7], v13, s62, 0
	v_xor_b32_e32 v23, v44, v27
	v_xor_b32_e32 v23, v23, v24
	v_xor_b32_e32 v13, v45, v13
	v_xor_b32_e32 v13, v13, v22
	v_add_u32_e32 v47, 0x32370b8f, v21
	v_mad_u64_u32 v[22:23], s[6:7], v23, s62, 0
	v_add_u32_e32 v46, 0xdaa66d2b, v20
	v_mad_u64_u32 v[24:25], s[6:7], v13, s57, 0
	v_xor_b32_e32 v23, v47, v23
	;; [unrolled: 8-line block ×5, first 2 shown]
	v_xor_b32_e32 v23, v23, v24
	v_xor_b32_e32 v13, v53, v13
	v_xor_b32_e32 v13, v13, v22
	v_add_u32_e32 v55, 0x1fd5c5a3, v21
	v_mad_u64_u32 v[22:23], s[6:7], v23, s62, 0
	v_xor_b32_e32 v23, v55, v23
	v_xor_b32_e32 v12, v23, v12
	v_add_u32_e32 v54, 0x5384540f, v20
	v_mad_u64_u32 v[28:29], s[6:7], v13, s57, 0
	v_add_co_u32_e32 v40, vcc, s63, v20
	v_mad_u64_u32 v[24:25], s[6:7], v12, s57, 0
	v_xor_b32_e32 v13, v54, v29
	v_xor_b32_e32 v12, v40, v25
	;; [unrolled: 1-line block ×4, first 2 shown]
	v_mad_u64_u32 v[26:27], s[6:7], v13, s62, 0
	v_mad_u64_u32 v[12:13], s[6:7], v12, s62, 0
	v_add_u32_e32 v41, 0x96a522ad, v21
	v_xor_b32_e32 v13, v13, v26
	v_xor_b32_e32 v39, v41, v13
	v_add_co_u32_e32 v13, vcc, 1, v30
	v_cndmask_b32_e64 v26, 0, 1, vcc
	v_addc_co_u32_e32 v32, vcc, 0, v31, vcc
	v_cmp_eq_u32_e32 vcc, 0, v32
	v_cndmask_b32_e32 v26, 0, v26, vcc
	v_add_u32_e32 v30, v26, v1
	v_cmp_eq_u32_e32 vcc, 0, v30
	v_mad_u64_u32 v[28:29], s[6:7], v13, s62, 0
	v_mad_u64_u32 v[30:31], s[6:7], v30, s57, 0
	v_add_u32_e32 v25, 0x8ff34781, v20
	v_cndmask_b32_e32 v26, 0, v26, vcc
	v_xor_b32_e32 v13, v31, v20
	v_xor_b32_e32 v20, v29, v21
	;; [unrolled: 1-line block ×4, first 2 shown]
	v_mad_u64_u32 v[32:33], s[6:7], v26, s57, 0
	v_add_u32_e32 v23, 0xdb3d7428, v21
	v_mad_u64_u32 v[20:21], s[6:7], v13, s62, 0
	v_xor_b32_e32 v13, v42, v33
	v_xor_b32_e32 v13, v13, v30
	v_xor_b32_e32 v21, v43, v21
	v_xor_b32_e32 v21, v21, v28
	v_mad_u64_u32 v[28:29], s[6:7], v13, s62, 0
	v_mad_u64_u32 v[30:31], s[6:7], v21, s57, 0
	v_xor_b32_e32 v21, v45, v29
	v_xor_b32_e32 v13, v44, v31
	v_xor_b32_e32 v26, v21, v20
	v_xor_b32_e32 v13, v13, v32
	v_mad_u64_u32 v[32:33], s[6:7], v26, s57, 0
	;; [unrolled: 6-line block ×7, first 2 shown]
	v_xor_b32_e32 v13, v23, v31
	v_xor_b32_e32 v13, v13, v20
	v_mad_u64_u32 v[32:33], s[6:7], v21, s57, 0
	v_mad_u64_u32 v[20:21], s[6:7], v13, s57, 0
	v_xor_b32_e32 v13, v21, v32
	v_xor_b32_e32 v13, v25, v13
	v_cmp_lt_i32_e32 vcc, 1, v4
                                        ; implicit-def: $vgpr29
	s_and_saveexec_b64 s[6:7], vcc
	s_xor_b64 s[6:7], exec, s[6:7]
	s_cbranch_execz .LBB3_19
; %bb.14:                               ;   in Loop: Header=BB3_3 Depth=1
	v_cmp_lt_i32_e32 vcc, 2, v4
                                        ; implicit-def: $vgpr29
	s_and_saveexec_b64 s[42:43], vcc
	s_xor_b64 s[42:43], exec, s[42:43]
; %bb.15:                               ;   in Loop: Header=BB3_3 Depth=1
	v_xor_b32_e32 v4, v40, v33
	v_xor_b32_e32 v4, v4, v28
	v_mul_hi_u32 v4, v4, s62
	v_xor_b32_e32 v4, v4, v30
	v_xor_b32_e32 v29, v41, v4
                                        ; implicit-def: $vgpr39
; %bb.16:                               ;   in Loop: Header=BB3_3 Depth=1
	s_andn2_saveexec_b64 s[42:43], s[42:43]
; %bb.17:                               ;   in Loop: Header=BB3_3 Depth=1
	v_mov_b32_e32 v29, v20
	v_mov_b32_e32 v20, v13
	;; [unrolled: 1-line block ×4, first 2 shown]
; %bb.18:                               ;   in Loop: Header=BB3_3 Depth=1
	s_or_b64 exec, exec, s[42:43]
                                        ; implicit-def: $vgpr22_vgpr23
                                        ; implicit-def: $vgpr24_vgpr25
                                        ; implicit-def: $vgpr4
                                        ; implicit-def: $vgpr39
                                        ; implicit-def: $vgpr26_vgpr27
                                        ; implicit-def: $vgpr23
                                        ; implicit-def: $vgpr25
.LBB3_19:                               ;   in Loop: Header=BB3_3 Depth=1
	s_andn2_saveexec_b64 s[6:7], s[6:7]
	s_cbranch_execz .LBB3_23
; %bb.20:                               ;   in Loop: Header=BB3_3 Depth=1
	v_xor_b32_e32 v20, v23, v27
	v_xor_b32_e32 v20, v20, v22
	v_mad_u64_u32 v[22:23], s[42:43], v20, s57, 0
	v_xor_b32_e32 v20, v23, v24
	v_xor_b32_e32 v21, v25, v20
	v_cmp_eq_u32_e32 vcc, 1, v4
	v_mov_b32_e32 v29, v12
	v_mov_b32_e32 v20, v39
	;; [unrolled: 1-line block ×3, first 2 shown]
	s_and_saveexec_b64 s[42:43], vcc
; %bb.21:                               ;   in Loop: Header=BB3_3 Depth=1
	v_mov_b32_e32 v29, v13
	v_mov_b32_e32 v20, v12
	;; [unrolled: 1-line block ×4, first 2 shown]
; %bb.22:                               ;   in Loop: Header=BB3_3 Depth=1
	s_or_b64 exec, exec, s[42:43]
	v_mov_b32_e32 v12, v21
	v_mov_b32_e32 v13, v4
.LBB3_23:                               ;   in Loop: Header=BB3_3 Depth=1
	s_or_b64 exec, exec, s[6:7]
	v_min_i32_e32 v21, 4, v7
	v_cmp_lt_i32_e32 vcc, 2, v21
	s_mov_b64 s[42:43], 0
	s_mov_b64 s[54:55], 0
                                        ; implicit-def: $sgpr6_sgpr7
                                        ; implicit-def: $sgpr44_sgpr45
                                        ; implicit-def: $sgpr46_sgpr47
	s_and_saveexec_b64 s[48:49], vcc
	s_xor_b64 s[48:49], exec, s[48:49]
	s_cbranch_execz .LBB3_33
; %bb.24:                               ;   in Loop: Header=BB3_3 Depth=1
	v_cmp_lt_i32_e32 vcc, 3, v21
	s_mov_b64 s[46:47], -1
                                        ; implicit-def: $sgpr6_sgpr7
                                        ; implicit-def: $sgpr50_sgpr51
	s_and_saveexec_b64 s[44:45], vcc
	s_cbranch_execz .LBB3_28
; %bb.25:                               ;   in Loop: Header=BB3_3 Depth=1
	s_waitcnt vmcnt(0)
	v_cmp_le_f64_e32 vcc, 0, v[18:19]
	v_cmp_ge_f64_e64 s[6:7], 1.0, v[18:19]
	s_and_b64 s[52:53], vcc, s[6:7]
	s_mov_b64 s[6:7], 0
	s_mov_b64 s[46:47], 0
	s_and_saveexec_b64 s[50:51], s[52:53]
	s_cbranch_execz .LBB3_27
; %bb.26:                               ;   in Loop: Header=BB3_3 Depth=1
	v_cvt_f32_u32_e32 v4, v29
	v_mov_b32_e32 v22, 0x2f800000
	v_lshlrev_b64 v[16:17], 3, v[16:17]
	v_add_co_u32_e32 v16, vcc, s12, v16
	v_fmac_f32_e32 v22, 0x2f800000, v4
	v_mov_b32_e32 v4, s13
	v_addc_co_u32_e32 v17, vcc, v4, v17, vcc
	v_cvt_f64_f32_e32 v[22:23], v22
	v_cmp_ge_f64_e32 vcc, v[18:19], v[22:23]
	s_mov_b64 s[46:47], exec
	v_cndmask_b32_e32 v19, 0, v38, vcc
	v_mov_b32_e32 v18, v5
	global_store_dwordx2 v[16:17], v[18:19], off
.LBB3_27:                               ;   in Loop: Header=BB3_3 Depth=1
	s_or_b64 exec, exec, s[50:51]
	s_mov_b64 s[50:51], -1
	s_orn2_b64 s[46:47], s[46:47], exec
.LBB3_28:                               ;   in Loop: Header=BB3_3 Depth=1
	s_or_b64 exec, exec, s[44:45]
	s_mov_b64 s[52:53], 0
	s_mov_b64 s[54:55], s[6:7]
	s_and_saveexec_b64 s[44:45], s[46:47]
	s_cbranch_execz .LBB3_32
; %bb.29:                               ;   in Loop: Header=BB3_3 Depth=1
	v_add_u32_e32 v4, s58, v36
	v_cndmask_b32_e64 v4, 0, v4, s[4:5]
	v_lshlrev_b64 v[16:17], 3, v[4:5]
	v_mov_b32_e32 v4, s17
	v_add_co_u32_e32 v16, vcc, s16, v16
	v_addc_co_u32_e32 v17, vcc, v4, v17, vcc
	global_load_dwordx2 v[16:17], v[16:17], off
	s_waitcnt vmcnt(0)
	v_cmp_le_f64_e32 vcc, 0, v[16:17]
	v_cmp_ge_f64_e64 s[4:5], 1.0, v[16:17]
	s_and_b64 s[46:47], vcc, s[4:5]
	s_mov_b64 s[4:5], 0
	s_and_saveexec_b64 s[52:53], s[46:47]
	s_xor_b64 s[46:47], exec, s[52:53]
	s_cbranch_execz .LBB3_31
; %bb.30:                               ;   in Loop: Header=BB3_3 Depth=1
	v_cvt_f32_u32_e32 v4, v20
	v_mov_b32_e32 v18, 0x2f800000
	v_lshlrev_b64 v[14:15], 3, v[14:15]
	v_add_co_u32_e32 v14, vcc, s12, v14
	v_fmac_f32_e32 v18, 0x2f800000, v4
	v_mov_b32_e32 v4, s13
	v_addc_co_u32_e32 v15, vcc, v4, v15, vcc
	v_cvt_f64_f32_e32 v[18:19], v18
	v_cmp_ge_f64_e32 vcc, v[16:17], v[18:19]
	v_cndmask_b32_e32 v17, 0, v38, vcc
	v_mov_b32_e32 v16, v5
	s_mov_b64 s[4:5], exec
	global_store_dwordx2 v[14:15], v[16:17], off
.LBB3_31:                               ;   in Loop: Header=BB3_3 Depth=1
	s_or_b64 exec, exec, s[46:47]
	s_andn2_b64 s[54:55], s[6:7], exec
	s_or_b64 s[6:7], s[6:7], exec
	s_andn2_b64 s[50:51], s[50:51], exec
	s_and_b64 s[52:53], s[4:5], exec
.LBB3_32:                               ;   in Loop: Header=BB3_3 Depth=1
	s_or_b64 exec, exec, s[44:45]
	s_and_b64 s[46:47], s[54:55], exec
	s_and_b64 s[44:45], s[6:7], exec
	;; [unrolled: 1-line block ×4, first 2 shown]
.LBB3_33:                               ;   in Loop: Header=BB3_3 Depth=1
	s_andn2_saveexec_b64 s[4:5], s[48:49]
; %bb.34:                               ;   in Loop: Header=BB3_3 Depth=1
	v_cmp_lt_i32_e32 vcc, 1, v21
	s_andn2_b64 s[48:49], s[54:55], exec
	s_and_b64 s[50:51], vcc, exec
	s_mov_b64 s[42:43], exec
	s_andn2_b64 s[46:47], s[46:47], exec
	s_andn2_b64 s[44:45], s[44:45], exec
	;; [unrolled: 1-line block ×3, first 2 shown]
	s_or_b64 s[54:55], s[48:49], s[50:51]
; %bb.35:                               ;   in Loop: Header=BB3_3 Depth=1
	s_or_b64 exec, exec, s[4:5]
	s_mov_b64 s[4:5], 0
	s_mov_b64 s[50:51], 0
	;; [unrolled: 1-line block ×3, first 2 shown]
	s_and_saveexec_b64 s[52:53], s[54:55]
	s_cbranch_execnz .LBB3_38
; %bb.36:                               ;   in Loop: Header=BB3_3 Depth=1
	s_or_b64 exec, exec, s[52:53]
	s_and_saveexec_b64 s[2:3], s[42:43]
	s_cbranch_execnz .LBB3_41
.LBB3_37:                               ;   in Loop: Header=BB3_3 Depth=1
	s_or_b64 exec, exec, s[2:3]
	s_and_saveexec_b64 s[2:3], s[50:51]
	s_cbranch_execnz .LBB3_42
	s_branch .LBB3_45
.LBB3_38:                               ;   in Loop: Header=BB3_3 Depth=1
	v_add_u32_e32 v4, s58, v35
	v_cndmask_b32_e64 v4, 0, v4, s[2:3]
	v_lshlrev_b64 v[14:15], 3, v[4:5]
	v_mov_b32_e32 v4, s17
	v_add_co_u32_e32 v14, vcc, s16, v14
	v_addc_co_u32_e32 v15, vcc, v4, v15, vcc
	global_load_dwordx2 v[14:15], v[14:15], off
	s_waitcnt vmcnt(0)
	v_cmp_le_f64_e32 vcc, 0, v[14:15]
	v_cmp_ge_f64_e64 s[2:3], 1.0, v[14:15]
	s_and_b64 s[48:49], vcc, s[2:3]
	s_mov_b64 s[2:3], 0
	s_and_saveexec_b64 s[50:51], s[48:49]
	s_xor_b64 s[48:49], exec, s[50:51]
	s_cbranch_execz .LBB3_40
; %bb.39:                               ;   in Loop: Header=BB3_3 Depth=1
	v_cvt_f32_u32_e32 v4, v13
	v_mov_b32_e32 v13, 0x2f800000
	v_lshlrev_b64 v[10:11], 3, v[10:11]
	v_add_co_u32_e32 v10, vcc, s12, v10
	v_fmac_f32_e32 v13, 0x2f800000, v4
	v_mov_b32_e32 v4, s13
	v_addc_co_u32_e32 v11, vcc, v4, v11, vcc
	v_cvt_f64_f32_e32 v[16:17], v13
	v_cmp_ge_f64_e32 vcc, v[14:15], v[16:17]
	v_cndmask_b32_e32 v15, 0, v38, vcc
	v_mov_b32_e32 v14, v5
	s_mov_b64 s[2:3], exec
	global_store_dwordx2 v[10:11], v[14:15], off
.LBB3_40:                               ;   in Loop: Header=BB3_3 Depth=1
	s_or_b64 exec, exec, s[48:49]
	s_andn2_b64 s[48:49], s[46:47], exec
	s_or_b64 s[46:47], s[46:47], exec
	s_andn2_b64 s[44:45], s[44:45], exec
	s_andn2_b64 s[6:7], s[6:7], exec
	s_and_b64 s[50:51], s[2:3], exec
	s_andn2_b64 s[42:43], s[42:43], exec
	s_or_b64 exec, exec, s[52:53]
	s_and_saveexec_b64 s[2:3], s[42:43]
	s_cbranch_execz .LBB3_37
.LBB3_41:                               ;   in Loop: Header=BB3_3 Depth=1
	v_cmp_eq_u32_e32 vcc, 1, v21
	s_andn2_b64 s[42:43], s[50:51], exec
	s_and_b64 s[50:51], vcc, exec
	s_mov_b64 s[4:5], exec
	s_andn2_b64 s[48:49], s[48:49], exec
	s_andn2_b64 s[46:47], s[46:47], exec
	;; [unrolled: 1-line block ×4, first 2 shown]
	s_or_b64 s[50:51], s[42:43], s[50:51]
	s_or_b64 exec, exec, s[2:3]
	s_and_saveexec_b64 s[2:3], s[50:51]
	s_cbranch_execz .LBB3_45
.LBB3_42:                               ;   in Loop: Header=BB3_3 Depth=1
	v_add_u32_e32 v4, s58, v34
	v_cndmask_b32_e64 v4, 0, v4, s[0:1]
	v_lshlrev_b64 v[10:11], 3, v[4:5]
	v_mov_b32_e32 v4, s17
	v_add_co_u32_e32 v10, vcc, s16, v10
	v_addc_co_u32_e32 v11, vcc, v4, v11, vcc
	global_load_dwordx2 v[10:11], v[10:11], off
	s_waitcnt vmcnt(0)
	v_cmp_le_f64_e32 vcc, 0, v[10:11]
	v_cmp_ge_f64_e64 s[0:1], 1.0, v[10:11]
	s_and_b64 s[50:51], vcc, s[0:1]
	s_mov_b64 s[0:1], 0
	s_and_saveexec_b64 s[42:43], s[50:51]
	s_cbranch_execz .LBB3_44
; %bb.43:                               ;   in Loop: Header=BB3_3 Depth=1
	v_cvt_f32_u32_e32 v4, v12
	v_mov_b32_e32 v12, 0x2f800000
	v_lshlrev_b64 v[8:9], 3, v[8:9]
	v_add_co_u32_e32 v8, vcc, s12, v8
	v_fmac_f32_e32 v12, 0x2f800000, v4
	v_mov_b32_e32 v4, s13
	v_addc_co_u32_e32 v9, vcc, v4, v9, vcc
	v_cvt_f64_f32_e32 v[12:13], v12
	v_cmp_ge_f64_e32 vcc, v[10:11], v[12:13]
	s_mov_b64 s[0:1], exec
	v_cndmask_b32_e32 v11, 0, v38, vcc
	v_mov_b32_e32 v10, v5
	global_store_dwordx2 v[8:9], v[10:11], off
.LBB3_44:                               ;   in Loop: Header=BB3_3 Depth=1
	s_or_b64 exec, exec, s[42:43]
	s_andn2_b64 s[4:5], s[4:5], exec
	s_and_b64 s[0:1], s[0:1], exec
	s_or_b64 s[48:49], s[48:49], exec
	s_andn2_b64 s[46:47], s[46:47], exec
	s_andn2_b64 s[44:45], s[44:45], exec
	;; [unrolled: 1-line block ×3, first 2 shown]
	s_or_b64 s[4:5], s[4:5], s[0:1]
.LBB3_45:                               ;   in Loop: Header=BB3_3 Depth=1
	s_or_b64 exec, exec, s[2:3]
	s_andn2_b64 s[2:3], s[40:41], exec
	s_and_b64 s[40:41], s[48:49], exec
	s_or_b64 s[40:41], s[2:3], s[40:41]
	s_andn2_b64 s[2:3], s[38:39], exec
	s_and_b64 s[38:39], s[46:47], exec
	s_or_b64 s[38:39], s[2:3], s[38:39]
	;; [unrolled: 3-line block ×3, first 2 shown]
	s_andn2_b64 s[2:3], s[34:35], exec
	s_and_b64 s[6:7], s[6:7], exec
	s_mov_b64 s[0:1], -1
	s_or_b64 s[34:35], s[2:3], s[6:7]
	s_and_saveexec_b64 s[2:3], s[4:5]
	s_cbranch_execz .LBB3_2
; %bb.46:                               ;   in Loop: Header=BB3_3 Depth=1
	v_add_u32_e32 v0, s59, v0
	v_cmp_le_u32_e32 vcc, s33, v0
	v_subrev_u32_e32 v7, s59, v7
	s_add_i32 s58, s58, s61
	s_andn2_b64 s[40:41], s[40:41], exec
	s_andn2_b64 s[38:39], s[38:39], exec
	;; [unrolled: 1-line block ×4, first 2 shown]
	s_orn2_b64 s[0:1], vcc, exec
	s_branch .LBB3_2
.LBB3_47:
	s_or_b64 exec, exec, s[24:25]
	s_xor_b64 s[6:7], s[30:31], -1
	s_xor_b64 s[8:9], s[28:29], -1
	s_xor_b64 s[0:1], s[26:27], -1
	s_mov_b64 s[2:3], 0
	s_and_saveexec_b64 s[4:5], s[0:1]
	s_xor_b64 s[0:1], exec, s[4:5]
	s_cbranch_execnz .LBB3_52
; %bb.48:
	s_andn2_saveexec_b64 s[0:1], s[0:1]
	s_cbranch_execnz .LBB3_60
.LBB3_49:
	s_or_b64 exec, exec, s[0:1]
	s_and_b64 exec, exec, s[2:3]
.LBB3_50:
	; divergent unreachable
.LBB3_51:
	s_endpgm
.LBB3_52:
	s_mov_b64 s[4:5], 0
	s_and_saveexec_b64 s[2:3], s[8:9]
	s_xor_b64 s[2:3], exec, s[2:3]
	s_cbranch_execz .LBB3_58
; %bb.53:
	s_and_saveexec_b64 s[8:9], s[6:7]
	s_xor_b64 s[6:7], exec, s[8:9]
	s_cbranch_execz .LBB3_56
; %bb.54:
	s_and_saveexec_b64 s[8:9], s[20:21]
	s_xor_b64 s[8:9], exec, s[8:9]
	s_cbranch_execnz .LBB3_63
.LBB3_55:
	s_or_b64 exec, exec, s[8:9]
	s_and_b64 s[4:5], s[4:5], exec
.LBB3_56:
	s_andn2_saveexec_b64 s[6:7], s[6:7]
	s_cbranch_execnz .LBB3_62
.LBB3_57:
	s_or_b64 exec, exec, s[6:7]
	s_and_b64 s[4:5], s[4:5], exec
.LBB3_58:
	s_andn2_saveexec_b64 s[2:3], s[2:3]
	s_cbranch_execnz .LBB3_61
.LBB3_59:
	s_or_b64 exec, exec, s[2:3]
	s_and_b64 s[2:3], s[4:5], exec
	s_andn2_saveexec_b64 s[0:1], s[0:1]
	s_cbranch_execz .LBB3_49
.LBB3_60:
	s_or_b64 s[2:3], s[2:3], exec
	s_trap 2
	s_or_b64 exec, exec, s[0:1]
	s_and_b64 exec, exec, s[2:3]
	s_cbranch_execnz .LBB3_50
	s_branch .LBB3_51
.LBB3_61:
	s_or_b64 s[4:5], s[4:5], exec
	s_trap 2
	s_branch .LBB3_59
.LBB3_62:
	s_trap 2
	s_or_b64 s[4:5], s[4:5], exec
	s_branch .LBB3_57
.LBB3_63:
	s_mov_b64 s[4:5], exec
	s_trap 2
	s_branch .LBB3_55
	.section	.rodata,"a",@progbits
	.p2align	6, 0x0
	.amdhsa_kernel _ZN2at4cuda12_GLOBAL__N_121kernelPointwiseApply2IZNS_6native9templates4cuda28bernoulli_tensor_cuda_kernelIddEEvRKNS_10TensorBaseES9_NS_15PhiloxCudaStateEEUliRdSB_SB_SB_RKdSD_SD_SD_E_dSC_jLi2ELi1ELi4ELi512ELi2EEEvNS0_6detail10TensorInfoIT0_T2_EENSG_IT1_SI_EESI_T_
		.amdhsa_group_segment_fixed_size 0
		.amdhsa_private_segment_fixed_size 0
		.amdhsa_kernarg_size 728
		.amdhsa_user_sgpr_count 6
		.amdhsa_user_sgpr_private_segment_buffer 1
		.amdhsa_user_sgpr_dispatch_ptr 0
		.amdhsa_user_sgpr_queue_ptr 0
		.amdhsa_user_sgpr_kernarg_segment_ptr 1
		.amdhsa_user_sgpr_dispatch_id 0
		.amdhsa_user_sgpr_flat_scratch_init 0
		.amdhsa_user_sgpr_kernarg_preload_length 0
		.amdhsa_user_sgpr_kernarg_preload_offset 0
		.amdhsa_user_sgpr_private_segment_size 0
		.amdhsa_uses_dynamic_stack 0
		.amdhsa_system_sgpr_private_segment_wavefront_offset 0
		.amdhsa_system_sgpr_workgroup_id_x 1
		.amdhsa_system_sgpr_workgroup_id_y 0
		.amdhsa_system_sgpr_workgroup_id_z 0
		.amdhsa_system_sgpr_workgroup_info 0
		.amdhsa_system_vgpr_workitem_id 0
		.amdhsa_next_free_vgpr 56
		.amdhsa_next_free_sgpr 64
		.amdhsa_accum_offset 56
		.amdhsa_reserve_vcc 1
		.amdhsa_reserve_flat_scratch 0
		.amdhsa_float_round_mode_32 0
		.amdhsa_float_round_mode_16_64 0
		.amdhsa_float_denorm_mode_32 3
		.amdhsa_float_denorm_mode_16_64 3
		.amdhsa_dx10_clamp 1
		.amdhsa_ieee_mode 1
		.amdhsa_fp16_overflow 0
		.amdhsa_tg_split 0
		.amdhsa_exception_fp_ieee_invalid_op 0
		.amdhsa_exception_fp_denorm_src 0
		.amdhsa_exception_fp_ieee_div_zero 0
		.amdhsa_exception_fp_ieee_overflow 0
		.amdhsa_exception_fp_ieee_underflow 0
		.amdhsa_exception_fp_ieee_inexact 0
		.amdhsa_exception_int_div_zero 0
	.end_amdhsa_kernel
	.section	.text._ZN2at4cuda12_GLOBAL__N_121kernelPointwiseApply2IZNS_6native9templates4cuda28bernoulli_tensor_cuda_kernelIddEEvRKNS_10TensorBaseES9_NS_15PhiloxCudaStateEEUliRdSB_SB_SB_RKdSD_SD_SD_E_dSC_jLi2ELi1ELi4ELi512ELi2EEEvNS0_6detail10TensorInfoIT0_T2_EENSG_IT1_SI_EESI_T_,"axG",@progbits,_ZN2at4cuda12_GLOBAL__N_121kernelPointwiseApply2IZNS_6native9templates4cuda28bernoulli_tensor_cuda_kernelIddEEvRKNS_10TensorBaseES9_NS_15PhiloxCudaStateEEUliRdSB_SB_SB_RKdSD_SD_SD_E_dSC_jLi2ELi1ELi4ELi512ELi2EEEvNS0_6detail10TensorInfoIT0_T2_EENSG_IT1_SI_EESI_T_,comdat
.Lfunc_end3:
	.size	_ZN2at4cuda12_GLOBAL__N_121kernelPointwiseApply2IZNS_6native9templates4cuda28bernoulli_tensor_cuda_kernelIddEEvRKNS_10TensorBaseES9_NS_15PhiloxCudaStateEEUliRdSB_SB_SB_RKdSD_SD_SD_E_dSC_jLi2ELi1ELi4ELi512ELi2EEEvNS0_6detail10TensorInfoIT0_T2_EENSG_IT1_SI_EESI_T_, .Lfunc_end3-_ZN2at4cuda12_GLOBAL__N_121kernelPointwiseApply2IZNS_6native9templates4cuda28bernoulli_tensor_cuda_kernelIddEEvRKNS_10TensorBaseES9_NS_15PhiloxCudaStateEEUliRdSB_SB_SB_RKdSD_SD_SD_E_dSC_jLi2ELi1ELi4ELi512ELi2EEEvNS0_6detail10TensorInfoIT0_T2_EENSG_IT1_SI_EESI_T_
                                        ; -- End function
	.section	.AMDGPU.csdata,"",@progbits
; Kernel info:
; codeLenInByte = 3048
; NumSgprs: 68
; NumVgprs: 56
; NumAgprs: 0
; TotalNumVgprs: 56
; ScratchSize: 0
; MemoryBound: 0
; FloatMode: 240
; IeeeMode: 1
; LDSByteSize: 0 bytes/workgroup (compile time only)
; SGPRBlocks: 8
; VGPRBlocks: 6
; NumSGPRsForWavesPerEU: 68
; NumVGPRsForWavesPerEU: 56
; AccumOffset: 56
; Occupancy: 8
; WaveLimiterHint : 1
; COMPUTE_PGM_RSRC2:SCRATCH_EN: 0
; COMPUTE_PGM_RSRC2:USER_SGPR: 6
; COMPUTE_PGM_RSRC2:TRAP_HANDLER: 0
; COMPUTE_PGM_RSRC2:TGID_X_EN: 1
; COMPUTE_PGM_RSRC2:TGID_Y_EN: 0
; COMPUTE_PGM_RSRC2:TGID_Z_EN: 0
; COMPUTE_PGM_RSRC2:TIDIG_COMP_CNT: 0
; COMPUTE_PGM_RSRC3_GFX90A:ACCUM_OFFSET: 13
; COMPUTE_PGM_RSRC3_GFX90A:TG_SPLIT: 0
	.section	.text._ZN2at4cuda12_GLOBAL__N_121kernelPointwiseApply2IZNS_6native9templates4cuda28bernoulli_tensor_cuda_kernelIddEEvRKNS_10TensorBaseES9_NS_15PhiloxCudaStateEEUliRdSB_SB_SB_RKdSD_SD_SD_E_dSC_jLi2ELi2ELi4ELi512ELi2EEEvNS0_6detail10TensorInfoIT0_T2_EENSG_IT1_SI_EESI_T_,"axG",@progbits,_ZN2at4cuda12_GLOBAL__N_121kernelPointwiseApply2IZNS_6native9templates4cuda28bernoulli_tensor_cuda_kernelIddEEvRKNS_10TensorBaseES9_NS_15PhiloxCudaStateEEUliRdSB_SB_SB_RKdSD_SD_SD_E_dSC_jLi2ELi2ELi4ELi512ELi2EEEvNS0_6detail10TensorInfoIT0_T2_EENSG_IT1_SI_EESI_T_,comdat
	.globl	_ZN2at4cuda12_GLOBAL__N_121kernelPointwiseApply2IZNS_6native9templates4cuda28bernoulli_tensor_cuda_kernelIddEEvRKNS_10TensorBaseES9_NS_15PhiloxCudaStateEEUliRdSB_SB_SB_RKdSD_SD_SD_E_dSC_jLi2ELi2ELi4ELi512ELi2EEEvNS0_6detail10TensorInfoIT0_T2_EENSG_IT1_SI_EESI_T_ ; -- Begin function _ZN2at4cuda12_GLOBAL__N_121kernelPointwiseApply2IZNS_6native9templates4cuda28bernoulli_tensor_cuda_kernelIddEEvRKNS_10TensorBaseES9_NS_15PhiloxCudaStateEEUliRdSB_SB_SB_RKdSD_SD_SD_E_dSC_jLi2ELi2ELi4ELi512ELi2EEEvNS0_6detail10TensorInfoIT0_T2_EENSG_IT1_SI_EESI_T_
	.p2align	8
	.type	_ZN2at4cuda12_GLOBAL__N_121kernelPointwiseApply2IZNS_6native9templates4cuda28bernoulli_tensor_cuda_kernelIddEEvRKNS_10TensorBaseES9_NS_15PhiloxCudaStateEEUliRdSB_SB_SB_RKdSD_SD_SD_E_dSC_jLi2ELi2ELi4ELi512ELi2EEEvNS0_6detail10TensorInfoIT0_T2_EENSG_IT1_SI_EESI_T_,@function
_ZN2at4cuda12_GLOBAL__N_121kernelPointwiseApply2IZNS_6native9templates4cuda28bernoulli_tensor_cuda_kernelIddEEvRKNS_10TensorBaseES9_NS_15PhiloxCudaStateEEUliRdSB_SB_SB_RKdSD_SD_SD_E_dSC_jLi2ELi2ELi4ELi512ELi2EEEvNS0_6detail10TensorInfoIT0_T2_EENSG_IT1_SI_EESI_T_: ; @_ZN2at4cuda12_GLOBAL__N_121kernelPointwiseApply2IZNS_6native9templates4cuda28bernoulli_tensor_cuda_kernelIddEEvRKNS_10TensorBaseES9_NS_15PhiloxCudaStateEEUliRdSB_SB_SB_RKdSD_SD_SD_E_dSC_jLi2ELi2ELi4ELi512ELi2EEEvNS0_6detail10TensorInfoIT0_T2_EENSG_IT1_SI_EESI_T_
; %bb.0:
	s_load_dword s2, s[4:5], 0x1e4
	s_load_dword s33, s[4:5], 0x1b0
	s_add_u32 s0, s4, 0x1d8
	s_addc_u32 s1, s5, 0
	s_waitcnt lgkmcnt(0)
	s_and_b32 s18, s2, 0xffff
	s_mul_i32 s6, s6, s18
	v_add_u32_e32 v1, s6, v0
	v_lshlrev_b32_e32 v0, 2, v1
	v_cmp_gt_u32_e32 vcc, s33, v0
	s_and_saveexec_b64 s[2:3], vcc
	s_cbranch_execz .LBB4_59
; %bb.1:
	s_load_dwordx2 s[2:3], s[4:5], 0x0
	s_load_dword s54, s[4:5], 0xc
	s_load_dwordx2 s[6:7], s[4:5], 0x6c
	s_load_dwordx2 s[12:13], s[4:5], 0xd8
	s_load_dword s19, s[0:1], 0x0
	s_load_dword s20, s[4:5], 0x1d0
	s_load_dword s55, s[4:5], 0xe4
	s_load_dwordx2 s[14:15], s[4:5], 0x144
	s_load_dwordx2 s[16:17], s[4:5], 0x1c8
	s_load_dwordx4 s[8:11], s[4:5], 0x1b8
	s_waitcnt lgkmcnt(0)
	v_cvt_f32_u32_e32 v4, s54
	v_cvt_f32_u32_e32 v7, s55
	s_mov_b32 s56, 0xcd9e8d57
	v_mad_u64_u32 v[2:3], s[0:1], v1, s56, 0
	v_rcp_iflag_f32_e32 v4, v4
	v_mov_b32_e32 v6, v3
	s_bitcmp1_b32 s20, 0
	s_cselect_b64 s[4:5], -1, 0
	v_mul_f32_e32 v3, 0x4f7ffffe, v4
	v_rcp_iflag_f32_e32 v4, v7
	v_cvt_u32_f32_e32 v3, v3
	s_sub_i32 s58, 0, s54
	s_sub_i32 s59, 0, s55
	v_mul_f32_e32 v4, 0x4f7ffffe, v4
	v_cvt_u32_f32_e32 v4, v4
	v_mul_lo_u32 v7, s58, v3
	v_mul_hi_u32 v7, v3, v7
	v_add_u32_e32 v3, v3, v7
	v_mul_lo_u32 v7, s59, v4
	s_mul_i32 s19, s19, s18
	v_mul_hi_u32 v7, v4, v7
	v_mov_b32_e32 v5, 0
	s_lshl_b32 s57, s19, 2
	v_add_u32_e32 v7, v4, v7
	v_sub_u32_e32 v38, s33, v0
	s_mov_b64 s[20:21], 0
	s_mov_b32 s60, 0xd2511f53
	s_mov_b32 s61, 0xf1bbcdc8
	v_mov_b32_e32 v39, 0x3ff00000
                                        ; implicit-def: $sgpr22_sgpr23
                                        ; implicit-def: $sgpr24_sgpr25
                                        ; implicit-def: $sgpr26_sgpr27
                                        ; implicit-def: $sgpr18_sgpr19
                                        ; implicit-def: $sgpr28_sgpr29
                                        ; implicit-def: $sgpr30_sgpr31
                                        ; implicit-def: $sgpr34_sgpr35
                                        ; implicit-def: $sgpr36_sgpr37
	s_branch .LBB4_3
.LBB4_2:                                ;   in Loop: Header=BB4_3 Depth=1
	s_or_b64 exec, exec, s[38:39]
	s_and_b64 s[0:1], exec, s[0:1]
	s_or_b64 s[20:21], s[0:1], s[20:21]
	s_andn2_b64 s[0:1], s[18:19], exec
	s_and_b64 s[18:19], s[36:37], exec
	s_or_b64 s[18:19], s[0:1], s[18:19]
	s_andn2_b64 s[0:1], s[26:27], exec
	s_and_b64 s[26:27], s[34:35], exec
	;; [unrolled: 3-line block ×4, first 2 shown]
	s_or_b64 s[22:23], s[0:1], s[22:23]
	s_andn2_b64 exec, exec, s[20:21]
	s_cbranch_execz .LBB4_55
.LBB4_3:                                ; =>This Inner Loop Header: Depth=1
	v_cmp_lt_i32_e32 vcc, 0, v38
	v_mov_b32_e32 v8, 0
	s_and_saveexec_b64 s[38:39], vcc
	s_cbranch_execz .LBB4_5
; %bb.4:                                ;   in Loop: Header=BB4_3 Depth=1
	v_mul_hi_u32 v4, v3, v0
	v_not_b32_e32 v10, v4
	v_mad_u64_u32 v[8:9], s[0:1], s58, v4, v[0:1]
	v_add_u32_e32 v9, 1, v4
	v_cmp_le_u32_e64 s[0:1], s54, v8
	v_mad_u64_u32 v[10:11], s[40:41], s54, v10, v[0:1]
	v_cndmask_b32_e64 v4, v4, v9, s[0:1]
	v_cndmask_b32_e64 v8, v8, v10, s[0:1]
	v_add_u32_e32 v9, 1, v4
	v_cmp_le_u32_e64 s[0:1], s54, v8
	v_cndmask_b32_e64 v10, v4, v9, s[0:1]
	v_mad_u64_u32 v[8:9], s[0:1], s58, v10, v[0:1]
	v_mul_lo_u32 v4, v8, s7
	v_mad_u64_u32 v[8:9], s[0:1], v10, s6, v[4:5]
.LBB4_5:                                ;   in Loop: Header=BB4_3 Depth=1
	s_or_b64 exec, exec, s[38:39]
	v_mov_b32_e32 v4, 0
	s_and_saveexec_b64 s[0:1], vcc
	s_cbranch_execz .LBB4_7
; %bb.6:                                ;   in Loop: Header=BB4_3 Depth=1
	v_mul_hi_u32 v4, v7, v0
	v_not_b32_e32 v9, v4
	v_mad_u64_u32 v[10:11], s[38:39], s59, v4, v[0:1]
	v_add_u32_e32 v11, 1, v4
	v_cmp_le_u32_e32 vcc, s55, v10
	v_mad_u64_u32 v[12:13], s[38:39], s55, v9, v[0:1]
	v_cndmask_b32_e32 v4, v4, v11, vcc
	v_cndmask_b32_e32 v9, v10, v12, vcc
	v_add_u32_e32 v10, 1, v4
	v_cmp_le_u32_e32 vcc, s55, v9
	v_cndmask_b32_e32 v9, v4, v10, vcc
	v_mad_u64_u32 v[10:11], s[38:39], s59, v9, v[0:1]
	v_mul_lo_u32 v4, v10, s15
	v_mad_u64_u32 v[10:11], s[38:39], v9, s14, v[4:5]
	v_mov_b32_e32 v4, v10
.LBB4_7:                                ;   in Loop: Header=BB4_3 Depth=1
	s_or_b64 exec, exec, s[0:1]
	v_pk_mov_b32 v[12:13], 0, 0
	v_add_u32_e32 v9, 1, v0
	v_cmp_lt_i32_e32 vcc, 1, v38
	v_pk_mov_b32 v[10:11], v[12:13], v[12:13] op_sel:[0,1]
	s_and_saveexec_b64 s[38:39], vcc
	s_cbranch_execz .LBB4_9
; %bb.8:                                ;   in Loop: Header=BB4_3 Depth=1
	v_mul_hi_u32 v10, v9, v3
	v_mul_lo_u32 v11, v10, s54
	v_sub_u32_e32 v11, v9, v11
	v_add_u32_e32 v14, 1, v10
	v_cmp_le_u32_e64 s[0:1], s54, v11
	v_cndmask_b32_e64 v10, v10, v14, s[0:1]
	v_subrev_u32_e32 v14, s54, v11
	v_cndmask_b32_e64 v11, v11, v14, s[0:1]
	v_add_u32_e32 v14, 1, v10
	v_cmp_le_u32_e64 s[0:1], s54, v11
	v_cndmask_b32_e64 v11, v10, v14, s[0:1]
	v_mul_lo_u32 v10, v11, s54
	v_sub_u32_e32 v10, v9, v10
	v_mul_lo_u32 v10, v10, s7
	v_mad_u64_u32 v[10:11], s[0:1], v11, s6, v[10:11]
	v_mov_b32_e32 v11, v5
.LBB4_9:                                ;   in Loop: Header=BB4_3 Depth=1
	s_or_b64 exec, exec, s[38:39]
	s_and_saveexec_b64 s[0:1], vcc
	s_cbranch_execz .LBB4_11
; %bb.10:                               ;   in Loop: Header=BB4_3 Depth=1
	v_mul_hi_u32 v12, v9, v7
	v_mul_lo_u32 v13, v12, s55
	v_sub_u32_e32 v13, v9, v13
	v_add_u32_e32 v14, 1, v12
	v_cmp_le_u32_e32 vcc, s55, v13
	v_cndmask_b32_e32 v12, v12, v14, vcc
	v_subrev_u32_e32 v14, s55, v13
	v_cndmask_b32_e32 v13, v13, v14, vcc
	v_add_u32_e32 v14, 1, v12
	v_cmp_le_u32_e32 vcc, s55, v13
	v_cndmask_b32_e32 v13, v12, v14, vcc
	v_mul_lo_u32 v12, v13, s55
	v_sub_u32_e32 v9, v9, v12
	v_mul_lo_u32 v12, v9, s15
	v_mad_u64_u32 v[12:13], s[38:39], v13, s14, v[12:13]
	v_mov_b32_e32 v13, v5
.LBB4_11:                               ;   in Loop: Header=BB4_3 Depth=1
	s_or_b64 exec, exec, s[0:1]
	v_pk_mov_b32 v[18:19], 0, 0
	v_add_u32_e32 v9, 2, v0
	v_cmp_lt_i32_e32 vcc, 2, v38
	v_pk_mov_b32 v[16:17], v[18:19], v[18:19] op_sel:[0,1]
	s_and_saveexec_b64 s[38:39], vcc
	s_cbranch_execz .LBB4_13
; %bb.12:                               ;   in Loop: Header=BB4_3 Depth=1
	v_mul_hi_u32 v14, v9, v3
	v_mul_lo_u32 v15, v14, s54
	v_sub_u32_e32 v15, v9, v15
	v_add_u32_e32 v16, 1, v14
	v_cmp_le_u32_e64 s[0:1], s54, v15
	v_cndmask_b32_e64 v14, v14, v16, s[0:1]
	v_subrev_u32_e32 v16, s54, v15
	v_cndmask_b32_e64 v15, v15, v16, s[0:1]
	v_add_u32_e32 v16, 1, v14
	v_cmp_le_u32_e64 s[0:1], s54, v15
	v_cndmask_b32_e64 v15, v14, v16, s[0:1]
	v_mul_lo_u32 v14, v15, s54
	v_sub_u32_e32 v14, v9, v14
	v_mul_lo_u32 v14, v14, s7
	v_mad_u64_u32 v[16:17], s[0:1], v15, s6, v[14:15]
	v_mov_b32_e32 v17, v5
.LBB4_13:                               ;   in Loop: Header=BB4_3 Depth=1
	s_or_b64 exec, exec, s[38:39]
	s_and_saveexec_b64 s[0:1], vcc
	s_cbranch_execz .LBB4_15
; %bb.14:                               ;   in Loop: Header=BB4_3 Depth=1
	v_mul_hi_u32 v14, v9, v7
	v_mul_lo_u32 v15, v14, s55
	v_sub_u32_e32 v15, v9, v15
	v_add_u32_e32 v18, 1, v14
	v_cmp_le_u32_e32 vcc, s55, v15
	v_cndmask_b32_e32 v14, v14, v18, vcc
	v_subrev_u32_e32 v18, s55, v15
	v_cndmask_b32_e32 v15, v15, v18, vcc
	v_add_u32_e32 v18, 1, v14
	v_cmp_le_u32_e32 vcc, s55, v15
	v_cndmask_b32_e32 v15, v14, v18, vcc
	v_mul_lo_u32 v14, v15, s55
	v_sub_u32_e32 v9, v9, v14
	v_mul_lo_u32 v14, v9, s15
	v_mad_u64_u32 v[18:19], s[38:39], v15, s14, v[14:15]
	v_mov_b32_e32 v19, v5
.LBB4_15:                               ;   in Loop: Header=BB4_3 Depth=1
	s_or_b64 exec, exec, s[0:1]
	v_pk_mov_b32 v[14:15], 0, 0
	v_add_u32_e32 v9, 3, v0
	v_cmp_lt_i32_e32 vcc, 3, v38
	v_pk_mov_b32 v[20:21], v[14:15], v[14:15] op_sel:[0,1]
	s_and_saveexec_b64 s[38:39], vcc
	s_cbranch_execz .LBB4_17
; %bb.16:                               ;   in Loop: Header=BB4_3 Depth=1
	v_mul_hi_u32 v20, v9, v3
	v_mul_lo_u32 v21, v20, s54
	v_sub_u32_e32 v21, v9, v21
	s_waitcnt vmcnt(0)
	v_add_u32_e32 v22, 1, v20
	v_cmp_le_u32_e64 s[0:1], s54, v21
	v_cndmask_b32_e64 v20, v20, v22, s[0:1]
	v_subrev_u32_e32 v22, s54, v21
	v_cndmask_b32_e64 v21, v21, v22, s[0:1]
	v_add_u32_e32 v22, 1, v20
	v_cmp_le_u32_e64 s[0:1], s54, v21
	v_cndmask_b32_e64 v21, v20, v22, s[0:1]
	v_mul_lo_u32 v20, v21, s54
	v_sub_u32_e32 v20, v9, v20
	v_mul_lo_u32 v20, v20, s7
	v_mad_u64_u32 v[20:21], s[0:1], v21, s6, v[20:21]
	v_mov_b32_e32 v21, v5
.LBB4_17:                               ;   in Loop: Header=BB4_3 Depth=1
	s_or_b64 exec, exec, s[38:39]
	s_and_saveexec_b64 s[0:1], vcc
	s_cbranch_execz .LBB4_19
; %bb.18:                               ;   in Loop: Header=BB4_3 Depth=1
	v_mul_hi_u32 v14, v9, v7
	v_mul_lo_u32 v15, v14, s55
	v_sub_u32_e32 v15, v9, v15
	s_waitcnt vmcnt(0)
	v_add_u32_e32 v22, 1, v14
	v_cmp_le_u32_e32 vcc, s55, v15
	v_cndmask_b32_e32 v14, v14, v22, vcc
	v_subrev_u32_e32 v22, s55, v15
	v_cndmask_b32_e32 v15, v15, v22, vcc
	v_add_u32_e32 v22, 1, v14
	v_cmp_le_u32_e32 vcc, s55, v15
	v_cndmask_b32_e32 v15, v14, v22, vcc
	v_mul_lo_u32 v14, v15, s55
	v_sub_u32_e32 v9, v9, v14
	v_mul_lo_u32 v14, v9, s15
	v_mad_u64_u32 v[14:15], s[38:39], v15, s14, v[14:15]
	v_mov_b32_e32 v15, v5
.LBB4_19:                               ;   in Loop: Header=BB4_3 Depth=1
	s_or_b64 exec, exec, s[0:1]
	v_lshlrev_b64 v[14:15], 3, v[14:15]
	v_mov_b32_e32 v9, s13
	v_add_co_u32_e32 v14, vcc, s12, v14
	v_addc_co_u32_e32 v15, vcc, v9, v15, vcc
	global_load_dwordx2 v[22:23], v[14:15], off
	s_andn2_b64 vcc, exec, s[4:5]
	v_pk_mov_b32 v[14:15], s[10:11], s[10:11] op_sel:[0,1]
	v_pk_mov_b32 v[24:25], s[8:9], s[8:9] op_sel:[0,1]
	s_cbranch_vccnz .LBB4_21
; %bb.20:                               ;   in Loop: Header=BB4_3 Depth=1
	v_pk_mov_b32 v[14:15], s[10:11], s[10:11] op_sel:[0,1]
	flat_load_dwordx2 v[14:15], v[14:15]
	v_pk_mov_b32 v[24:25], s[8:9], s[8:9] op_sel:[0,1]
	flat_load_dwordx2 v[24:25], v[24:25]
	v_mov_b32_e32 v9, s17
	s_waitcnt vmcnt(0) lgkmcnt(0)
	v_add_co_u32_e32 v14, vcc, s16, v14
	v_addc_co_u32_e32 v15, vcc, v15, v9, vcc
.LBB4_21:                               ;   in Loop: Header=BB4_3 Depth=1
	v_alignbit_b32 v9, v15, v14, 2
	v_lshrrev_b32_e32 v34, 2, v15
	v_xor_b32_e32 v26, v6, v24
	v_and_b32_e32 v40, 3, v14
	v_mad_u64_u32 v[14:15], s[0:1], v9, s60, 0
	v_xor_b32_e32 v26, v26, v34
	v_xor_b32_e32 v15, v15, v25
	v_add_u32_e32 v44, 0xbb67ae85, v25
	v_mad_u64_u32 v[26:27], s[0:1], v26, s60, 0
	v_mad_u64_u32 v[28:29], s[0:1], v15, s56, 0
	v_xor_b32_e32 v27, v44, v27
	v_add_u32_e32 v43, 0x9e3779b9, v24
	v_xor_b32_e32 v15, v2, v29
	v_xor_b32_e32 v27, v27, v14
	v_xor_b32_e32 v15, v15, v43
	v_add_u32_e32 v45, 0x3c6ef372, v24
	v_mad_u64_u32 v[30:31], s[0:1], v27, s56, 0
	v_add_u32_e32 v46, 0x76cf5d0a, v25
	v_mad_u64_u32 v[14:15], s[0:1], v15, s60, 0
	v_xor_b32_e32 v27, v45, v31
	v_xor_b32_e32 v27, v27, v28
	v_xor_b32_e32 v15, v46, v15
	v_xor_b32_e32 v15, v15, v26
	v_add_u32_e32 v48, 0x32370b8f, v25
	v_mad_u64_u32 v[26:27], s[0:1], v27, s60, 0
	v_add_u32_e32 v47, 0xdaa66d2b, v24
	v_mad_u64_u32 v[28:29], s[0:1], v15, s56, 0
	v_xor_b32_e32 v27, v48, v27
	v_xor_b32_e32 v15, v47, v29
	v_xor_b32_e32 v27, v27, v14
	v_xor_b32_e32 v15, v15, v30
	v_add_u32_e32 v49, 0x78dde6e4, v24
	v_mad_u64_u32 v[30:31], s[0:1], v27, s56, 0
	v_add_u32_e32 v50, 0xed9eba14, v25
	v_mad_u64_u32 v[14:15], s[0:1], v15, s60, 0
	v_xor_b32_e32 v27, v49, v31
	v_xor_b32_e32 v27, v27, v28
	v_xor_b32_e32 v15, v50, v15
	v_xor_b32_e32 v15, v15, v26
	v_add_u32_e32 v52, 0xa9066899, v25
	v_mad_u64_u32 v[26:27], s[0:1], v27, s60, 0
	v_add_u32_e32 v51, 0x1715609d, v24
	v_mad_u64_u32 v[28:29], s[0:1], v15, s56, 0
	v_xor_b32_e32 v27, v52, v27
	v_xor_b32_e32 v15, v51, v29
	v_xor_b32_e32 v27, v27, v14
	v_xor_b32_e32 v15, v15, v30
	v_add_u32_e32 v53, 0xb54cda56, v24
	v_mad_u64_u32 v[30:31], s[0:1], v27, s56, 0
	v_add_u32_e32 v54, 0x646e171e, v25
	v_mad_u64_u32 v[14:15], s[0:1], v15, s60, 0
	v_xor_b32_e32 v27, v53, v31
	v_xor_b32_e32 v27, v27, v28
	v_xor_b32_e32 v15, v54, v15
	;; [unrolled: 1-line block ×3, first 2 shown]
	v_add_u32_e32 v56, 0x1fd5c5a3, v25
	v_mad_u64_u32 v[26:27], s[0:1], v27, s60, 0
	v_xor_b32_e32 v27, v56, v27
	v_xor_b32_e32 v14, v27, v14
	v_add_u32_e32 v55, 0x5384540f, v24
	v_mad_u64_u32 v[32:33], s[0:1], v15, s56, 0
	v_add_co_u32_e32 v41, vcc, s61, v24
	v_mad_u64_u32 v[28:29], s[0:1], v14, s56, 0
	v_xor_b32_e32 v15, v55, v33
	v_xor_b32_e32 v14, v41, v29
	;; [unrolled: 1-line block ×4, first 2 shown]
	v_mad_u64_u32 v[30:31], s[0:1], v15, s60, 0
	v_mad_u64_u32 v[14:15], s[0:1], v14, s60, 0
	v_add_co_u32_e32 v9, vcc, 1, v9
	v_xor_b32_e32 v15, v15, v30
	v_cndmask_b32_e64 v30, 0, 1, vcc
	v_addc_co_u32_e32 v36, vcc, 0, v34, vcc
	v_cmp_eq_u32_e32 vcc, 0, v36
	v_cndmask_b32_e32 v30, 0, v30, vcc
	v_add_u32_e32 v34, v30, v1
	v_cmp_eq_u32_e32 vcc, 0, v34
	v_mad_u64_u32 v[32:33], s[0:1], v9, s60, 0
	v_mad_u64_u32 v[34:35], s[0:1], v34, s56, 0
	v_add_u32_e32 v29, 0x8ff34781, v24
	v_cndmask_b32_e32 v30, 0, v30, vcc
	v_xor_b32_e32 v9, v35, v24
	v_xor_b32_e32 v24, v33, v25
	;; [unrolled: 1-line block ×4, first 2 shown]
	v_mad_u64_u32 v[36:37], s[0:1], v30, s56, 0
	v_add_u32_e32 v27, 0xdb3d7428, v25
	v_add_u32_e32 v42, 0x96a522ad, v25
	v_mad_u64_u32 v[24:25], s[0:1], v9, s60, 0
	v_xor_b32_e32 v9, v43, v37
	v_xor_b32_e32 v9, v9, v34
	v_xor_b32_e32 v25, v44, v25
	v_xor_b32_e32 v25, v25, v32
	v_mad_u64_u32 v[32:33], s[0:1], v9, s60, 0
	v_mad_u64_u32 v[34:35], s[0:1], v25, s56, 0
	v_xor_b32_e32 v25, v46, v33
	v_xor_b32_e32 v9, v45, v35
	v_xor_b32_e32 v30, v25, v24
	v_xor_b32_e32 v9, v9, v36
	v_mad_u64_u32 v[36:37], s[0:1], v30, s56, 0
	;; [unrolled: 6-line block ×7, first 2 shown]
	v_xor_b32_e32 v9, v27, v35
	v_xor_b32_e32 v9, v9, v24
	v_mad_u64_u32 v[36:37], s[0:1], v25, s56, 0
	v_mad_u64_u32 v[24:25], s[0:1], v9, s56, 0
	v_xor_b32_e32 v9, v25, v36
	v_xor_b32_e32 v15, v42, v15
	;; [unrolled: 1-line block ×3, first 2 shown]
	v_cmp_lt_i32_e32 vcc, 1, v40
                                        ; implicit-def: $vgpr25
	s_and_saveexec_b64 s[0:1], vcc
	s_xor_b64 s[0:1], exec, s[0:1]
	s_cbranch_execz .LBB4_27
; %bb.22:                               ;   in Loop: Header=BB4_3 Depth=1
	v_cmp_lt_i32_e32 vcc, 2, v40
                                        ; implicit-def: $vgpr25
	s_and_saveexec_b64 s[38:39], vcc
	s_xor_b64 s[38:39], exec, s[38:39]
; %bb.23:                               ;   in Loop: Header=BB4_3 Depth=1
	v_xor_b32_e32 v15, v41, v37
	v_xor_b32_e32 v15, v15, v32
	v_mul_hi_u32 v15, v15, s60
	v_xor_b32_e32 v15, v15, v34
	v_xor_b32_e32 v25, v42, v15
                                        ; implicit-def: $vgpr15
; %bb.24:                               ;   in Loop: Header=BB4_3 Depth=1
	s_andn2_saveexec_b64 s[38:39], s[38:39]
; %bb.25:                               ;   in Loop: Header=BB4_3 Depth=1
	v_mov_b32_e32 v25, v24
	v_mov_b32_e32 v24, v9
	;; [unrolled: 1-line block ×4, first 2 shown]
; %bb.26:                               ;   in Loop: Header=BB4_3 Depth=1
	s_or_b64 exec, exec, s[38:39]
                                        ; implicit-def: $vgpr26_vgpr27
                                        ; implicit-def: $vgpr28_vgpr29
                                        ; implicit-def: $vgpr40
                                        ; implicit-def: $vgpr15
                                        ; implicit-def: $vgpr30_vgpr31
                                        ; implicit-def: $vgpr27
                                        ; implicit-def: $vgpr29
.LBB4_27:                               ;   in Loop: Header=BB4_3 Depth=1
	s_andn2_saveexec_b64 s[0:1], s[0:1]
	s_cbranch_execz .LBB4_31
; %bb.28:                               ;   in Loop: Header=BB4_3 Depth=1
	v_xor_b32_e32 v24, v27, v31
	v_xor_b32_e32 v24, v24, v26
	v_mad_u64_u32 v[26:27], s[38:39], v24, s56, 0
	v_xor_b32_e32 v24, v27, v28
	v_xor_b32_e32 v27, v29, v24
	v_cmp_eq_u32_e32 vcc, 1, v40
	v_mov_b32_e32 v25, v14
	v_mov_b32_e32 v24, v15
	v_mov_b32_e32 v28, v26
	s_and_saveexec_b64 s[38:39], vcc
; %bb.29:                               ;   in Loop: Header=BB4_3 Depth=1
	v_mov_b32_e32 v25, v9
	v_mov_b32_e32 v24, v14
	v_mov_b32_e32 v28, v15
	v_mov_b32_e32 v27, v26
; %bb.30:                               ;   in Loop: Header=BB4_3 Depth=1
	s_or_b64 exec, exec, s[38:39]
	v_mov_b32_e32 v14, v27
	v_mov_b32_e32 v9, v28
.LBB4_31:                               ;   in Loop: Header=BB4_3 Depth=1
	s_or_b64 exec, exec, s[0:1]
	v_min_i32_e32 v15, 4, v38
	v_cmp_lt_i32_e32 vcc, 2, v15
	s_mov_b64 s[38:39], 0
	s_mov_b64 s[52:53], 0
                                        ; implicit-def: $sgpr40_sgpr41
                                        ; implicit-def: $sgpr42_sgpr43
                                        ; implicit-def: $sgpr44_sgpr45
	s_and_saveexec_b64 s[0:1], vcc
	s_xor_b64 s[46:47], exec, s[0:1]
	s_cbranch_execz .LBB4_41
; %bb.32:                               ;   in Loop: Header=BB4_3 Depth=1
	v_cmp_lt_i32_e32 vcc, 3, v15
	s_mov_b64 s[44:45], -1
                                        ; implicit-def: $sgpr40_sgpr41
                                        ; implicit-def: $sgpr48_sgpr49
	s_and_saveexec_b64 s[42:43], vcc
	s_cbranch_execz .LBB4_36
; %bb.33:                               ;   in Loop: Header=BB4_3 Depth=1
	s_waitcnt vmcnt(0)
	v_cmp_le_f64_e32 vcc, 0, v[22:23]
	v_cmp_ge_f64_e64 s[0:1], 1.0, v[22:23]
	s_and_b64 s[48:49], vcc, s[0:1]
	s_mov_b64 s[40:41], 0
	s_mov_b64 s[0:1], 0
	s_and_saveexec_b64 s[44:45], s[48:49]
	s_cbranch_execz .LBB4_35
; %bb.34:                               ;   in Loop: Header=BB4_3 Depth=1
	v_cvt_f32_u32_e32 v25, v25
	v_mov_b32_e32 v26, 0x2f800000
	v_lshlrev_b64 v[20:21], 3, v[20:21]
	v_add_co_u32_e32 v20, vcc, s2, v20
	v_fmac_f32_e32 v26, 0x2f800000, v25
	v_mov_b32_e32 v25, s3
	v_addc_co_u32_e32 v21, vcc, v25, v21, vcc
	v_cvt_f64_f32_e32 v[26:27], v26
	v_cmp_ge_f64_e32 vcc, v[22:23], v[26:27]
	s_mov_b64 s[0:1], exec
	v_cndmask_b32_e32 v23, 0, v39, vcc
	v_mov_b32_e32 v22, v5
	global_store_dwordx2 v[20:21], v[22:23], off
.LBB4_35:                               ;   in Loop: Header=BB4_3 Depth=1
	s_or_b64 exec, exec, s[44:45]
	s_mov_b64 s[48:49], -1
	s_orn2_b64 s[44:45], s[0:1], exec
.LBB4_36:                               ;   in Loop: Header=BB4_3 Depth=1
	s_or_b64 exec, exec, s[42:43]
	s_mov_b64 s[0:1], 0
	s_mov_b64 s[50:51], s[40:41]
	s_and_saveexec_b64 s[42:43], s[44:45]
	s_cbranch_execz .LBB4_40
; %bb.37:                               ;   in Loop: Header=BB4_3 Depth=1
	v_lshlrev_b64 v[18:19], 3, v[18:19]
	v_mov_b32_e32 v20, s13
	v_add_co_u32_e32 v18, vcc, s12, v18
	v_addc_co_u32_e32 v19, vcc, v20, v19, vcc
	global_load_dwordx2 v[18:19], v[18:19], off
	s_waitcnt vmcnt(0)
	v_cmp_le_f64_e32 vcc, 0, v[18:19]
	v_cmp_ge_f64_e64 s[0:1], 1.0, v[18:19]
	s_and_b64 s[44:45], vcc, s[0:1]
	s_mov_b64 s[0:1], 0
	s_and_saveexec_b64 s[50:51], s[44:45]
	s_xor_b64 s[44:45], exec, s[50:51]
	s_cbranch_execz .LBB4_39
; %bb.38:                               ;   in Loop: Header=BB4_3 Depth=1
	v_cvt_f32_u32_e32 v20, v24
	v_mov_b32_e32 v21, 0x2f800000
	v_lshlrev_b64 v[16:17], 3, v[16:17]
	v_add_co_u32_e32 v16, vcc, s2, v16
	v_fmac_f32_e32 v21, 0x2f800000, v20
	v_mov_b32_e32 v20, s3
	v_addc_co_u32_e32 v17, vcc, v20, v17, vcc
	v_cvt_f64_f32_e32 v[20:21], v21
	v_cmp_ge_f64_e32 vcc, v[18:19], v[20:21]
	v_cndmask_b32_e32 v19, 0, v39, vcc
	v_mov_b32_e32 v18, v5
	s_mov_b64 s[0:1], exec
	global_store_dwordx2 v[16:17], v[18:19], off
.LBB4_39:                               ;   in Loop: Header=BB4_3 Depth=1
	s_or_b64 exec, exec, s[44:45]
	s_andn2_b64 s[50:51], s[40:41], exec
	s_or_b64 s[40:41], s[40:41], exec
	s_andn2_b64 s[48:49], s[48:49], exec
	s_and_b64 s[0:1], s[0:1], exec
.LBB4_40:                               ;   in Loop: Header=BB4_3 Depth=1
	s_or_b64 exec, exec, s[42:43]
	s_and_b64 s[44:45], s[50:51], exec
	s_and_b64 s[42:43], s[40:41], exec
	;; [unrolled: 1-line block ×4, first 2 shown]
.LBB4_41:                               ;   in Loop: Header=BB4_3 Depth=1
	s_andn2_saveexec_b64 s[0:1], s[46:47]
; %bb.42:                               ;   in Loop: Header=BB4_3 Depth=1
	v_cmp_lt_i32_e32 vcc, 1, v15
	s_andn2_b64 s[46:47], s[52:53], exec
	s_and_b64 s[48:49], vcc, exec
	s_mov_b64 s[38:39], exec
	s_andn2_b64 s[44:45], s[44:45], exec
	s_andn2_b64 s[42:43], s[42:43], exec
	;; [unrolled: 1-line block ×3, first 2 shown]
	s_or_b64 s[52:53], s[46:47], s[48:49]
; %bb.43:                               ;   in Loop: Header=BB4_3 Depth=1
	s_or_b64 exec, exec, s[0:1]
	s_mov_b64 s[46:47], 0
	s_mov_b64 s[0:1], 0
	;; [unrolled: 1-line block ×3, first 2 shown]
	s_and_saveexec_b64 s[50:51], s[52:53]
	s_cbranch_execnz .LBB4_46
; %bb.44:                               ;   in Loop: Header=BB4_3 Depth=1
	s_or_b64 exec, exec, s[50:51]
	s_and_saveexec_b64 s[50:51], s[38:39]
	s_cbranch_execnz .LBB4_49
.LBB4_45:                               ;   in Loop: Header=BB4_3 Depth=1
	s_or_b64 exec, exec, s[50:51]
	s_and_saveexec_b64 s[38:39], s[0:1]
	s_cbranch_execnz .LBB4_50
	s_branch .LBB4_53
.LBB4_46:                               ;   in Loop: Header=BB4_3 Depth=1
	v_lshlrev_b64 v[12:13], 3, v[12:13]
	v_mov_b32_e32 v16, s13
	v_add_co_u32_e32 v12, vcc, s12, v12
	v_addc_co_u32_e32 v13, vcc, v16, v13, vcc
	global_load_dwordx2 v[12:13], v[12:13], off
	s_waitcnt vmcnt(0)
	v_cmp_le_f64_e32 vcc, 0, v[12:13]
	v_cmp_ge_f64_e64 s[0:1], 1.0, v[12:13]
	s_and_b64 s[48:49], vcc, s[0:1]
	s_mov_b64 s[0:1], 0
	s_and_saveexec_b64 s[52:53], s[48:49]
	s_xor_b64 s[48:49], exec, s[52:53]
	s_cbranch_execz .LBB4_48
; %bb.47:                               ;   in Loop: Header=BB4_3 Depth=1
	v_cvt_f32_u32_e32 v9, v9
	v_mov_b32_e32 v16, 0x2f800000
	v_lshlrev_b64 v[10:11], 3, v[10:11]
	v_add_co_u32_e32 v10, vcc, s2, v10
	v_fmac_f32_e32 v16, 0x2f800000, v9
	v_mov_b32_e32 v9, s3
	v_addc_co_u32_e32 v11, vcc, v9, v11, vcc
	v_cvt_f64_f32_e32 v[16:17], v16
	v_cmp_ge_f64_e32 vcc, v[12:13], v[16:17]
	v_cndmask_b32_e32 v13, 0, v39, vcc
	v_mov_b32_e32 v12, v5
	s_mov_b64 s[0:1], exec
	global_store_dwordx2 v[10:11], v[12:13], off
.LBB4_48:                               ;   in Loop: Header=BB4_3 Depth=1
	s_or_b64 exec, exec, s[48:49]
	s_andn2_b64 s[48:49], s[44:45], exec
	s_or_b64 s[44:45], s[44:45], exec
	s_andn2_b64 s[42:43], s[42:43], exec
	s_andn2_b64 s[40:41], s[40:41], exec
	s_and_b64 s[0:1], s[0:1], exec
	s_andn2_b64 s[38:39], s[38:39], exec
	s_or_b64 exec, exec, s[50:51]
	s_and_saveexec_b64 s[50:51], s[38:39]
	s_cbranch_execz .LBB4_45
.LBB4_49:                               ;   in Loop: Header=BB4_3 Depth=1
	v_cmp_eq_u32_e32 vcc, 1, v15
	s_andn2_b64 s[0:1], s[0:1], exec
	s_and_b64 s[38:39], vcc, exec
	s_mov_b64 s[46:47], exec
	s_andn2_b64 s[48:49], s[48:49], exec
	s_andn2_b64 s[44:45], s[44:45], exec
	;; [unrolled: 1-line block ×4, first 2 shown]
	s_or_b64 s[0:1], s[0:1], s[38:39]
	s_or_b64 exec, exec, s[50:51]
	s_and_saveexec_b64 s[38:39], s[0:1]
	s_cbranch_execz .LBB4_53
.LBB4_50:                               ;   in Loop: Header=BB4_3 Depth=1
	v_lshlrev_b64 v[10:11], 3, v[4:5]
	v_mov_b32_e32 v4, s13
	v_add_co_u32_e32 v10, vcc, s12, v10
	v_addc_co_u32_e32 v11, vcc, v4, v11, vcc
	global_load_dwordx2 v[10:11], v[10:11], off
	s_waitcnt vmcnt(0)
	v_cmp_le_f64_e32 vcc, 0, v[10:11]
	v_cmp_ge_f64_e64 s[0:1], 1.0, v[10:11]
	s_and_b64 s[52:53], vcc, s[0:1]
	s_mov_b64 s[0:1], 0
	s_and_saveexec_b64 s[50:51], s[52:53]
	s_cbranch_execz .LBB4_52
; %bb.51:                               ;   in Loop: Header=BB4_3 Depth=1
	v_cvt_f32_u32_e32 v4, v14
	v_mov_b32_e32 v9, v5
	v_mov_b32_e32 v12, 0x2f800000
	v_lshlrev_b64 v[8:9], 3, v[8:9]
	v_fmac_f32_e32 v12, 0x2f800000, v4
	v_mov_b32_e32 v4, s3
	v_add_co_u32_e32 v8, vcc, s2, v8
	v_addc_co_u32_e32 v9, vcc, v4, v9, vcc
	v_cvt_f64_f32_e32 v[12:13], v12
	v_cmp_ge_f64_e32 vcc, v[10:11], v[12:13]
	s_mov_b64 s[0:1], exec
	v_cndmask_b32_e32 v11, 0, v39, vcc
	v_mov_b32_e32 v10, v5
	global_store_dwordx2 v[8:9], v[10:11], off
.LBB4_52:                               ;   in Loop: Header=BB4_3 Depth=1
	s_or_b64 exec, exec, s[50:51]
	s_andn2_b64 s[46:47], s[46:47], exec
	s_and_b64 s[0:1], s[0:1], exec
	s_or_b64 s[48:49], s[48:49], exec
	s_andn2_b64 s[44:45], s[44:45], exec
	s_andn2_b64 s[42:43], s[42:43], exec
	;; [unrolled: 1-line block ×3, first 2 shown]
	s_or_b64 s[46:47], s[46:47], s[0:1]
.LBB4_53:                               ;   in Loop: Header=BB4_3 Depth=1
	s_or_b64 exec, exec, s[38:39]
	s_andn2_b64 s[36:37], s[36:37], exec
	s_and_b64 s[38:39], s[48:49], exec
	s_or_b64 s[36:37], s[36:37], s[38:39]
	s_andn2_b64 s[34:35], s[34:35], exec
	s_and_b64 s[38:39], s[44:45], exec
	s_or_b64 s[34:35], s[34:35], s[38:39]
	;; [unrolled: 3-line block ×3, first 2 shown]
	s_andn2_b64 s[28:29], s[28:29], exec
	s_and_b64 s[38:39], s[40:41], exec
	s_mov_b64 s[0:1], -1
	s_or_b64 s[28:29], s[28:29], s[38:39]
	s_and_saveexec_b64 s[38:39], s[46:47]
	s_cbranch_execz .LBB4_2
; %bb.54:                               ;   in Loop: Header=BB4_3 Depth=1
	v_add_u32_e32 v0, s57, v0
	v_cmp_le_u32_e32 vcc, s33, v0
	v_subrev_u32_e32 v38, s57, v38
	s_andn2_b64 s[36:37], s[36:37], exec
	s_andn2_b64 s[34:35], s[34:35], exec
	;; [unrolled: 1-line block ×4, first 2 shown]
	s_orn2_b64 s[0:1], vcc, exec
	s_branch .LBB4_2
.LBB4_55:
	s_or_b64 exec, exec, s[20:21]
	s_xor_b64 s[6:7], s[26:27], -1
	s_xor_b64 s[8:9], s[24:25], -1
	s_xor_b64 s[0:1], s[22:23], -1
	s_mov_b64 s[2:3], 0
	s_and_saveexec_b64 s[4:5], s[0:1]
	s_xor_b64 s[0:1], exec, s[4:5]
	s_cbranch_execnz .LBB4_60
; %bb.56:
	s_andn2_saveexec_b64 s[0:1], s[0:1]
	s_cbranch_execnz .LBB4_68
.LBB4_57:
	s_or_b64 exec, exec, s[0:1]
	s_and_b64 exec, exec, s[2:3]
.LBB4_58:
	; divergent unreachable
.LBB4_59:
	s_endpgm
.LBB4_60:
	s_mov_b64 s[4:5], 0
	s_and_saveexec_b64 s[2:3], s[8:9]
	s_xor_b64 s[2:3], exec, s[2:3]
	s_cbranch_execz .LBB4_66
; %bb.61:
	s_and_saveexec_b64 s[8:9], s[6:7]
	s_xor_b64 s[6:7], exec, s[8:9]
	s_cbranch_execz .LBB4_64
; %bb.62:
	s_and_saveexec_b64 s[8:9], s[18:19]
	s_xor_b64 s[8:9], exec, s[8:9]
	s_cbranch_execnz .LBB4_71
.LBB4_63:
	s_or_b64 exec, exec, s[8:9]
	s_and_b64 s[4:5], s[4:5], exec
.LBB4_64:
	s_andn2_saveexec_b64 s[6:7], s[6:7]
	s_cbranch_execnz .LBB4_70
.LBB4_65:
	s_or_b64 exec, exec, s[6:7]
	s_and_b64 s[4:5], s[4:5], exec
.LBB4_66:
	s_andn2_saveexec_b64 s[2:3], s[2:3]
	s_cbranch_execnz .LBB4_69
.LBB4_67:
	s_or_b64 exec, exec, s[2:3]
	s_and_b64 s[2:3], s[4:5], exec
	s_andn2_saveexec_b64 s[0:1], s[0:1]
	s_cbranch_execz .LBB4_57
.LBB4_68:
	s_or_b64 s[2:3], s[2:3], exec
	s_trap 2
	s_or_b64 exec, exec, s[0:1]
	s_and_b64 exec, exec, s[2:3]
	s_cbranch_execnz .LBB4_58
	s_branch .LBB4_59
.LBB4_69:
	s_or_b64 s[4:5], s[4:5], exec
	s_trap 2
	s_branch .LBB4_67
.LBB4_70:
	s_trap 2
	s_or_b64 s[4:5], s[4:5], exec
	s_branch .LBB4_65
.LBB4_71:
	s_mov_b64 s[4:5], exec
	s_trap 2
	s_branch .LBB4_63
	.section	.rodata,"a",@progbits
	.p2align	6, 0x0
	.amdhsa_kernel _ZN2at4cuda12_GLOBAL__N_121kernelPointwiseApply2IZNS_6native9templates4cuda28bernoulli_tensor_cuda_kernelIddEEvRKNS_10TensorBaseES9_NS_15PhiloxCudaStateEEUliRdSB_SB_SB_RKdSD_SD_SD_E_dSC_jLi2ELi2ELi4ELi512ELi2EEEvNS0_6detail10TensorInfoIT0_T2_EENSG_IT1_SI_EESI_T_
		.amdhsa_group_segment_fixed_size 0
		.amdhsa_private_segment_fixed_size 0
		.amdhsa_kernarg_size 728
		.amdhsa_user_sgpr_count 6
		.amdhsa_user_sgpr_private_segment_buffer 1
		.amdhsa_user_sgpr_dispatch_ptr 0
		.amdhsa_user_sgpr_queue_ptr 0
		.amdhsa_user_sgpr_kernarg_segment_ptr 1
		.amdhsa_user_sgpr_dispatch_id 0
		.amdhsa_user_sgpr_flat_scratch_init 0
		.amdhsa_user_sgpr_kernarg_preload_length 0
		.amdhsa_user_sgpr_kernarg_preload_offset 0
		.amdhsa_user_sgpr_private_segment_size 0
		.amdhsa_uses_dynamic_stack 0
		.amdhsa_system_sgpr_private_segment_wavefront_offset 0
		.amdhsa_system_sgpr_workgroup_id_x 1
		.amdhsa_system_sgpr_workgroup_id_y 0
		.amdhsa_system_sgpr_workgroup_id_z 0
		.amdhsa_system_sgpr_workgroup_info 0
		.amdhsa_system_vgpr_workitem_id 0
		.amdhsa_next_free_vgpr 57
		.amdhsa_next_free_sgpr 62
		.amdhsa_accum_offset 60
		.amdhsa_reserve_vcc 1
		.amdhsa_reserve_flat_scratch 0
		.amdhsa_float_round_mode_32 0
		.amdhsa_float_round_mode_16_64 0
		.amdhsa_float_denorm_mode_32 3
		.amdhsa_float_denorm_mode_16_64 3
		.amdhsa_dx10_clamp 1
		.amdhsa_ieee_mode 1
		.amdhsa_fp16_overflow 0
		.amdhsa_tg_split 0
		.amdhsa_exception_fp_ieee_invalid_op 0
		.amdhsa_exception_fp_denorm_src 0
		.amdhsa_exception_fp_ieee_div_zero 0
		.amdhsa_exception_fp_ieee_overflow 0
		.amdhsa_exception_fp_ieee_underflow 0
		.amdhsa_exception_fp_ieee_inexact 0
		.amdhsa_exception_int_div_zero 0
	.end_amdhsa_kernel
	.section	.text._ZN2at4cuda12_GLOBAL__N_121kernelPointwiseApply2IZNS_6native9templates4cuda28bernoulli_tensor_cuda_kernelIddEEvRKNS_10TensorBaseES9_NS_15PhiloxCudaStateEEUliRdSB_SB_SB_RKdSD_SD_SD_E_dSC_jLi2ELi2ELi4ELi512ELi2EEEvNS0_6detail10TensorInfoIT0_T2_EENSG_IT1_SI_EESI_T_,"axG",@progbits,_ZN2at4cuda12_GLOBAL__N_121kernelPointwiseApply2IZNS_6native9templates4cuda28bernoulli_tensor_cuda_kernelIddEEvRKNS_10TensorBaseES9_NS_15PhiloxCudaStateEEUliRdSB_SB_SB_RKdSD_SD_SD_E_dSC_jLi2ELi2ELi4ELi512ELi2EEEvNS0_6detail10TensorInfoIT0_T2_EENSG_IT1_SI_EESI_T_,comdat
.Lfunc_end4:
	.size	_ZN2at4cuda12_GLOBAL__N_121kernelPointwiseApply2IZNS_6native9templates4cuda28bernoulli_tensor_cuda_kernelIddEEvRKNS_10TensorBaseES9_NS_15PhiloxCudaStateEEUliRdSB_SB_SB_RKdSD_SD_SD_E_dSC_jLi2ELi2ELi4ELi512ELi2EEEvNS0_6detail10TensorInfoIT0_T2_EENSG_IT1_SI_EESI_T_, .Lfunc_end4-_ZN2at4cuda12_GLOBAL__N_121kernelPointwiseApply2IZNS_6native9templates4cuda28bernoulli_tensor_cuda_kernelIddEEvRKNS_10TensorBaseES9_NS_15PhiloxCudaStateEEUliRdSB_SB_SB_RKdSD_SD_SD_E_dSC_jLi2ELi2ELi4ELi512ELi2EEEvNS0_6detail10TensorInfoIT0_T2_EENSG_IT1_SI_EESI_T_
                                        ; -- End function
	.section	.AMDGPU.csdata,"",@progbits
; Kernel info:
; codeLenInByte = 3472
; NumSgprs: 66
; NumVgprs: 57
; NumAgprs: 0
; TotalNumVgprs: 57
; ScratchSize: 0
; MemoryBound: 0
; FloatMode: 240
; IeeeMode: 1
; LDSByteSize: 0 bytes/workgroup (compile time only)
; SGPRBlocks: 8
; VGPRBlocks: 7
; NumSGPRsForWavesPerEU: 66
; NumVGPRsForWavesPerEU: 57
; AccumOffset: 60
; Occupancy: 8
; WaveLimiterHint : 1
; COMPUTE_PGM_RSRC2:SCRATCH_EN: 0
; COMPUTE_PGM_RSRC2:USER_SGPR: 6
; COMPUTE_PGM_RSRC2:TRAP_HANDLER: 0
; COMPUTE_PGM_RSRC2:TGID_X_EN: 1
; COMPUTE_PGM_RSRC2:TGID_Y_EN: 0
; COMPUTE_PGM_RSRC2:TGID_Z_EN: 0
; COMPUTE_PGM_RSRC2:TIDIG_COMP_CNT: 0
; COMPUTE_PGM_RSRC3_GFX90A:ACCUM_OFFSET: 14
; COMPUTE_PGM_RSRC3_GFX90A:TG_SPLIT: 0
	.section	.text._ZN2at4cuda12_GLOBAL__N_121kernelPointwiseApply2IZNS_6native9templates4cuda28bernoulli_tensor_cuda_kernelIddEEvRKNS_10TensorBaseES9_NS_15PhiloxCudaStateEEUliRdSB_SB_SB_RKdSD_SD_SD_E_dSC_jLi2ELin1ELi4ELi512ELi2EEEvNS0_6detail10TensorInfoIT0_T2_EENSG_IT1_SI_EESI_T_,"axG",@progbits,_ZN2at4cuda12_GLOBAL__N_121kernelPointwiseApply2IZNS_6native9templates4cuda28bernoulli_tensor_cuda_kernelIddEEvRKNS_10TensorBaseES9_NS_15PhiloxCudaStateEEUliRdSB_SB_SB_RKdSD_SD_SD_E_dSC_jLi2ELin1ELi4ELi512ELi2EEEvNS0_6detail10TensorInfoIT0_T2_EENSG_IT1_SI_EESI_T_,comdat
	.globl	_ZN2at4cuda12_GLOBAL__N_121kernelPointwiseApply2IZNS_6native9templates4cuda28bernoulli_tensor_cuda_kernelIddEEvRKNS_10TensorBaseES9_NS_15PhiloxCudaStateEEUliRdSB_SB_SB_RKdSD_SD_SD_E_dSC_jLi2ELin1ELi4ELi512ELi2EEEvNS0_6detail10TensorInfoIT0_T2_EENSG_IT1_SI_EESI_T_ ; -- Begin function _ZN2at4cuda12_GLOBAL__N_121kernelPointwiseApply2IZNS_6native9templates4cuda28bernoulli_tensor_cuda_kernelIddEEvRKNS_10TensorBaseES9_NS_15PhiloxCudaStateEEUliRdSB_SB_SB_RKdSD_SD_SD_E_dSC_jLi2ELin1ELi4ELi512ELi2EEEvNS0_6detail10TensorInfoIT0_T2_EENSG_IT1_SI_EESI_T_
	.p2align	8
	.type	_ZN2at4cuda12_GLOBAL__N_121kernelPointwiseApply2IZNS_6native9templates4cuda28bernoulli_tensor_cuda_kernelIddEEvRKNS_10TensorBaseES9_NS_15PhiloxCudaStateEEUliRdSB_SB_SB_RKdSD_SD_SD_E_dSC_jLi2ELin1ELi4ELi512ELi2EEEvNS0_6detail10TensorInfoIT0_T2_EENSG_IT1_SI_EESI_T_,@function
_ZN2at4cuda12_GLOBAL__N_121kernelPointwiseApply2IZNS_6native9templates4cuda28bernoulli_tensor_cuda_kernelIddEEvRKNS_10TensorBaseES9_NS_15PhiloxCudaStateEEUliRdSB_SB_SB_RKdSD_SD_SD_E_dSC_jLi2ELin1ELi4ELi512ELi2EEEvNS0_6detail10TensorInfoIT0_T2_EENSG_IT1_SI_EESI_T_: ; @_ZN2at4cuda12_GLOBAL__N_121kernelPointwiseApply2IZNS_6native9templates4cuda28bernoulli_tensor_cuda_kernelIddEEvRKNS_10TensorBaseES9_NS_15PhiloxCudaStateEEUliRdSB_SB_SB_RKdSD_SD_SD_E_dSC_jLi2ELin1ELi4ELi512ELi2EEEvNS0_6detail10TensorInfoIT0_T2_EENSG_IT1_SI_EESI_T_
; %bb.0:
	s_load_dword s2, s[4:5], 0x1e4
	s_load_dword s33, s[4:5], 0x1b0
	s_add_u32 s0, s4, 0x1d8
	s_addc_u32 s1, s5, 0
	s_waitcnt lgkmcnt(0)
	s_and_b32 s2, s2, 0xffff
	s_mul_i32 s6, s6, s2
	v_add_u32_e32 v5, s6, v0
	v_lshlrev_b32_e32 v36, 2, v5
	v_cmp_gt_u32_e32 vcc, s33, v36
	s_and_saveexec_b64 s[6:7], vcc
	s_cbranch_execz .LBB5_73
; %bb.1:
	s_load_dword s3, s[0:1], 0x0
	s_load_dwordx2 s[6:7], s[4:5], 0x1c8
	s_load_dwordx4 s[8:11], s[4:5], 0x1b8
	s_load_dword s20, s[4:5], 0x1a8
	s_load_dwordx2 s[12:13], s[4:5], 0x0
	s_load_dword s54, s[4:5], 0xc
	s_waitcnt lgkmcnt(0)
	s_mul_i32 s21, s3, s2
	s_load_dword s2, s[4:5], 0x1d0
	s_load_dword s55, s[4:5], 0x144
	s_add_u32 s18, s4, 0xd8
	s_addc_u32 s19, s5, 0
	v_cvt_f32_u32_e32 v0, s54
	s_cmp_gt_i32 s20, 1
	s_mov_b32 s56, 0xcd9e8d57
	s_cselect_b64 s[0:1], -1, 0
	v_rcp_iflag_f32_e32 v2, v0
	s_waitcnt lgkmcnt(0)
	s_bitcmp1_b32 s2, 0
	v_mad_u64_u32 v[0:1], s[2:3], v5, s56, 0
	v_mul_f32_e32 v2, 0x4f7ffffe, v2
	v_cvt_u32_f32_e32 v2, v2
	s_load_dwordx2 s[14:15], s[4:5], 0x6c
	s_load_dwordx2 s[16:17], s[4:5], 0xd8
	s_cselect_b64 s[4:5], -1, 0
	s_sub_i32 s2, 0, s54
	s_mov_b32 s3, 0
	v_mov_b32_e32 v4, v1
	v_mul_lo_u32 v1, s2, v2
	s_add_i32 s2, s20, -1
	s_lshl_b32 s57, s21, 2
	s_add_i32 s58, s20, 1
	s_lshl_b64 s[2:3], s[2:3], 2
	s_add_u32 s2, s2, s18
	s_addc_u32 s3, s3, s19
	v_mul_hi_u32 v1, v2, v1
	s_add_u32 s20, s2, 8
	v_mov_b32_e32 v3, 0
	v_add_u32_e32 v1, v2, v1
	s_addc_u32 s21, s3, 0
	s_mov_b64 s[22:23], 0
	v_cndmask_b32_e64 v37, 0, 1, s[0:1]
	s_mov_b32 s59, 0xd2511f53
	s_mov_b32 s60, 0xf1bbcdc8
	v_mov_b32_e32 v38, 0x3ff00000
                                        ; implicit-def: $sgpr24_sgpr25
                                        ; implicit-def: $sgpr26_sgpr27
                                        ; implicit-def: $sgpr28_sgpr29
                                        ; implicit-def: $sgpr18_sgpr19
                                        ; implicit-def: $sgpr30_sgpr31
                                        ; implicit-def: $sgpr34_sgpr35
                                        ; implicit-def: $sgpr36_sgpr37
                                        ; implicit-def: $sgpr38_sgpr39
	s_branch .LBB5_3
.LBB5_2:                                ;   in Loop: Header=BB5_3 Depth=1
	s_or_b64 exec, exec, s[2:3]
	s_and_b64 s[0:1], exec, s[0:1]
	s_or_b64 s[22:23], s[0:1], s[22:23]
	s_andn2_b64 s[0:1], s[18:19], exec
	s_and_b64 s[2:3], s[38:39], exec
	s_or_b64 s[18:19], s[0:1], s[2:3]
	s_andn2_b64 s[0:1], s[28:29], exec
	s_and_b64 s[2:3], s[36:37], exec
	;; [unrolled: 3-line block ×4, first 2 shown]
	s_or_b64 s[24:25], s[0:1], s[2:3]
	s_andn2_b64 exec, exec, s[22:23]
	s_cbranch_execz .LBB5_69
.LBB5_3:                                ; =>This Loop Header: Depth=1
                                        ;     Child Loop BB5_8 Depth 2
                                        ;     Child Loop BB5_15 Depth 2
	;; [unrolled: 1-line block ×4, first 2 shown]
	v_sub_u32_e32 v39, s33, v36
	v_cmp_lt_i32_e32 vcc, 0, v39
	v_mov_b32_e32 v6, 0
	s_and_saveexec_b64 s[2:3], vcc
	s_cbranch_execz .LBB5_5
; %bb.4:                                ;   in Loop: Header=BB5_3 Depth=1
	v_mul_hi_u32 v2, v36, v1
	v_mul_lo_u32 v6, v2, s54
	v_sub_u32_e32 v6, v36, v6
	v_add_u32_e32 v7, 1, v2
	v_cmp_le_u32_e64 s[0:1], s54, v6
	v_cndmask_b32_e64 v2, v2, v7, s[0:1]
	v_subrev_u32_e32 v7, s54, v6
	v_cndmask_b32_e64 v6, v6, v7, s[0:1]
	v_add_u32_e32 v7, 1, v2
	v_cmp_le_u32_e64 s[0:1], s54, v6
	v_cndmask_b32_e64 v6, v2, v7, s[0:1]
	v_mul_lo_u32 v2, v6, s54
	v_sub_u32_e32 v2, v36, v2
	s_waitcnt lgkmcnt(0)
	v_mul_lo_u32 v2, v2, s15
	v_mad_u64_u32 v[6:7], s[0:1], v6, s14, v[2:3]
.LBB5_5:                                ;   in Loop: Header=BB5_3 Depth=1
	s_or_b64 exec, exec, s[2:3]
	v_mov_b32_e32 v8, 0
	v_cmp_ne_u32_e64 s[0:1], 1, v37
	s_and_saveexec_b64 s[2:3], vcc
	s_cbranch_execz .LBB5_10
; %bb.6:                                ;   in Loop: Header=BB5_3 Depth=1
	s_and_b64 vcc, exec, s[0:1]
	v_mov_b32_e32 v8, 0
	v_mov_b32_e32 v2, v36
	s_cbranch_vccnz .LBB5_9
; %bb.7:                                ;   in Loop: Header=BB5_3 Depth=1
	v_mov_b32_e32 v8, 0
	s_mov_b64 s[40:41], s[20:21]
	s_mov_b32 s42, s58
	v_mov_b32_e32 v2, v36
.LBB5_8:                                ;   Parent Loop BB5_3 Depth=1
                                        ; =>  This Inner Loop Header: Depth=2
	s_load_dword s43, s[40:41], 0x0
	s_load_dword s44, s[40:41], 0x64
	v_mov_b32_e32 v7, v2
	s_add_i32 s42, s42, -1
	s_waitcnt lgkmcnt(0)
	v_cvt_f32_u32_e32 v2, s43
	s_sub_i32 s45, 0, s43
	s_add_u32 s40, s40, -4
	s_addc_u32 s41, s41, -1
	v_rcp_iflag_f32_e32 v2, v2
	s_cmp_gt_u32 s42, 2
	v_mul_f32_e32 v2, 0x4f7ffffe, v2
	v_cvt_u32_f32_e32 v2, v2
	v_mul_lo_u32 v9, s45, v2
	v_mul_hi_u32 v9, v2, v9
	v_add_u32_e32 v2, v2, v9
	v_mul_hi_u32 v2, v7, v2
	v_mul_lo_u32 v9, v2, s43
	v_sub_u32_e32 v9, v7, v9
	v_add_u32_e32 v10, 1, v2
	v_cmp_le_u32_e32 vcc, s43, v9
	v_cndmask_b32_e32 v2, v2, v10, vcc
	v_subrev_u32_e32 v10, s43, v9
	v_cndmask_b32_e32 v9, v9, v10, vcc
	v_add_u32_e32 v10, 1, v2
	v_cmp_le_u32_e32 vcc, s43, v9
	v_cndmask_b32_e32 v2, v2, v10, vcc
	v_mul_lo_u32 v9, v2, s43
	v_sub_u32_e32 v7, v7, v9
	v_mad_u64_u32 v[8:9], s[44:45], s44, v7, v[8:9]
	s_cbranch_scc1 .LBB5_8
.LBB5_9:                                ;   in Loop: Header=BB5_3 Depth=1
	v_mad_u64_u32 v[8:9], s[40:41], s55, v2, v[8:9]
.LBB5_10:                               ;   in Loop: Header=BB5_3 Depth=1
	s_or_b64 exec, exec, s[2:3]
	v_or_b32_e32 v7, 1, v36
	v_cmp_lt_i32_e32 vcc, 1, v39
	v_mov_b32_e32 v2, 0
	v_mov_b32_e32 v10, 0
	s_and_saveexec_b64 s[40:41], vcc
	s_cbranch_execz .LBB5_12
; %bb.11:                               ;   in Loop: Header=BB5_3 Depth=1
	v_mul_hi_u32 v9, v7, v1
	v_mul_lo_u32 v10, v9, s54
	v_sub_u32_e32 v10, v7, v10
	v_add_u32_e32 v11, 1, v9
	v_cmp_le_u32_e64 s[2:3], s54, v10
	v_cndmask_b32_e64 v9, v9, v11, s[2:3]
	v_subrev_u32_e32 v11, s54, v10
	v_cndmask_b32_e64 v10, v10, v11, s[2:3]
	v_add_u32_e32 v11, 1, v9
	v_cmp_le_u32_e64 s[2:3], s54, v10
	v_cndmask_b32_e64 v9, v9, v11, s[2:3]
	v_mul_lo_u32 v10, v9, s54
	v_sub_u32_e32 v10, v7, v10
	s_waitcnt lgkmcnt(0)
	v_mul_lo_u32 v10, v10, s15
	v_mad_u64_u32 v[10:11], s[2:3], v9, s14, v[10:11]
.LBB5_12:                               ;   in Loop: Header=BB5_3 Depth=1
	s_or_b64 exec, exec, s[40:41]
	s_and_saveexec_b64 s[2:3], vcc
	s_cbranch_execz .LBB5_17
; %bb.13:                               ;   in Loop: Header=BB5_3 Depth=1
	s_and_b64 vcc, exec, s[0:1]
	v_mov_b32_e32 v12, 0
	s_cbranch_vccnz .LBB5_16
; %bb.14:                               ;   in Loop: Header=BB5_3 Depth=1
	v_mov_b32_e32 v12, 0
	s_mov_b64 s[40:41], s[20:21]
	s_mov_b32 s42, s58
.LBB5_15:                               ;   Parent Loop BB5_3 Depth=1
                                        ; =>  This Inner Loop Header: Depth=2
	s_load_dword s43, s[40:41], 0x0
	s_load_dword s44, s[40:41], 0x64
	v_mov_b32_e32 v2, v7
	s_add_i32 s42, s42, -1
	s_waitcnt lgkmcnt(0)
	v_cvt_f32_u32_e32 v7, s43
	s_sub_i32 s45, 0, s43
	s_add_u32 s40, s40, -4
	s_addc_u32 s41, s41, -1
	v_rcp_iflag_f32_e32 v7, v7
	s_cmp_gt_u32 s42, 2
	v_mul_f32_e32 v7, 0x4f7ffffe, v7
	v_cvt_u32_f32_e32 v7, v7
	v_mul_lo_u32 v9, s45, v7
	v_mul_hi_u32 v9, v7, v9
	v_add_u32_e32 v7, v7, v9
	v_mul_hi_u32 v7, v2, v7
	v_mul_lo_u32 v9, v7, s43
	v_sub_u32_e32 v9, v2, v9
	v_add_u32_e32 v11, 1, v7
	v_cmp_le_u32_e32 vcc, s43, v9
	v_cndmask_b32_e32 v7, v7, v11, vcc
	v_subrev_u32_e32 v11, s43, v9
	v_cndmask_b32_e32 v9, v9, v11, vcc
	v_add_u32_e32 v11, 1, v7
	v_cmp_le_u32_e32 vcc, s43, v9
	v_cndmask_b32_e32 v7, v7, v11, vcc
	v_mul_lo_u32 v9, v7, s43
	v_sub_u32_e32 v2, v2, v9
	v_mad_u64_u32 v[12:13], s[44:45], s44, v2, v[12:13]
	s_cbranch_scc1 .LBB5_15
.LBB5_16:                               ;   in Loop: Header=BB5_3 Depth=1
	v_mad_u64_u32 v[12:13], s[40:41], s55, v7, v[12:13]
	v_mov_b32_e32 v2, v12
.LBB5_17:                               ;   in Loop: Header=BB5_3 Depth=1
	s_or_b64 exec, exec, s[2:3]
	v_or_b32_e32 v7, 2, v36
	v_cmp_lt_i32_e32 vcc, 2, v39
	v_mov_b32_e32 v12, 0
	s_and_saveexec_b64 s[40:41], vcc
	s_cbranch_execz .LBB5_19
; %bb.18:                               ;   in Loop: Header=BB5_3 Depth=1
	v_mul_hi_u32 v9, v7, v1
	v_mul_lo_u32 v11, v9, s54
	v_sub_u32_e32 v11, v7, v11
	v_add_u32_e32 v12, 1, v9
	v_cmp_le_u32_e64 s[2:3], s54, v11
	v_cndmask_b32_e64 v9, v9, v12, s[2:3]
	v_subrev_u32_e32 v12, s54, v11
	v_cndmask_b32_e64 v11, v11, v12, s[2:3]
	v_add_u32_e32 v12, 1, v9
	v_cmp_le_u32_e64 s[2:3], s54, v11
	v_cndmask_b32_e64 v9, v9, v12, s[2:3]
	v_mul_lo_u32 v11, v9, s54
	v_sub_u32_e32 v11, v7, v11
	s_waitcnt lgkmcnt(0)
	v_mul_lo_u32 v12, v11, s15
	v_mad_u64_u32 v[12:13], s[2:3], v9, s14, v[12:13]
.LBB5_19:                               ;   in Loop: Header=BB5_3 Depth=1
	s_or_b64 exec, exec, s[40:41]
	v_pk_mov_b32 v[16:17], 0, 0
	s_and_saveexec_b64 s[2:3], vcc
	s_cbranch_execz .LBB5_24
; %bb.20:                               ;   in Loop: Header=BB5_3 Depth=1
	s_and_b64 vcc, exec, s[0:1]
	v_mov_b32_e32 v14, 0
	s_cbranch_vccnz .LBB5_23
; %bb.21:                               ;   in Loop: Header=BB5_3 Depth=1
	v_mov_b32_e32 v14, 0
	s_mov_b64 s[40:41], s[20:21]
	s_mov_b32 s42, s58
.LBB5_22:                               ;   Parent Loop BB5_3 Depth=1
                                        ; =>  This Inner Loop Header: Depth=2
	s_load_dword s43, s[40:41], 0x0
	s_load_dword s44, s[40:41], 0x64
	v_mov_b32_e32 v9, v7
	s_add_i32 s42, s42, -1
	s_waitcnt lgkmcnt(0)
	v_cvt_f32_u32_e32 v7, s43
	s_sub_i32 s45, 0, s43
	s_add_u32 s40, s40, -4
	s_addc_u32 s41, s41, -1
	v_rcp_iflag_f32_e32 v7, v7
	s_cmp_gt_u32 s42, 2
	v_mul_f32_e32 v7, 0x4f7ffffe, v7
	v_cvt_u32_f32_e32 v7, v7
	v_mul_lo_u32 v11, s45, v7
	v_mul_hi_u32 v11, v7, v11
	v_add_u32_e32 v7, v7, v11
	v_mul_hi_u32 v7, v9, v7
	v_mul_lo_u32 v11, v7, s43
	v_sub_u32_e32 v11, v9, v11
	v_add_u32_e32 v13, 1, v7
	v_cmp_le_u32_e32 vcc, s43, v11
	v_cndmask_b32_e32 v7, v7, v13, vcc
	v_subrev_u32_e32 v13, s43, v11
	v_cndmask_b32_e32 v11, v11, v13, vcc
	v_add_u32_e32 v13, 1, v7
	v_cmp_le_u32_e32 vcc, s43, v11
	v_cndmask_b32_e32 v7, v7, v13, vcc
	v_mul_lo_u32 v11, v7, s43
	v_sub_u32_e32 v9, v9, v11
	v_mad_u64_u32 v[14:15], s[44:45], s44, v9, v[14:15]
	s_cbranch_scc1 .LBB5_22
.LBB5_23:                               ;   in Loop: Header=BB5_3 Depth=1
	v_mad_u64_u32 v[16:17], s[40:41], s55, v7, v[14:15]
	v_mov_b32_e32 v17, v3
.LBB5_24:                               ;   in Loop: Header=BB5_3 Depth=1
	s_or_b64 exec, exec, s[2:3]
	v_pk_mov_b32 v[14:15], 0, 0
	v_or_b32_e32 v7, 3, v36
	v_cmp_lt_i32_e32 vcc, 3, v39
	v_pk_mov_b32 v[18:19], v[14:15], v[14:15] op_sel:[0,1]
	s_and_saveexec_b64 s[40:41], vcc
	s_cbranch_execz .LBB5_26
; %bb.25:                               ;   in Loop: Header=BB5_3 Depth=1
	v_mul_hi_u32 v9, v7, v1
	v_mul_lo_u32 v11, v9, s54
	v_sub_u32_e32 v11, v7, v11
	v_add_u32_e32 v13, 1, v9
	v_cmp_le_u32_e64 s[2:3], s54, v11
	v_cndmask_b32_e64 v9, v9, v13, s[2:3]
	v_subrev_u32_e32 v13, s54, v11
	v_cndmask_b32_e64 v11, v11, v13, s[2:3]
	v_add_u32_e32 v13, 1, v9
	v_cmp_le_u32_e64 s[2:3], s54, v11
	v_cndmask_b32_e64 v9, v9, v13, s[2:3]
	v_mul_lo_u32 v11, v9, s54
	v_sub_u32_e32 v11, v7, v11
	s_waitcnt lgkmcnt(0)
	v_mul_lo_u32 v18, v11, s15
	v_mad_u64_u32 v[18:19], s[2:3], v9, s14, v[18:19]
	v_mov_b32_e32 v19, v3
.LBB5_26:                               ;   in Loop: Header=BB5_3 Depth=1
	s_or_b64 exec, exec, s[40:41]
	s_and_saveexec_b64 s[2:3], vcc
	s_cbranch_execz .LBB5_31
; %bb.27:                               ;   in Loop: Header=BB5_3 Depth=1
	s_and_b64 vcc, exec, s[0:1]
	v_mov_b32_e32 v14, 0
	s_cbranch_vccnz .LBB5_30
; %bb.28:                               ;   in Loop: Header=BB5_3 Depth=1
	v_mov_b32_e32 v14, 0
	s_mov_b64 s[0:1], s[20:21]
	s_mov_b32 s40, s58
.LBB5_29:                               ;   Parent Loop BB5_3 Depth=1
                                        ; =>  This Inner Loop Header: Depth=2
	s_load_dword s41, s[0:1], 0x0
	s_load_dword s42, s[0:1], 0x64
	v_mov_b32_e32 v9, v7
	s_add_i32 s40, s40, -1
	s_waitcnt lgkmcnt(0)
	v_cvt_f32_u32_e32 v7, s41
	s_sub_i32 s43, 0, s41
	s_add_u32 s0, s0, -4
	s_addc_u32 s1, s1, -1
	v_rcp_iflag_f32_e32 v7, v7
	s_cmp_gt_u32 s40, 2
	v_mul_f32_e32 v7, 0x4f7ffffe, v7
	v_cvt_u32_f32_e32 v7, v7
	v_mul_lo_u32 v11, s43, v7
	v_mul_hi_u32 v11, v7, v11
	v_add_u32_e32 v7, v7, v11
	v_mul_hi_u32 v7, v9, v7
	v_mul_lo_u32 v11, v7, s41
	v_sub_u32_e32 v11, v9, v11
	v_add_u32_e32 v13, 1, v7
	v_cmp_le_u32_e32 vcc, s41, v11
	v_cndmask_b32_e32 v7, v7, v13, vcc
	v_subrev_u32_e32 v13, s41, v11
	v_cndmask_b32_e32 v11, v11, v13, vcc
	v_add_u32_e32 v13, 1, v7
	v_cmp_le_u32_e32 vcc, s41, v11
	v_cndmask_b32_e32 v7, v7, v13, vcc
	v_mul_lo_u32 v11, v7, s41
	v_sub_u32_e32 v9, v9, v11
	v_mad_u64_u32 v[14:15], s[42:43], s42, v9, v[14:15]
	s_cbranch_scc1 .LBB5_29
.LBB5_30:                               ;   in Loop: Header=BB5_3 Depth=1
	v_mad_u64_u32 v[14:15], s[0:1], s55, v7, v[14:15]
	v_mov_b32_e32 v15, v3
.LBB5_31:                               ;   in Loop: Header=BB5_3 Depth=1
	s_or_b64 exec, exec, s[2:3]
	v_lshlrev_b64 v[14:15], 3, v[14:15]
	s_waitcnt lgkmcnt(0)
	v_mov_b32_e32 v7, s17
	v_add_co_u32_e32 v14, vcc, s16, v14
	v_addc_co_u32_e32 v15, vcc, v7, v15, vcc
	global_load_dwordx2 v[20:21], v[14:15], off
	s_andn2_b64 vcc, exec, s[4:5]
	v_pk_mov_b32 v[14:15], s[10:11], s[10:11] op_sel:[0,1]
	v_pk_mov_b32 v[22:23], s[8:9], s[8:9] op_sel:[0,1]
	s_cbranch_vccnz .LBB5_33
; %bb.32:                               ;   in Loop: Header=BB5_3 Depth=1
	v_pk_mov_b32 v[14:15], s[10:11], s[10:11] op_sel:[0,1]
	flat_load_dwordx2 v[14:15], v[14:15]
	v_pk_mov_b32 v[22:23], s[8:9], s[8:9] op_sel:[0,1]
	flat_load_dwordx2 v[22:23], v[22:23]
	v_mov_b32_e32 v7, s7
	s_waitcnt vmcnt(0) lgkmcnt(0)
	v_add_co_u32_e32 v14, vcc, s6, v14
	v_addc_co_u32_e32 v15, vcc, v15, v7, vcc
.LBB5_33:                               ;   in Loop: Header=BB5_3 Depth=1
	v_alignbit_b32 v7, v15, v14, 2
	v_and_b32_e32 v9, 3, v14
	v_lshrrev_b32_e32 v11, 2, v15
	v_mad_u64_u32 v[14:15], s[0:1], v7, s59, 0
	v_xor_b32_e32 v13, v15, v23
	v_xor_b32_e32 v15, v4, v22
	;; [unrolled: 1-line block ×3, first 2 shown]
	v_add_u32_e32 v43, 0xbb67ae85, v23
	v_mad_u64_u32 v[24:25], s[0:1], v15, s59, 0
	v_mad_u64_u32 v[26:27], s[0:1], v13, s56, 0
	v_xor_b32_e32 v15, v43, v25
	v_add_u32_e32 v42, 0x9e3779b9, v22
	v_xor_b32_e32 v13, v0, v27
	v_xor_b32_e32 v25, v15, v14
	v_xor_b32_e32 v13, v13, v42
	v_add_u32_e32 v44, 0x3c6ef372, v22
	v_mad_u64_u32 v[28:29], s[0:1], v25, s56, 0
	v_add_u32_e32 v45, 0x76cf5d0a, v23
	v_mad_u64_u32 v[14:15], s[0:1], v13, s59, 0
	v_xor_b32_e32 v13, v44, v29
	v_xor_b32_e32 v13, v13, v26
	v_xor_b32_e32 v15, v45, v15
	v_xor_b32_e32 v15, v15, v24
	v_add_u32_e32 v47, 0x32370b8f, v23
	v_mad_u64_u32 v[24:25], s[0:1], v13, s59, 0
	v_add_u32_e32 v46, 0xdaa66d2b, v22
	v_mad_u64_u32 v[26:27], s[0:1], v15, s56, 0
	v_xor_b32_e32 v15, v47, v25
	;; [unrolled: 8-line block ×6, first 2 shown]
	v_xor_b32_e32 v13, v54, v31
	v_xor_b32_e32 v14, v15, v14
	;; [unrolled: 1-line block ×3, first 2 shown]
	v_add_co_u32_e32 v40, vcc, s60, v22
	v_mad_u64_u32 v[26:27], s[0:1], v14, s56, 0
	v_mad_u64_u32 v[28:29], s[0:1], v13, s59, 0
	v_xor_b32_e32 v13, v40, v27
	v_xor_b32_e32 v13, v13, v30
	v_mad_u64_u32 v[14:15], s[0:1], v13, s59, 0
	v_add_co_u32_e32 v7, vcc, 1, v7
	v_xor_b32_e32 v13, v15, v28
	v_cndmask_b32_e64 v15, 0, 1, vcc
	v_addc_co_u32_e32 v11, vcc, 0, v11, vcc
	v_cmp_eq_u32_e32 vcc, 0, v11
	v_cndmask_b32_e32 v15, 0, v15, vcc
	v_add_u32_e32 v28, v15, v5
	v_mad_u64_u32 v[32:33], s[0:1], v28, s56, 0
	v_cmp_eq_u32_e32 vcc, 0, v28
	v_mad_u64_u32 v[30:31], s[0:1], v7, s59, 0
	v_xor_b32_e32 v7, v33, v22
	v_cndmask_b32_e32 v15, 0, v15, vcc
	v_xor_b32_e32 v7, v11, v7
	v_xor_b32_e32 v11, v31, v23
	;; [unrolled: 1-line block ×3, first 2 shown]
	v_mad_u64_u32 v[34:35], s[0:1], v11, s56, 0
	v_add_u32_e32 v25, 0xdb3d7428, v23
	v_add_u32_e32 v27, 0x8ff34781, v22
	;; [unrolled: 1-line block ×3, first 2 shown]
	v_mad_u64_u32 v[22:23], s[0:1], v7, s59, 0
	v_xor_b32_e32 v7, v42, v35
	v_xor_b32_e32 v7, v7, v32
	v_xor_b32_e32 v11, v43, v23
	v_xor_b32_e32 v11, v11, v30
	v_mad_u64_u32 v[30:31], s[0:1], v7, s59, 0
	v_mad_u64_u32 v[32:33], s[0:1], v11, s56, 0
	v_xor_b32_e32 v11, v45, v31
	v_xor_b32_e32 v7, v44, v33
	v_xor_b32_e32 v11, v11, v22
	v_xor_b32_e32 v7, v7, v34
	v_mad_u64_u32 v[34:35], s[0:1], v11, s56, 0
	;; [unrolled: 6-line block ×7, first 2 shown]
	v_xor_b32_e32 v7, v25, v33
	v_xor_b32_e32 v7, v7, v22
	v_mad_u64_u32 v[34:35], s[0:1], v11, s56, 0
	v_mad_u64_u32 v[22:23], s[0:1], v7, s56, 0
	v_xor_b32_e32 v7, v23, v34
	v_xor_b32_e32 v13, v41, v13
	;; [unrolled: 1-line block ×3, first 2 shown]
	v_cmp_lt_i32_e32 vcc, 1, v9
                                        ; implicit-def: $vgpr11
	s_and_saveexec_b64 s[0:1], vcc
	s_xor_b64 s[0:1], exec, s[0:1]
	s_cbranch_execz .LBB5_39
; %bb.34:                               ;   in Loop: Header=BB5_3 Depth=1
	v_cmp_lt_i32_e32 vcc, 2, v9
                                        ; implicit-def: $vgpr11
	s_and_saveexec_b64 s[2:3], vcc
	s_xor_b64 s[2:3], exec, s[2:3]
; %bb.35:                               ;   in Loop: Header=BB5_3 Depth=1
	v_xor_b32_e32 v9, v40, v35
	v_xor_b32_e32 v9, v9, v30
	v_mul_hi_u32 v9, v9, s59
	v_xor_b32_e32 v9, v9, v32
	v_xor_b32_e32 v11, v41, v9
                                        ; implicit-def: $vgpr13
; %bb.36:                               ;   in Loop: Header=BB5_3 Depth=1
	s_andn2_saveexec_b64 s[2:3], s[2:3]
; %bb.37:                               ;   in Loop: Header=BB5_3 Depth=1
	v_mov_b32_e32 v11, v22
	v_mov_b32_e32 v22, v7
	;; [unrolled: 1-line block ×4, first 2 shown]
; %bb.38:                               ;   in Loop: Header=BB5_3 Depth=1
	s_or_b64 exec, exec, s[2:3]
                                        ; implicit-def: $vgpr24_vgpr25
                                        ; implicit-def: $vgpr26_vgpr27
                                        ; implicit-def: $vgpr9
                                        ; implicit-def: $vgpr13
                                        ; implicit-def: $vgpr28_vgpr29
                                        ; implicit-def: $vgpr25
                                        ; implicit-def: $vgpr27
.LBB5_39:                               ;   in Loop: Header=BB5_3 Depth=1
	s_andn2_saveexec_b64 s[0:1], s[0:1]
	s_cbranch_execz .LBB5_43
; %bb.40:                               ;   in Loop: Header=BB5_3 Depth=1
	v_xor_b32_e32 v11, v25, v29
	v_xor_b32_e32 v11, v11, v24
	v_mad_u64_u32 v[24:25], s[2:3], v11, s56, 0
	v_xor_b32_e32 v11, v25, v26
	v_xor_b32_e32 v15, v27, v11
	v_cmp_eq_u32_e32 vcc, 1, v9
	v_mov_b32_e32 v11, v14
	v_mov_b32_e32 v22, v13
	;; [unrolled: 1-line block ×3, first 2 shown]
	s_and_saveexec_b64 s[2:3], vcc
; %bb.41:                               ;   in Loop: Header=BB5_3 Depth=1
	v_mov_b32_e32 v11, v7
	v_mov_b32_e32 v22, v14
	;; [unrolled: 1-line block ×4, first 2 shown]
; %bb.42:                               ;   in Loop: Header=BB5_3 Depth=1
	s_or_b64 exec, exec, s[2:3]
	v_mov_b32_e32 v14, v15
	v_mov_b32_e32 v7, v9
.LBB5_43:                               ;   in Loop: Header=BB5_3 Depth=1
	s_or_b64 exec, exec, s[0:1]
	v_min_i32_e32 v9, 4, v39
	v_cmp_lt_i32_e32 vcc, 2, v9
	s_mov_b64 s[2:3], 0
	s_mov_b64 s[52:53], 0
	;; [unrolled: 1-line block ×3, first 2 shown]
                                        ; implicit-def: $sgpr42_sgpr43
                                        ; implicit-def: $sgpr44_sgpr45
                                        ; implicit-def: $sgpr46_sgpr47
	s_and_saveexec_b64 s[0:1], vcc
	s_xor_b64 s[48:49], exec, s[0:1]
	s_cbranch_execz .LBB5_55
; %bb.44:                               ;   in Loop: Header=BB5_3 Depth=1
	v_cmp_lt_i32_e32 vcc, 3, v9
	s_mov_b64 s[0:1], -1
	s_mov_b64 s[50:51], 0
                                        ; implicit-def: $sgpr40_sgpr41
                                        ; implicit-def: $sgpr42_sgpr43
	s_and_saveexec_b64 s[44:45], vcc
	s_cbranch_execz .LBB5_50
; %bb.45:                               ;   in Loop: Header=BB5_3 Depth=1
	v_cmp_eq_u32_e32 vcc, 4, v9
	s_mov_b64 s[0:1], 0
	s_mov_b64 s[52:53], -1
                                        ; implicit-def: $sgpr40_sgpr41
                                        ; implicit-def: $sgpr42_sgpr43
	s_and_saveexec_b64 s[46:47], vcc
	s_cbranch_execz .LBB5_49
; %bb.46:                               ;   in Loop: Header=BB5_3 Depth=1
	s_waitcnt vmcnt(0)
	v_cmp_le_f64_e32 vcc, 0, v[20:21]
	v_cmp_ge_f64_e64 s[0:1], 1.0, v[20:21]
	s_and_b64 s[52:53], vcc, s[0:1]
	s_mov_b64 s[40:41], 0
	s_mov_b64 s[0:1], 0
	s_and_saveexec_b64 s[42:43], s[52:53]
	s_cbranch_execz .LBB5_48
; %bb.47:                               ;   in Loop: Header=BB5_3 Depth=1
	v_cvt_f32_u32_e32 v11, v11
	v_mov_b32_e32 v13, 0x2f800000
	v_lshlrev_b64 v[18:19], 3, v[18:19]
	v_add_co_u32_e32 v18, vcc, s12, v18
	v_fmac_f32_e32 v13, 0x2f800000, v11
	v_mov_b32_e32 v11, s13
	v_addc_co_u32_e32 v19, vcc, v11, v19, vcc
	v_cvt_f64_f32_e32 v[24:25], v13
	v_cmp_ge_f64_e32 vcc, v[20:21], v[24:25]
	s_mov_b64 s[0:1], exec
	v_cndmask_b32_e32 v21, 0, v38, vcc
	v_mov_b32_e32 v20, v3
	global_store_dwordx2 v[18:19], v[20:21], off
.LBB5_48:                               ;   in Loop: Header=BB5_3 Depth=1
	s_or_b64 exec, exec, s[42:43]
	s_mov_b64 s[42:43], -1
	s_xor_b64 s[52:53], exec, -1
	s_and_b64 s[0:1], s[0:1], exec
.LBB5_49:                               ;   in Loop: Header=BB5_3 Depth=1
	s_or_b64 exec, exec, s[46:47]
	s_and_b64 s[52:53], s[52:53], exec
	s_orn2_b64 s[0:1], s[0:1], exec
.LBB5_50:                               ;   in Loop: Header=BB5_3 Depth=1
	s_or_b64 exec, exec, s[44:45]
	s_mov_b64 s[46:47], s[40:41]
	s_and_saveexec_b64 s[44:45], s[0:1]
	s_cbranch_execz .LBB5_54
; %bb.51:                               ;   in Loop: Header=BB5_3 Depth=1
	v_lshlrev_b64 v[16:17], 3, v[16:17]
	v_mov_b32_e32 v11, s17
	v_add_co_u32_e32 v16, vcc, s16, v16
	v_addc_co_u32_e32 v17, vcc, v11, v17, vcc
	global_load_dwordx2 v[16:17], v[16:17], off
	s_waitcnt vmcnt(0)
	v_cmp_le_f64_e32 vcc, 0, v[16:17]
	v_cmp_ge_f64_e64 s[0:1], 1.0, v[16:17]
	s_and_b64 s[46:47], vcc, s[0:1]
	s_mov_b64 s[0:1], 0
	s_and_saveexec_b64 s[50:51], s[46:47]
	s_xor_b64 s[46:47], exec, s[50:51]
	s_cbranch_execz .LBB5_53
; %bb.52:                               ;   in Loop: Header=BB5_3 Depth=1
	v_cvt_f32_u32_e32 v11, v22
	v_mov_b32_e32 v13, v3
	v_mov_b32_e32 v15, 0x2f800000
	v_lshlrev_b64 v[12:13], 3, v[12:13]
	v_fmac_f32_e32 v15, 0x2f800000, v11
	v_mov_b32_e32 v11, s13
	v_add_co_u32_e32 v12, vcc, s12, v12
	v_addc_co_u32_e32 v13, vcc, v11, v13, vcc
	v_cvt_f64_f32_e32 v[18:19], v15
	v_cmp_ge_f64_e32 vcc, v[16:17], v[18:19]
	v_cndmask_b32_e32 v17, 0, v38, vcc
	v_mov_b32_e32 v16, v3
	s_mov_b64 s[0:1], exec
	global_store_dwordx2 v[12:13], v[16:17], off
.LBB5_53:                               ;   in Loop: Header=BB5_3 Depth=1
	s_or_b64 exec, exec, s[46:47]
	s_andn2_b64 s[46:47], s[40:41], exec
	s_or_b64 s[40:41], s[40:41], exec
	s_andn2_b64 s[42:43], s[42:43], exec
	s_and_b64 s[50:51], s[0:1], exec
.LBB5_54:                               ;   in Loop: Header=BB5_3 Depth=1
	s_or_b64 exec, exec, s[44:45]
	s_and_b64 s[46:47], s[46:47], exec
	s_and_b64 s[44:45], s[40:41], exec
	;; [unrolled: 1-line block ×5, first 2 shown]
.LBB5_55:                               ;   in Loop: Header=BB5_3 Depth=1
	s_andn2_saveexec_b64 s[0:1], s[48:49]
; %bb.56:                               ;   in Loop: Header=BB5_3 Depth=1
	v_cmp_lt_i32_e32 vcc, 1, v9
	s_andn2_b64 s[48:49], s[52:53], exec
	s_and_b64 s[50:51], vcc, exec
	s_mov_b64 s[2:3], exec
	s_andn2_b64 s[46:47], s[46:47], exec
	s_andn2_b64 s[44:45], s[44:45], exec
	;; [unrolled: 1-line block ×3, first 2 shown]
	s_or_b64 s[52:53], s[48:49], s[50:51]
; %bb.57:                               ;   in Loop: Header=BB5_3 Depth=1
	s_or_b64 exec, exec, s[0:1]
	s_mov_b64 s[0:1], 0
	s_mov_b64 s[48:49], s[46:47]
	s_and_saveexec_b64 s[50:51], s[52:53]
	s_cbranch_execnz .LBB5_60
; %bb.58:                               ;   in Loop: Header=BB5_3 Depth=1
	s_or_b64 exec, exec, s[50:51]
	s_and_saveexec_b64 s[50:51], s[2:3]
	s_cbranch_execnz .LBB5_63
.LBB5_59:                               ;   in Loop: Header=BB5_3 Depth=1
	s_or_b64 exec, exec, s[50:51]
	s_and_saveexec_b64 s[2:3], s[0:1]
	s_cbranch_execnz .LBB5_64
	s_branch .LBB5_67
.LBB5_60:                               ;   in Loop: Header=BB5_3 Depth=1
	v_lshlrev_b64 v[12:13], 3, v[2:3]
	v_mov_b32_e32 v2, s17
	v_add_co_u32_e32 v12, vcc, s16, v12
	v_addc_co_u32_e32 v13, vcc, v2, v13, vcc
	global_load_dwordx2 v[12:13], v[12:13], off
	s_waitcnt vmcnt(0)
	v_cmp_le_f64_e32 vcc, 0, v[12:13]
	v_cmp_ge_f64_e64 s[0:1], 1.0, v[12:13]
	s_and_b64 s[48:49], vcc, s[0:1]
	s_mov_b64 s[0:1], 0
	s_and_saveexec_b64 s[52:53], s[48:49]
	s_xor_b64 s[48:49], exec, s[52:53]
	s_cbranch_execz .LBB5_62
; %bb.61:                               ;   in Loop: Header=BB5_3 Depth=1
	v_cvt_f32_u32_e32 v2, v7
	v_mov_b32_e32 v11, v3
	v_mov_b32_e32 v7, 0x2f800000
	v_lshlrev_b64 v[10:11], 3, v[10:11]
	v_fmac_f32_e32 v7, 0x2f800000, v2
	v_mov_b32_e32 v2, s13
	v_add_co_u32_e32 v10, vcc, s12, v10
	v_addc_co_u32_e32 v11, vcc, v2, v11, vcc
	v_cvt_f64_f32_e32 v[16:17], v7
	v_cmp_ge_f64_e32 vcc, v[12:13], v[16:17]
	v_cndmask_b32_e32 v13, 0, v38, vcc
	v_mov_b32_e32 v12, v3
	s_mov_b64 s[0:1], exec
	global_store_dwordx2 v[10:11], v[12:13], off
.LBB5_62:                               ;   in Loop: Header=BB5_3 Depth=1
	s_or_b64 exec, exec, s[48:49]
	s_andn2_b64 s[48:49], s[46:47], exec
	s_or_b64 s[46:47], s[46:47], exec
	s_andn2_b64 s[44:45], s[44:45], exec
	s_andn2_b64 s[42:43], s[42:43], exec
	s_and_b64 s[0:1], s[0:1], exec
	s_andn2_b64 s[2:3], s[2:3], exec
	s_or_b64 exec, exec, s[50:51]
	s_and_saveexec_b64 s[50:51], s[2:3]
	s_cbranch_execz .LBB5_59
.LBB5_63:                               ;   in Loop: Header=BB5_3 Depth=1
	v_cmp_eq_u32_e32 vcc, 1, v9
	s_andn2_b64 s[0:1], s[0:1], exec
	s_and_b64 s[2:3], vcc, exec
	s_andn2_b64 s[48:49], s[48:49], exec
	s_andn2_b64 s[46:47], s[46:47], exec
	;; [unrolled: 1-line block ×4, first 2 shown]
	s_or_b64 s[40:41], s[40:41], exec
	s_or_b64 s[0:1], s[0:1], s[2:3]
	s_or_b64 exec, exec, s[50:51]
	s_and_saveexec_b64 s[2:3], s[0:1]
	s_cbranch_execz .LBB5_67
.LBB5_64:                               ;   in Loop: Header=BB5_3 Depth=1
	v_mov_b32_e32 v9, v3
	v_lshlrev_b64 v[8:9], 3, v[8:9]
	v_mov_b32_e32 v2, s17
	v_add_co_u32_e32 v8, vcc, s16, v8
	v_addc_co_u32_e32 v9, vcc, v2, v9, vcc
	global_load_dwordx2 v[8:9], v[8:9], off
	s_waitcnt vmcnt(0)
	v_cmp_le_f64_e32 vcc, 0, v[8:9]
	v_cmp_ge_f64_e64 s[0:1], 1.0, v[8:9]
	s_and_b64 s[52:53], vcc, s[0:1]
	s_mov_b64 s[0:1], 0
	s_and_saveexec_b64 s[50:51], s[52:53]
	s_cbranch_execz .LBB5_66
; %bb.65:                               ;   in Loop: Header=BB5_3 Depth=1
	v_cvt_f32_u32_e32 v2, v14
	v_mov_b32_e32 v7, v3
	v_mov_b32_e32 v10, 0x2f800000
	v_lshlrev_b64 v[6:7], 3, v[6:7]
	v_fmac_f32_e32 v10, 0x2f800000, v2
	v_mov_b32_e32 v2, s13
	v_add_co_u32_e32 v6, vcc, s12, v6
	v_addc_co_u32_e32 v7, vcc, v2, v7, vcc
	v_cvt_f64_f32_e32 v[10:11], v10
	v_cmp_ge_f64_e32 vcc, v[8:9], v[10:11]
	s_mov_b64 s[0:1], exec
	v_cndmask_b32_e32 v9, 0, v38, vcc
	v_mov_b32_e32 v8, v3
	global_store_dwordx2 v[6:7], v[8:9], off
.LBB5_66:                               ;   in Loop: Header=BB5_3 Depth=1
	s_or_b64 exec, exec, s[50:51]
	s_andn2_b64 s[40:41], s[40:41], exec
	s_and_b64 s[0:1], s[0:1], exec
	s_or_b64 s[48:49], s[48:49], exec
	s_andn2_b64 s[46:47], s[46:47], exec
	s_andn2_b64 s[44:45], s[44:45], exec
	;; [unrolled: 1-line block ×3, first 2 shown]
	s_or_b64 s[40:41], s[40:41], s[0:1]
.LBB5_67:                               ;   in Loop: Header=BB5_3 Depth=1
	s_or_b64 exec, exec, s[2:3]
	s_andn2_b64 s[2:3], s[38:39], exec
	s_and_b64 s[38:39], s[48:49], exec
	s_or_b64 s[38:39], s[2:3], s[38:39]
	s_andn2_b64 s[2:3], s[36:37], exec
	s_and_b64 s[36:37], s[46:47], exec
	s_or_b64 s[36:37], s[2:3], s[36:37]
	;; [unrolled: 3-line block ×3, first 2 shown]
	s_andn2_b64 s[2:3], s[30:31], exec
	s_and_b64 s[30:31], s[42:43], exec
	s_mov_b64 s[0:1], -1
	s_or_b64 s[30:31], s[2:3], s[30:31]
	s_and_saveexec_b64 s[2:3], s[40:41]
	s_cbranch_execz .LBB5_2
; %bb.68:                               ;   in Loop: Header=BB5_3 Depth=1
	v_add_u32_e32 v36, s57, v36
	v_cmp_le_u32_e32 vcc, s33, v36
	s_andn2_b64 s[38:39], s[38:39], exec
	s_andn2_b64 s[36:37], s[36:37], exec
	;; [unrolled: 1-line block ×4, first 2 shown]
	s_orn2_b64 s[0:1], vcc, exec
	s_branch .LBB5_2
.LBB5_69:
	s_or_b64 exec, exec, s[22:23]
	s_xor_b64 s[6:7], s[28:29], -1
	s_xor_b64 s[8:9], s[26:27], -1
	;; [unrolled: 1-line block ×3, first 2 shown]
	s_mov_b64 s[2:3], 0
	s_and_saveexec_b64 s[4:5], s[0:1]
	s_xor_b64 s[0:1], exec, s[4:5]
	s_cbranch_execnz .LBB5_74
; %bb.70:
	s_andn2_saveexec_b64 s[0:1], s[0:1]
	s_cbranch_execnz .LBB5_82
.LBB5_71:
	s_or_b64 exec, exec, s[0:1]
	s_and_b64 exec, exec, s[2:3]
.LBB5_72:
	; divergent unreachable
.LBB5_73:
	s_endpgm
.LBB5_74:
	s_mov_b64 s[4:5], 0
	s_and_saveexec_b64 s[2:3], s[8:9]
	s_xor_b64 s[2:3], exec, s[2:3]
	s_cbranch_execz .LBB5_80
; %bb.75:
	s_and_saveexec_b64 s[8:9], s[6:7]
	s_xor_b64 s[6:7], exec, s[8:9]
	s_cbranch_execz .LBB5_78
; %bb.76:
	s_and_saveexec_b64 s[8:9], s[18:19]
	s_xor_b64 s[8:9], exec, s[8:9]
	s_cbranch_execnz .LBB5_85
.LBB5_77:
	s_or_b64 exec, exec, s[8:9]
	s_and_b64 s[4:5], s[4:5], exec
.LBB5_78:
	s_andn2_saveexec_b64 s[6:7], s[6:7]
	s_cbranch_execnz .LBB5_84
.LBB5_79:
	s_or_b64 exec, exec, s[6:7]
	s_and_b64 s[4:5], s[4:5], exec
.LBB5_80:
	s_andn2_saveexec_b64 s[2:3], s[2:3]
	s_cbranch_execnz .LBB5_83
.LBB5_81:
	s_or_b64 exec, exec, s[2:3]
	s_and_b64 s[2:3], s[4:5], exec
	s_andn2_saveexec_b64 s[0:1], s[0:1]
	s_cbranch_execz .LBB5_71
.LBB5_82:
	s_or_b64 s[2:3], s[2:3], exec
	s_trap 2
	s_or_b64 exec, exec, s[0:1]
	s_and_b64 exec, exec, s[2:3]
	s_cbranch_execnz .LBB5_72
	s_branch .LBB5_73
.LBB5_83:
	s_or_b64 s[4:5], s[4:5], exec
	s_trap 2
	s_branch .LBB5_81
.LBB5_84:
	s_trap 2
	s_or_b64 s[4:5], s[4:5], exec
	s_branch .LBB5_79
.LBB5_85:
	s_mov_b64 s[4:5], exec
	s_trap 2
	s_branch .LBB5_77
	.section	.rodata,"a",@progbits
	.p2align	6, 0x0
	.amdhsa_kernel _ZN2at4cuda12_GLOBAL__N_121kernelPointwiseApply2IZNS_6native9templates4cuda28bernoulli_tensor_cuda_kernelIddEEvRKNS_10TensorBaseES9_NS_15PhiloxCudaStateEEUliRdSB_SB_SB_RKdSD_SD_SD_E_dSC_jLi2ELin1ELi4ELi512ELi2EEEvNS0_6detail10TensorInfoIT0_T2_EENSG_IT1_SI_EESI_T_
		.amdhsa_group_segment_fixed_size 0
		.amdhsa_private_segment_fixed_size 0
		.amdhsa_kernarg_size 728
		.amdhsa_user_sgpr_count 6
		.amdhsa_user_sgpr_private_segment_buffer 1
		.amdhsa_user_sgpr_dispatch_ptr 0
		.amdhsa_user_sgpr_queue_ptr 0
		.amdhsa_user_sgpr_kernarg_segment_ptr 1
		.amdhsa_user_sgpr_dispatch_id 0
		.amdhsa_user_sgpr_flat_scratch_init 0
		.amdhsa_user_sgpr_kernarg_preload_length 0
		.amdhsa_user_sgpr_kernarg_preload_offset 0
		.amdhsa_user_sgpr_private_segment_size 0
		.amdhsa_uses_dynamic_stack 0
		.amdhsa_system_sgpr_private_segment_wavefront_offset 0
		.amdhsa_system_sgpr_workgroup_id_x 1
		.amdhsa_system_sgpr_workgroup_id_y 0
		.amdhsa_system_sgpr_workgroup_id_z 0
		.amdhsa_system_sgpr_workgroup_info 0
		.amdhsa_system_vgpr_workitem_id 0
		.amdhsa_next_free_vgpr 56
		.amdhsa_next_free_sgpr 61
		.amdhsa_accum_offset 56
		.amdhsa_reserve_vcc 1
		.amdhsa_reserve_flat_scratch 0
		.amdhsa_float_round_mode_32 0
		.amdhsa_float_round_mode_16_64 0
		.amdhsa_float_denorm_mode_32 3
		.amdhsa_float_denorm_mode_16_64 3
		.amdhsa_dx10_clamp 1
		.amdhsa_ieee_mode 1
		.amdhsa_fp16_overflow 0
		.amdhsa_tg_split 0
		.amdhsa_exception_fp_ieee_invalid_op 0
		.amdhsa_exception_fp_denorm_src 0
		.amdhsa_exception_fp_ieee_div_zero 0
		.amdhsa_exception_fp_ieee_overflow 0
		.amdhsa_exception_fp_ieee_underflow 0
		.amdhsa_exception_fp_ieee_inexact 0
		.amdhsa_exception_int_div_zero 0
	.end_amdhsa_kernel
	.section	.text._ZN2at4cuda12_GLOBAL__N_121kernelPointwiseApply2IZNS_6native9templates4cuda28bernoulli_tensor_cuda_kernelIddEEvRKNS_10TensorBaseES9_NS_15PhiloxCudaStateEEUliRdSB_SB_SB_RKdSD_SD_SD_E_dSC_jLi2ELin1ELi4ELi512ELi2EEEvNS0_6detail10TensorInfoIT0_T2_EENSG_IT1_SI_EESI_T_,"axG",@progbits,_ZN2at4cuda12_GLOBAL__N_121kernelPointwiseApply2IZNS_6native9templates4cuda28bernoulli_tensor_cuda_kernelIddEEvRKNS_10TensorBaseES9_NS_15PhiloxCudaStateEEUliRdSB_SB_SB_RKdSD_SD_SD_E_dSC_jLi2ELin1ELi4ELi512ELi2EEEvNS0_6detail10TensorInfoIT0_T2_EENSG_IT1_SI_EESI_T_,comdat
.Lfunc_end5:
	.size	_ZN2at4cuda12_GLOBAL__N_121kernelPointwiseApply2IZNS_6native9templates4cuda28bernoulli_tensor_cuda_kernelIddEEvRKNS_10TensorBaseES9_NS_15PhiloxCudaStateEEUliRdSB_SB_SB_RKdSD_SD_SD_E_dSC_jLi2ELin1ELi4ELi512ELi2EEEvNS0_6detail10TensorInfoIT0_T2_EENSG_IT1_SI_EESI_T_, .Lfunc_end5-_ZN2at4cuda12_GLOBAL__N_121kernelPointwiseApply2IZNS_6native9templates4cuda28bernoulli_tensor_cuda_kernelIddEEvRKNS_10TensorBaseES9_NS_15PhiloxCudaStateEEUliRdSB_SB_SB_RKdSD_SD_SD_E_dSC_jLi2ELin1ELi4ELi512ELi2EEEvNS0_6detail10TensorInfoIT0_T2_EENSG_IT1_SI_EESI_T_
                                        ; -- End function
	.section	.AMDGPU.csdata,"",@progbits
; Kernel info:
; codeLenInByte = 3992
; NumSgprs: 65
; NumVgprs: 56
; NumAgprs: 0
; TotalNumVgprs: 56
; ScratchSize: 0
; MemoryBound: 0
; FloatMode: 240
; IeeeMode: 1
; LDSByteSize: 0 bytes/workgroup (compile time only)
; SGPRBlocks: 8
; VGPRBlocks: 6
; NumSGPRsForWavesPerEU: 65
; NumVGPRsForWavesPerEU: 56
; AccumOffset: 56
; Occupancy: 8
; WaveLimiterHint : 1
; COMPUTE_PGM_RSRC2:SCRATCH_EN: 0
; COMPUTE_PGM_RSRC2:USER_SGPR: 6
; COMPUTE_PGM_RSRC2:TRAP_HANDLER: 0
; COMPUTE_PGM_RSRC2:TGID_X_EN: 1
; COMPUTE_PGM_RSRC2:TGID_Y_EN: 0
; COMPUTE_PGM_RSRC2:TGID_Z_EN: 0
; COMPUTE_PGM_RSRC2:TIDIG_COMP_CNT: 0
; COMPUTE_PGM_RSRC3_GFX90A:ACCUM_OFFSET: 13
; COMPUTE_PGM_RSRC3_GFX90A:TG_SPLIT: 0
	.section	.text._ZN2at4cuda12_GLOBAL__N_121kernelPointwiseApply2IZNS_6native9templates4cuda28bernoulli_tensor_cuda_kernelIddEEvRKNS_10TensorBaseES9_NS_15PhiloxCudaStateEEUliRdSB_SB_SB_RKdSD_SD_SD_E_dSC_jLin1ELi1ELi4ELi512ELi2EEEvNS0_6detail10TensorInfoIT0_T2_EENSG_IT1_SI_EESI_T_,"axG",@progbits,_ZN2at4cuda12_GLOBAL__N_121kernelPointwiseApply2IZNS_6native9templates4cuda28bernoulli_tensor_cuda_kernelIddEEvRKNS_10TensorBaseES9_NS_15PhiloxCudaStateEEUliRdSB_SB_SB_RKdSD_SD_SD_E_dSC_jLin1ELi1ELi4ELi512ELi2EEEvNS0_6detail10TensorInfoIT0_T2_EENSG_IT1_SI_EESI_T_,comdat
	.globl	_ZN2at4cuda12_GLOBAL__N_121kernelPointwiseApply2IZNS_6native9templates4cuda28bernoulli_tensor_cuda_kernelIddEEvRKNS_10TensorBaseES9_NS_15PhiloxCudaStateEEUliRdSB_SB_SB_RKdSD_SD_SD_E_dSC_jLin1ELi1ELi4ELi512ELi2EEEvNS0_6detail10TensorInfoIT0_T2_EENSG_IT1_SI_EESI_T_ ; -- Begin function _ZN2at4cuda12_GLOBAL__N_121kernelPointwiseApply2IZNS_6native9templates4cuda28bernoulli_tensor_cuda_kernelIddEEvRKNS_10TensorBaseES9_NS_15PhiloxCudaStateEEUliRdSB_SB_SB_RKdSD_SD_SD_E_dSC_jLin1ELi1ELi4ELi512ELi2EEEvNS0_6detail10TensorInfoIT0_T2_EENSG_IT1_SI_EESI_T_
	.p2align	8
	.type	_ZN2at4cuda12_GLOBAL__N_121kernelPointwiseApply2IZNS_6native9templates4cuda28bernoulli_tensor_cuda_kernelIddEEvRKNS_10TensorBaseES9_NS_15PhiloxCudaStateEEUliRdSB_SB_SB_RKdSD_SD_SD_E_dSC_jLin1ELi1ELi4ELi512ELi2EEEvNS0_6detail10TensorInfoIT0_T2_EENSG_IT1_SI_EESI_T_,@function
_ZN2at4cuda12_GLOBAL__N_121kernelPointwiseApply2IZNS_6native9templates4cuda28bernoulli_tensor_cuda_kernelIddEEvRKNS_10TensorBaseES9_NS_15PhiloxCudaStateEEUliRdSB_SB_SB_RKdSD_SD_SD_E_dSC_jLin1ELi1ELi4ELi512ELi2EEEvNS0_6detail10TensorInfoIT0_T2_EENSG_IT1_SI_EESI_T_: ; @_ZN2at4cuda12_GLOBAL__N_121kernelPointwiseApply2IZNS_6native9templates4cuda28bernoulli_tensor_cuda_kernelIddEEvRKNS_10TensorBaseES9_NS_15PhiloxCudaStateEEUliRdSB_SB_SB_RKdSD_SD_SD_E_dSC_jLin1ELi1ELi4ELi512ELi2EEEvNS0_6detail10TensorInfoIT0_T2_EENSG_IT1_SI_EESI_T_
; %bb.0:
	s_load_dword s2, s[4:5], 0x1e4
	s_load_dword s33, s[4:5], 0x1b0
	s_add_u32 s0, s4, 0x1d8
	s_addc_u32 s1, s5, 0
	s_waitcnt lgkmcnt(0)
	s_and_b32 s2, s2, 0xffff
	s_mul_i32 s6, s6, s2
	v_add_u32_e32 v5, s6, v0
	v_lshlrev_b32_e32 v32, 2, v5
	v_cmp_gt_u32_e32 vcc, s33, v32
	s_and_saveexec_b64 s[6:7], vcc
	s_cbranch_execz .LBB6_65
; %bb.1:
	s_load_dword s3, s[0:1], 0x0
	s_load_dword s62, s[4:5], 0x144
	s_load_dwordx4 s[12:15], s[4:5], 0x1b8
	s_load_dwordx2 s[10:11], s[4:5], 0xd8
	s_load_dword s6, s[4:5], 0xd0
	s_waitcnt lgkmcnt(0)
	s_mul_i32 s7, s3, s2
	s_load_dwordx2 s[16:17], s[4:5], 0x1c8
	s_load_dword s2, s[4:5], 0x1d0
	s_load_dword s63, s[4:5], 0x6c
	s_mov_b32 s64, 0xcd9e8d57
	s_load_dwordx2 s[18:19], s[4:5], 0x0
	s_cmp_gt_i32 s6, 1
	s_cselect_b64 s[0:1], -1, 0
	s_waitcnt lgkmcnt(0)
	s_bitcmp1_b32 s2, 0
	v_mad_u64_u32 v[0:1], s[2:3], v5, s64, 0
	s_cselect_b64 s[22:23], -1, 0
	s_add_i32 s2, s6, -1
	s_mov_b32 s3, 0
	s_lshl_b32 s65, s7, 2
	s_add_i32 s66, s6, 1
	s_lshl_b64 s[2:3], s[2:3], 2
	s_add_u32 s2, s2, s4
	s_addc_u32 s3, s3, s5
	v_mov_b32_e32 v4, v1
	s_add_u32 s24, s2, 8
	v_cndmask_b32_e64 v1, 0, 1, s[0:1]
	v_mov_b32_e32 v3, 0
	s_addc_u32 s25, s3, 0
	s_mov_b64 s[26:27], 0
	s_mov_b32 s67, 0xd2511f53
	v_cmp_ne_u32_e64 s[0:1], 1, v1
	s_mov_b32 s68, 0xf1bbcdc8
	v_mov_b32_e32 v1, 0x3ff00000
                                        ; implicit-def: $sgpr28_sgpr29
                                        ; implicit-def: $sgpr30_sgpr31
                                        ; implicit-def: $sgpr34_sgpr35
                                        ; implicit-def: $sgpr20_sgpr21
                                        ; implicit-def: $sgpr36_sgpr37
                                        ; implicit-def: $sgpr38_sgpr39
                                        ; implicit-def: $sgpr40_sgpr41
                                        ; implicit-def: $sgpr42_sgpr43
	s_branch .LBB6_3
.LBB6_2:                                ;   in Loop: Header=BB6_3 Depth=1
	s_or_b64 exec, exec, s[4:5]
	s_and_b64 s[2:3], exec, s[2:3]
	s_or_b64 s[26:27], s[2:3], s[26:27]
	s_andn2_b64 s[2:3], s[20:21], exec
	s_and_b64 s[4:5], s[42:43], exec
	s_or_b64 s[20:21], s[2:3], s[4:5]
	s_andn2_b64 s[2:3], s[34:35], exec
	s_and_b64 s[4:5], s[40:41], exec
	;; [unrolled: 3-line block ×4, first 2 shown]
	s_or_b64 s[28:29], s[2:3], s[4:5]
	s_andn2_b64 exec, exec, s[26:27]
	s_cbranch_execz .LBB6_61
.LBB6_3:                                ; =>This Loop Header: Depth=1
                                        ;     Child Loop BB6_6 Depth 2
                                        ;     Child Loop BB6_11 Depth 2
	;; [unrolled: 1-line block ×4, first 2 shown]
	v_sub_u32_e32 v33, s33, v32
	v_cmp_lt_i32_e64 s[2:3], 0, v33
	v_mov_b32_e32 v6, 0
	s_and_saveexec_b64 s[4:5], s[2:3]
	s_cbranch_execz .LBB6_8
; %bb.4:                                ;   in Loop: Header=BB6_3 Depth=1
	s_and_b64 vcc, exec, s[0:1]
	v_mov_b32_e32 v6, 0
	v_mov_b32_e32 v2, v32
	s_cbranch_vccnz .LBB6_7
; %bb.5:                                ;   in Loop: Header=BB6_3 Depth=1
	v_mov_b32_e32 v6, 0
	s_mov_b64 s[6:7], s[24:25]
	s_mov_b32 s8, s66
	v_mov_b32_e32 v2, v32
.LBB6_6:                                ;   Parent Loop BB6_3 Depth=1
                                        ; =>  This Inner Loop Header: Depth=2
	s_load_dword s9, s[6:7], 0x0
	s_load_dword s44, s[6:7], 0x64
	v_mov_b32_e32 v7, v2
	s_add_i32 s8, s8, -1
	s_waitcnt lgkmcnt(0)
	v_cvt_f32_u32_e32 v2, s9
	s_sub_i32 s45, 0, s9
	s_add_u32 s6, s6, -4
	s_addc_u32 s7, s7, -1
	v_rcp_iflag_f32_e32 v2, v2
	s_cmp_gt_u32 s8, 2
	v_mul_f32_e32 v2, 0x4f7ffffe, v2
	v_cvt_u32_f32_e32 v2, v2
	v_mul_lo_u32 v8, s45, v2
	v_mul_hi_u32 v8, v2, v8
	v_add_u32_e32 v2, v2, v8
	v_mul_hi_u32 v2, v7, v2
	v_mul_lo_u32 v8, v2, s9
	v_sub_u32_e32 v8, v7, v8
	v_add_u32_e32 v9, 1, v2
	v_cmp_le_u32_e32 vcc, s9, v8
	v_cndmask_b32_e32 v2, v2, v9, vcc
	v_subrev_u32_e32 v9, s9, v8
	v_cndmask_b32_e32 v8, v8, v9, vcc
	v_add_u32_e32 v9, 1, v2
	v_cmp_le_u32_e32 vcc, s9, v8
	v_cndmask_b32_e32 v2, v2, v9, vcc
	v_mul_lo_u32 v8, v2, s9
	v_sub_u32_e32 v7, v7, v8
	v_mad_u64_u32 v[6:7], s[44:45], s44, v7, v[6:7]
	s_cbranch_scc1 .LBB6_6
.LBB6_7:                                ;   in Loop: Header=BB6_3 Depth=1
	v_mad_u64_u32 v[6:7], s[6:7], s63, v2, v[6:7]
.LBB6_8:                                ;   in Loop: Header=BB6_3 Depth=1
	s_or_b64 exec, exec, s[4:5]
	v_cmp_lt_i32_e64 s[4:5], 1, v33
	v_pk_mov_b32 v[8:9], 0, 0
	s_and_saveexec_b64 s[6:7], s[4:5]
	s_cbranch_execz .LBB6_13
; %bb.9:                                ;   in Loop: Header=BB6_3 Depth=1
	v_or_b32_e32 v2, 1, v32
	s_and_b64 vcc, exec, s[0:1]
	v_mov_b32_e32 v8, 0
	s_cbranch_vccnz .LBB6_12
; %bb.10:                               ;   in Loop: Header=BB6_3 Depth=1
	v_mov_b32_e32 v8, 0
	s_mov_b64 s[8:9], s[24:25]
	s_mov_b32 s44, s66
.LBB6_11:                               ;   Parent Loop BB6_3 Depth=1
                                        ; =>  This Inner Loop Header: Depth=2
	s_load_dword s45, s[8:9], 0x0
	s_load_dword s46, s[8:9], 0x64
	v_mov_b32_e32 v7, v2
	s_add_i32 s44, s44, -1
	s_waitcnt lgkmcnt(0)
	v_cvt_f32_u32_e32 v2, s45
	s_sub_i32 s47, 0, s45
	s_add_u32 s8, s8, -4
	s_addc_u32 s9, s9, -1
	v_rcp_iflag_f32_e32 v2, v2
	s_cmp_gt_u32 s44, 2
	v_mul_f32_e32 v2, 0x4f7ffffe, v2
	v_cvt_u32_f32_e32 v2, v2
	v_mul_lo_u32 v9, s47, v2
	v_mul_hi_u32 v9, v2, v9
	v_add_u32_e32 v2, v2, v9
	v_mul_hi_u32 v2, v7, v2
	v_mul_lo_u32 v9, v2, s45
	v_sub_u32_e32 v9, v7, v9
	v_add_u32_e32 v10, 1, v2
	v_cmp_le_u32_e32 vcc, s45, v9
	v_cndmask_b32_e32 v2, v2, v10, vcc
	v_subrev_u32_e32 v10, s45, v9
	v_cndmask_b32_e32 v9, v9, v10, vcc
	v_add_u32_e32 v10, 1, v2
	v_cmp_le_u32_e32 vcc, s45, v9
	v_cndmask_b32_e32 v2, v2, v10, vcc
	v_mul_lo_u32 v9, v2, s45
	v_sub_u32_e32 v7, v7, v9
	v_mad_u64_u32 v[8:9], s[46:47], s46, v7, v[8:9]
	s_cbranch_scc1 .LBB6_11
.LBB6_12:                               ;   in Loop: Header=BB6_3 Depth=1
	v_mad_u64_u32 v[8:9], s[8:9], s63, v2, v[8:9]
	v_mov_b32_e32 v9, v3
.LBB6_13:                               ;   in Loop: Header=BB6_3 Depth=1
	s_or_b64 exec, exec, s[6:7]
	v_cmp_lt_i32_e64 s[6:7], 2, v33
	v_pk_mov_b32 v[12:13], 0, 0
	s_and_saveexec_b64 s[8:9], s[6:7]
	s_cbranch_execz .LBB6_18
; %bb.14:                               ;   in Loop: Header=BB6_3 Depth=1
	v_or_b32_e32 v2, 2, v32
	s_and_b64 vcc, exec, s[0:1]
	v_mov_b32_e32 v10, 0
	s_cbranch_vccnz .LBB6_17
; %bb.15:                               ;   in Loop: Header=BB6_3 Depth=1
	v_mov_b32_e32 v10, 0
	s_mov_b64 s[44:45], s[24:25]
	s_mov_b32 s46, s66
.LBB6_16:                               ;   Parent Loop BB6_3 Depth=1
                                        ; =>  This Inner Loop Header: Depth=2
	s_load_dword s47, s[44:45], 0x0
	s_load_dword s48, s[44:45], 0x64
	v_mov_b32_e32 v7, v2
	s_add_i32 s46, s46, -1
	s_waitcnt lgkmcnt(0)
	v_cvt_f32_u32_e32 v2, s47
	s_sub_i32 s49, 0, s47
	s_add_u32 s44, s44, -4
	s_addc_u32 s45, s45, -1
	v_rcp_iflag_f32_e32 v2, v2
	s_cmp_gt_u32 s46, 2
	v_mul_f32_e32 v2, 0x4f7ffffe, v2
	v_cvt_u32_f32_e32 v2, v2
	v_mul_lo_u32 v11, s49, v2
	v_mul_hi_u32 v11, v2, v11
	v_add_u32_e32 v2, v2, v11
	v_mul_hi_u32 v2, v7, v2
	v_mul_lo_u32 v11, v2, s47
	v_sub_u32_e32 v11, v7, v11
	v_add_u32_e32 v12, 1, v2
	v_cmp_le_u32_e32 vcc, s47, v11
	v_cndmask_b32_e32 v2, v2, v12, vcc
	v_subrev_u32_e32 v12, s47, v11
	v_cndmask_b32_e32 v11, v11, v12, vcc
	v_add_u32_e32 v12, 1, v2
	v_cmp_le_u32_e32 vcc, s47, v11
	v_cndmask_b32_e32 v2, v2, v12, vcc
	v_mul_lo_u32 v11, v2, s47
	v_sub_u32_e32 v7, v7, v11
	v_mad_u64_u32 v[10:11], s[48:49], s48, v7, v[10:11]
	s_cbranch_scc1 .LBB6_16
.LBB6_17:                               ;   in Loop: Header=BB6_3 Depth=1
	v_mad_u64_u32 v[12:13], s[44:45], s63, v2, v[10:11]
	v_mov_b32_e32 v13, v3
.LBB6_18:                               ;   in Loop: Header=BB6_3 Depth=1
	s_or_b64 exec, exec, s[8:9]
	v_cmp_lt_i32_e64 s[8:9], 3, v33
	v_pk_mov_b32 v[14:15], 0, 0
	s_and_saveexec_b64 s[44:45], s[8:9]
	s_cbranch_execz .LBB6_23
; %bb.19:                               ;   in Loop: Header=BB6_3 Depth=1
	v_or_b32_e32 v2, 3, v32
	s_and_b64 vcc, exec, s[0:1]
	v_mov_b32_e32 v10, 0
	s_cbranch_vccnz .LBB6_22
; %bb.20:                               ;   in Loop: Header=BB6_3 Depth=1
	v_mov_b32_e32 v10, 0
	s_mov_b64 s[46:47], s[24:25]
	s_mov_b32 s48, s66
.LBB6_21:                               ;   Parent Loop BB6_3 Depth=1
                                        ; =>  This Inner Loop Header: Depth=2
	s_load_dword s49, s[46:47], 0x0
	s_load_dword s50, s[46:47], 0x64
	v_mov_b32_e32 v7, v2
	s_add_i32 s48, s48, -1
	s_waitcnt lgkmcnt(0)
	v_cvt_f32_u32_e32 v2, s49
	s_sub_i32 s51, 0, s49
	s_add_u32 s46, s46, -4
	s_addc_u32 s47, s47, -1
	v_rcp_iflag_f32_e32 v2, v2
	s_cmp_gt_u32 s48, 2
	v_mul_f32_e32 v2, 0x4f7ffffe, v2
	v_cvt_u32_f32_e32 v2, v2
	v_mul_lo_u32 v11, s51, v2
	v_mul_hi_u32 v11, v2, v11
	v_add_u32_e32 v2, v2, v11
	v_mul_hi_u32 v2, v7, v2
	v_mul_lo_u32 v11, v2, s49
	v_sub_u32_e32 v11, v7, v11
	v_add_u32_e32 v14, 1, v2
	v_cmp_le_u32_e32 vcc, s49, v11
	v_cndmask_b32_e32 v2, v2, v14, vcc
	v_subrev_u32_e32 v14, s49, v11
	v_cndmask_b32_e32 v11, v11, v14, vcc
	v_add_u32_e32 v14, 1, v2
	v_cmp_le_u32_e32 vcc, s49, v11
	v_cndmask_b32_e32 v2, v2, v14, vcc
	v_mul_lo_u32 v11, v2, s49
	v_sub_u32_e32 v7, v7, v11
	v_mad_u64_u32 v[10:11], s[50:51], s50, v7, v[10:11]
	s_cbranch_scc1 .LBB6_21
.LBB6_22:                               ;   in Loop: Header=BB6_3 Depth=1
	v_mad_u64_u32 v[14:15], s[46:47], s63, v2, v[10:11]
	v_mov_b32_e32 v15, v3
.LBB6_23:                               ;   in Loop: Header=BB6_3 Depth=1
	s_or_b64 exec, exec, s[44:45]
	v_mul_lo_u32 v7, v32, s62
	v_add_u32_e32 v34, s62, v7
	v_add_u32_e32 v35, s62, v34
	;; [unrolled: 1-line block ×3, first 2 shown]
	v_cndmask_b32_e64 v2, 0, v2, s[8:9]
	v_lshlrev_b64 v[10:11], 3, v[2:3]
	v_mov_b32_e32 v2, s11
	v_add_co_u32_e32 v10, vcc, s10, v10
	v_addc_co_u32_e32 v11, vcc, v2, v11, vcc
	global_load_dwordx2 v[16:17], v[10:11], off
	s_andn2_b64 vcc, exec, s[22:23]
	v_pk_mov_b32 v[10:11], s[14:15], s[14:15] op_sel:[0,1]
	v_pk_mov_b32 v[18:19], s[12:13], s[12:13] op_sel:[0,1]
	s_cbranch_vccnz .LBB6_25
; %bb.24:                               ;   in Loop: Header=BB6_3 Depth=1
	v_pk_mov_b32 v[10:11], s[14:15], s[14:15] op_sel:[0,1]
	flat_load_dwordx2 v[10:11], v[10:11]
	v_pk_mov_b32 v[18:19], s[12:13], s[12:13] op_sel:[0,1]
	flat_load_dwordx2 v[18:19], v[18:19]
	v_mov_b32_e32 v2, s17
	s_waitcnt vmcnt(0) lgkmcnt(0)
	v_add_co_u32_e32 v10, vcc, s16, v10
	v_addc_co_u32_e32 v11, vcc, v11, v2, vcc
.LBB6_25:                               ;   in Loop: Header=BB6_3 Depth=1
	v_alignbit_b32 v28, v11, v10, 2
	v_lshrrev_b32_e32 v29, 2, v11
	v_xor_b32_e32 v20, v4, v18
	v_and_b32_e32 v2, 3, v10
	v_mad_u64_u32 v[10:11], s[8:9], v28, s67, 0
	v_xor_b32_e32 v20, v20, v29
	v_xor_b32_e32 v11, v11, v19
	v_add_u32_e32 v40, 0xbb67ae85, v19
	v_mad_u64_u32 v[20:21], s[8:9], v20, s67, 0
	v_mad_u64_u32 v[22:23], s[8:9], v11, s64, 0
	v_xor_b32_e32 v21, v40, v21
	v_add_u32_e32 v39, 0x9e3779b9, v18
	v_xor_b32_e32 v11, v0, v23
	v_xor_b32_e32 v21, v21, v10
	v_xor_b32_e32 v11, v11, v39
	v_add_u32_e32 v41, 0x3c6ef372, v18
	v_mad_u64_u32 v[24:25], s[8:9], v21, s64, 0
	v_add_u32_e32 v42, 0x76cf5d0a, v19
	v_mad_u64_u32 v[10:11], s[8:9], v11, s67, 0
	v_xor_b32_e32 v21, v41, v25
	v_xor_b32_e32 v21, v21, v22
	v_xor_b32_e32 v11, v42, v11
	v_xor_b32_e32 v11, v11, v20
	v_add_u32_e32 v44, 0x32370b8f, v19
	v_mad_u64_u32 v[20:21], s[8:9], v21, s67, 0
	v_add_u32_e32 v43, 0xdaa66d2b, v18
	v_mad_u64_u32 v[22:23], s[8:9], v11, s64, 0
	v_xor_b32_e32 v21, v44, v21
	v_xor_b32_e32 v11, v43, v23
	v_xor_b32_e32 v21, v21, v10
	v_xor_b32_e32 v11, v11, v24
	v_add_u32_e32 v45, 0x78dde6e4, v18
	v_mad_u64_u32 v[24:25], s[8:9], v21, s64, 0
	v_add_u32_e32 v46, 0xed9eba14, v19
	v_mad_u64_u32 v[10:11], s[8:9], v11, s67, 0
	v_xor_b32_e32 v21, v45, v25
	v_xor_b32_e32 v21, v21, v22
	v_xor_b32_e32 v11, v46, v11
	v_xor_b32_e32 v11, v11, v20
	v_add_u32_e32 v48, 0xa9066899, v19
	v_mad_u64_u32 v[20:21], s[8:9], v21, s67, 0
	v_add_u32_e32 v47, 0x1715609d, v18
	v_mad_u64_u32 v[22:23], s[8:9], v11, s64, 0
	v_xor_b32_e32 v21, v48, v21
	v_xor_b32_e32 v11, v47, v23
	v_xor_b32_e32 v21, v21, v10
	v_xor_b32_e32 v11, v11, v24
	v_add_u32_e32 v49, 0xb54cda56, v18
	v_mad_u64_u32 v[24:25], s[8:9], v21, s64, 0
	v_add_u32_e32 v50, 0x646e171e, v19
	v_mad_u64_u32 v[10:11], s[8:9], v11, s67, 0
	v_xor_b32_e32 v21, v49, v25
	v_xor_b32_e32 v21, v21, v22
	v_xor_b32_e32 v11, v50, v11
	v_xor_b32_e32 v11, v11, v20
	v_add_u32_e32 v52, 0x1fd5c5a3, v19
	v_mad_u64_u32 v[20:21], s[8:9], v21, s67, 0
	v_xor_b32_e32 v21, v52, v21
	v_xor_b32_e32 v10, v21, v10
	v_add_u32_e32 v51, 0x5384540f, v18
	v_mad_u64_u32 v[26:27], s[8:9], v11, s64, 0
	v_add_co_u32_e32 v37, vcc, s68, v18
	v_mad_u64_u32 v[22:23], s[8:9], v10, s64, 0
	v_xor_b32_e32 v11, v51, v27
	v_xor_b32_e32 v10, v37, v23
	;; [unrolled: 1-line block ×4, first 2 shown]
	v_mad_u64_u32 v[24:25], s[8:9], v11, s67, 0
	v_mad_u64_u32 v[10:11], s[8:9], v10, s67, 0
	v_add_u32_e32 v38, 0x96a522ad, v19
	v_xor_b32_e32 v11, v11, v24
	v_xor_b32_e32 v36, v38, v11
	v_add_co_u32_e32 v11, vcc, 1, v28
	v_cndmask_b32_e64 v24, 0, 1, vcc
	v_addc_co_u32_e32 v30, vcc, 0, v29, vcc
	v_cmp_eq_u32_e32 vcc, 0, v30
	v_cndmask_b32_e32 v24, 0, v24, vcc
	v_add_u32_e32 v28, v24, v5
	v_cmp_eq_u32_e32 vcc, 0, v28
	v_mad_u64_u32 v[26:27], s[8:9], v11, s67, 0
	v_mad_u64_u32 v[28:29], s[8:9], v28, s64, 0
	v_add_u32_e32 v23, 0x8ff34781, v18
	v_cndmask_b32_e32 v24, 0, v24, vcc
	v_xor_b32_e32 v11, v29, v18
	v_xor_b32_e32 v18, v27, v19
	;; [unrolled: 1-line block ×4, first 2 shown]
	v_mad_u64_u32 v[30:31], s[8:9], v24, s64, 0
	v_add_u32_e32 v21, 0xdb3d7428, v19
	v_mad_u64_u32 v[18:19], s[8:9], v11, s67, 0
	v_xor_b32_e32 v11, v39, v31
	v_xor_b32_e32 v11, v11, v28
	v_xor_b32_e32 v19, v40, v19
	v_xor_b32_e32 v19, v19, v26
	v_mad_u64_u32 v[26:27], s[8:9], v11, s67, 0
	v_mad_u64_u32 v[28:29], s[8:9], v19, s64, 0
	v_xor_b32_e32 v19, v42, v27
	v_xor_b32_e32 v11, v41, v29
	v_xor_b32_e32 v24, v19, v18
	v_xor_b32_e32 v11, v11, v30
	v_mad_u64_u32 v[30:31], s[8:9], v24, s64, 0
	;; [unrolled: 6-line block ×7, first 2 shown]
	v_xor_b32_e32 v11, v21, v29
	v_xor_b32_e32 v11, v11, v18
	v_mad_u64_u32 v[30:31], s[8:9], v19, s64, 0
	v_mad_u64_u32 v[18:19], s[8:9], v11, s64, 0
	v_xor_b32_e32 v11, v19, v30
	v_xor_b32_e32 v11, v23, v11
	v_cmp_lt_i32_e32 vcc, 1, v2
                                        ; implicit-def: $vgpr27
	s_and_saveexec_b64 s[8:9], vcc
	s_xor_b64 s[8:9], exec, s[8:9]
	s_cbranch_execz .LBB6_31
; %bb.26:                               ;   in Loop: Header=BB6_3 Depth=1
	v_cmp_lt_i32_e32 vcc, 2, v2
                                        ; implicit-def: $vgpr27
	s_and_saveexec_b64 s[44:45], vcc
	s_xor_b64 s[44:45], exec, s[44:45]
; %bb.27:                               ;   in Loop: Header=BB6_3 Depth=1
	v_xor_b32_e32 v2, v37, v31
	v_xor_b32_e32 v2, v2, v26
	v_mul_hi_u32 v2, v2, s67
	v_xor_b32_e32 v2, v2, v28
	v_xor_b32_e32 v27, v38, v2
                                        ; implicit-def: $vgpr36
; %bb.28:                               ;   in Loop: Header=BB6_3 Depth=1
	s_andn2_saveexec_b64 s[44:45], s[44:45]
; %bb.29:                               ;   in Loop: Header=BB6_3 Depth=1
	v_mov_b32_e32 v27, v18
	v_mov_b32_e32 v18, v11
	;; [unrolled: 1-line block ×4, first 2 shown]
; %bb.30:                               ;   in Loop: Header=BB6_3 Depth=1
	s_or_b64 exec, exec, s[44:45]
                                        ; implicit-def: $vgpr20_vgpr21
                                        ; implicit-def: $vgpr22_vgpr23
                                        ; implicit-def: $vgpr2
                                        ; implicit-def: $vgpr36
                                        ; implicit-def: $vgpr24_vgpr25
                                        ; implicit-def: $vgpr21
                                        ; implicit-def: $vgpr23
.LBB6_31:                               ;   in Loop: Header=BB6_3 Depth=1
	s_andn2_saveexec_b64 s[8:9], s[8:9]
	s_cbranch_execz .LBB6_35
; %bb.32:                               ;   in Loop: Header=BB6_3 Depth=1
	v_xor_b32_e32 v18, v21, v25
	v_xor_b32_e32 v18, v18, v20
	v_mad_u64_u32 v[20:21], s[44:45], v18, s64, 0
	v_xor_b32_e32 v18, v21, v22
	v_xor_b32_e32 v19, v23, v18
	v_cmp_eq_u32_e32 vcc, 1, v2
	v_mov_b32_e32 v27, v10
	v_mov_b32_e32 v18, v36
	;; [unrolled: 1-line block ×3, first 2 shown]
	s_and_saveexec_b64 s[44:45], vcc
; %bb.33:                               ;   in Loop: Header=BB6_3 Depth=1
	v_mov_b32_e32 v27, v11
	v_mov_b32_e32 v18, v10
	v_mov_b32_e32 v2, v36
	v_mov_b32_e32 v19, v20
; %bb.34:                               ;   in Loop: Header=BB6_3 Depth=1
	s_or_b64 exec, exec, s[44:45]
	v_mov_b32_e32 v10, v19
	v_mov_b32_e32 v11, v2
.LBB6_35:                               ;   in Loop: Header=BB6_3 Depth=1
	s_or_b64 exec, exec, s[8:9]
	v_min_i32_e32 v19, 4, v33
	v_cmp_lt_i32_e32 vcc, 2, v19
	s_mov_b64 s[44:45], 0
	s_mov_b64 s[56:57], 0
	;; [unrolled: 1-line block ×3, first 2 shown]
                                        ; implicit-def: $sgpr46_sgpr47
                                        ; implicit-def: $sgpr48_sgpr49
                                        ; implicit-def: $sgpr50_sgpr51
	s_and_saveexec_b64 s[52:53], vcc
	s_xor_b64 s[52:53], exec, s[52:53]
	s_cbranch_execz .LBB6_47
; %bb.36:                               ;   in Loop: Header=BB6_3 Depth=1
	v_cmp_lt_i32_e32 vcc, 3, v19
	s_mov_b64 s[50:51], -1
	s_mov_b64 s[54:55], 0
                                        ; implicit-def: $sgpr8_sgpr9
                                        ; implicit-def: $sgpr46_sgpr47
	s_and_saveexec_b64 s[48:49], vcc
	s_cbranch_execz .LBB6_42
; %bb.37:                               ;   in Loop: Header=BB6_3 Depth=1
	v_cmp_eq_u32_e32 vcc, 4, v19
	s_mov_b64 s[58:59], 0
	s_mov_b64 s[60:61], -1
                                        ; implicit-def: $sgpr8_sgpr9
                                        ; implicit-def: $sgpr46_sgpr47
	s_and_saveexec_b64 s[50:51], vcc
	s_cbranch_execz .LBB6_41
; %bb.38:                               ;   in Loop: Header=BB6_3 Depth=1
	s_waitcnt vmcnt(0)
	v_cmp_le_f64_e32 vcc, 0, v[16:17]
	v_cmp_ge_f64_e64 s[8:9], 1.0, v[16:17]
	s_and_b64 s[58:59], vcc, s[8:9]
	s_mov_b64 s[8:9], 0
	s_and_saveexec_b64 s[46:47], s[58:59]
	s_cbranch_execz .LBB6_40
; %bb.39:                               ;   in Loop: Header=BB6_3 Depth=1
	v_cvt_f32_u32_e32 v2, v27
	v_mov_b32_e32 v20, 0x2f800000
	v_lshlrev_b64 v[14:15], 3, v[14:15]
	v_add_co_u32_e32 v14, vcc, s18, v14
	v_fmac_f32_e32 v20, 0x2f800000, v2
	v_mov_b32_e32 v2, s19
	v_addc_co_u32_e32 v15, vcc, v2, v15, vcc
	v_cvt_f64_f32_e32 v[20:21], v20
	v_cmp_ge_f64_e32 vcc, v[16:17], v[20:21]
	s_mov_b64 s[56:57], exec
	v_cndmask_b32_e32 v17, 0, v1, vcc
	v_mov_b32_e32 v16, v3
	global_store_dwordx2 v[14:15], v[16:17], off
.LBB6_40:                               ;   in Loop: Header=BB6_3 Depth=1
	s_or_b64 exec, exec, s[46:47]
	s_mov_b64 s[46:47], -1
	s_xor_b64 s[60:61], exec, -1
	s_and_b64 s[58:59], s[56:57], exec
.LBB6_41:                               ;   in Loop: Header=BB6_3 Depth=1
	s_or_b64 exec, exec, s[50:51]
	s_and_b64 s[56:57], s[60:61], exec
	s_orn2_b64 s[50:51], s[58:59], exec
.LBB6_42:                               ;   in Loop: Header=BB6_3 Depth=1
	s_or_b64 exec, exec, s[48:49]
	s_mov_b64 s[58:59], s[8:9]
	s_and_saveexec_b64 s[48:49], s[50:51]
	s_cbranch_execz .LBB6_46
; %bb.43:                               ;   in Loop: Header=BB6_3 Depth=1
	v_cndmask_b32_e64 v2, 0, v35, s[6:7]
	v_lshlrev_b64 v[14:15], 3, v[2:3]
	v_mov_b32_e32 v2, s11
	v_add_co_u32_e32 v14, vcc, s10, v14
	v_addc_co_u32_e32 v15, vcc, v2, v15, vcc
	global_load_dwordx2 v[14:15], v[14:15], off
	s_waitcnt vmcnt(0)
	v_cmp_le_f64_e32 vcc, 0, v[14:15]
	v_cmp_ge_f64_e64 s[6:7], 1.0, v[14:15]
	s_and_b64 s[50:51], vcc, s[6:7]
	s_mov_b64 s[6:7], 0
	s_and_saveexec_b64 s[54:55], s[50:51]
	s_xor_b64 s[50:51], exec, s[54:55]
	s_cbranch_execz .LBB6_45
; %bb.44:                               ;   in Loop: Header=BB6_3 Depth=1
	v_cvt_f32_u32_e32 v2, v18
	v_mov_b32_e32 v16, 0x2f800000
	v_lshlrev_b64 v[12:13], 3, v[12:13]
	v_add_co_u32_e32 v12, vcc, s18, v12
	v_fmac_f32_e32 v16, 0x2f800000, v2
	v_mov_b32_e32 v2, s19
	v_addc_co_u32_e32 v13, vcc, v2, v13, vcc
	v_cvt_f64_f32_e32 v[16:17], v16
	v_cmp_ge_f64_e32 vcc, v[14:15], v[16:17]
	v_cndmask_b32_e32 v15, 0, v1, vcc
	v_mov_b32_e32 v14, v3
	s_mov_b64 s[6:7], exec
	global_store_dwordx2 v[12:13], v[14:15], off
.LBB6_45:                               ;   in Loop: Header=BB6_3 Depth=1
	s_or_b64 exec, exec, s[50:51]
	s_andn2_b64 s[58:59], s[8:9], exec
	s_or_b64 s[8:9], s[8:9], exec
	s_andn2_b64 s[46:47], s[46:47], exec
	s_and_b64 s[54:55], s[6:7], exec
.LBB6_46:                               ;   in Loop: Header=BB6_3 Depth=1
	s_or_b64 exec, exec, s[48:49]
	s_and_b64 s[50:51], s[58:59], exec
	s_and_b64 s[48:49], s[8:9], exec
	;; [unrolled: 1-line block ×5, first 2 shown]
.LBB6_47:                               ;   in Loop: Header=BB6_3 Depth=1
	s_andn2_saveexec_b64 s[6:7], s[52:53]
; %bb.48:                               ;   in Loop: Header=BB6_3 Depth=1
	v_cmp_lt_i32_e32 vcc, 1, v19
	s_andn2_b64 s[52:53], s[56:57], exec
	s_and_b64 s[54:55], vcc, exec
	s_mov_b64 s[44:45], exec
	s_andn2_b64 s[50:51], s[50:51], exec
	s_andn2_b64 s[48:49], s[48:49], exec
	;; [unrolled: 1-line block ×3, first 2 shown]
	s_or_b64 s[56:57], s[52:53], s[54:55]
; %bb.49:                               ;   in Loop: Header=BB6_3 Depth=1
	s_or_b64 exec, exec, s[6:7]
	s_mov_b64 s[52:53], 0
	s_mov_b64 s[6:7], s[50:51]
	s_and_saveexec_b64 s[54:55], s[56:57]
	s_cbranch_execnz .LBB6_52
; %bb.50:                               ;   in Loop: Header=BB6_3 Depth=1
	s_or_b64 exec, exec, s[54:55]
	s_and_saveexec_b64 s[4:5], s[44:45]
	s_cbranch_execnz .LBB6_55
.LBB6_51:                               ;   in Loop: Header=BB6_3 Depth=1
	s_or_b64 exec, exec, s[4:5]
	s_and_saveexec_b64 s[4:5], s[52:53]
	s_cbranch_execnz .LBB6_56
	s_branch .LBB6_59
.LBB6_52:                               ;   in Loop: Header=BB6_3 Depth=1
	v_cndmask_b32_e64 v2, 0, v34, s[4:5]
	v_lshlrev_b64 v[12:13], 3, v[2:3]
	v_mov_b32_e32 v2, s11
	v_add_co_u32_e32 v12, vcc, s10, v12
	v_addc_co_u32_e32 v13, vcc, v2, v13, vcc
	global_load_dwordx2 v[12:13], v[12:13], off
	s_waitcnt vmcnt(0)
	v_cmp_le_f64_e32 vcc, 0, v[12:13]
	v_cmp_ge_f64_e64 s[4:5], 1.0, v[12:13]
	s_and_b64 s[6:7], vcc, s[4:5]
	s_mov_b64 s[4:5], 0
	s_and_saveexec_b64 s[52:53], s[6:7]
	s_xor_b64 s[6:7], exec, s[52:53]
	s_cbranch_execz .LBB6_54
; %bb.53:                               ;   in Loop: Header=BB6_3 Depth=1
	v_cvt_f32_u32_e32 v2, v11
	v_mov_b32_e32 v11, 0x2f800000
	v_lshlrev_b64 v[8:9], 3, v[8:9]
	v_add_co_u32_e32 v8, vcc, s18, v8
	v_fmac_f32_e32 v11, 0x2f800000, v2
	v_mov_b32_e32 v2, s19
	v_addc_co_u32_e32 v9, vcc, v2, v9, vcc
	v_cvt_f64_f32_e32 v[14:15], v11
	v_cmp_ge_f64_e32 vcc, v[12:13], v[14:15]
	v_cndmask_b32_e32 v13, 0, v1, vcc
	v_mov_b32_e32 v12, v3
	s_mov_b64 s[4:5], exec
	global_store_dwordx2 v[8:9], v[12:13], off
.LBB6_54:                               ;   in Loop: Header=BB6_3 Depth=1
	s_or_b64 exec, exec, s[6:7]
	s_andn2_b64 s[6:7], s[50:51], exec
	s_or_b64 s[50:51], s[50:51], exec
	s_andn2_b64 s[48:49], s[48:49], exec
	s_andn2_b64 s[46:47], s[46:47], exec
	s_and_b64 s[52:53], s[4:5], exec
	s_andn2_b64 s[44:45], s[44:45], exec
	s_or_b64 exec, exec, s[54:55]
	s_and_saveexec_b64 s[4:5], s[44:45]
	s_cbranch_execz .LBB6_51
.LBB6_55:                               ;   in Loop: Header=BB6_3 Depth=1
	v_cmp_eq_u32_e32 vcc, 1, v19
	s_andn2_b64 s[44:45], s[52:53], exec
	s_and_b64 s[52:53], vcc, exec
	s_andn2_b64 s[6:7], s[6:7], exec
	s_andn2_b64 s[50:51], s[50:51], exec
	;; [unrolled: 1-line block ×4, first 2 shown]
	s_or_b64 s[8:9], s[8:9], exec
	s_or_b64 s[52:53], s[44:45], s[52:53]
	s_or_b64 exec, exec, s[4:5]
	s_and_saveexec_b64 s[4:5], s[52:53]
	s_cbranch_execz .LBB6_59
.LBB6_56:                               ;   in Loop: Header=BB6_3 Depth=1
	v_cndmask_b32_e64 v2, 0, v7, s[2:3]
	v_lshlrev_b64 v[8:9], 3, v[2:3]
	v_mov_b32_e32 v2, s11
	v_add_co_u32_e32 v8, vcc, s10, v8
	v_addc_co_u32_e32 v9, vcc, v2, v9, vcc
	global_load_dwordx2 v[8:9], v[8:9], off
	s_waitcnt vmcnt(0)
	v_cmp_le_f64_e32 vcc, 0, v[8:9]
	v_cmp_ge_f64_e64 s[2:3], 1.0, v[8:9]
	s_and_b64 s[52:53], vcc, s[2:3]
	s_mov_b64 s[2:3], 0
	s_and_saveexec_b64 s[44:45], s[52:53]
	s_cbranch_execz .LBB6_58
; %bb.57:                               ;   in Loop: Header=BB6_3 Depth=1
	v_cvt_f32_u32_e32 v2, v10
	v_mov_b32_e32 v7, v3
	v_mov_b32_e32 v10, 0x2f800000
	v_lshlrev_b64 v[6:7], 3, v[6:7]
	v_fmac_f32_e32 v10, 0x2f800000, v2
	v_mov_b32_e32 v2, s19
	v_add_co_u32_e32 v6, vcc, s18, v6
	v_addc_co_u32_e32 v7, vcc, v2, v7, vcc
	v_cvt_f64_f32_e32 v[10:11], v10
	v_cmp_ge_f64_e32 vcc, v[8:9], v[10:11]
	s_mov_b64 s[2:3], exec
	v_cndmask_b32_e32 v9, 0, v1, vcc
	v_mov_b32_e32 v8, v3
	global_store_dwordx2 v[6:7], v[8:9], off
.LBB6_58:                               ;   in Loop: Header=BB6_3 Depth=1
	s_or_b64 exec, exec, s[44:45]
	s_andn2_b64 s[8:9], s[8:9], exec
	s_and_b64 s[2:3], s[2:3], exec
	s_or_b64 s[6:7], s[6:7], exec
	s_andn2_b64 s[50:51], s[50:51], exec
	s_andn2_b64 s[48:49], s[48:49], exec
	;; [unrolled: 1-line block ×3, first 2 shown]
	s_or_b64 s[8:9], s[8:9], s[2:3]
.LBB6_59:                               ;   in Loop: Header=BB6_3 Depth=1
	s_or_b64 exec, exec, s[4:5]
	s_andn2_b64 s[4:5], s[42:43], exec
	s_and_b64 s[6:7], s[6:7], exec
	s_or_b64 s[42:43], s[4:5], s[6:7]
	s_andn2_b64 s[4:5], s[40:41], exec
	s_and_b64 s[6:7], s[50:51], exec
	s_or_b64 s[40:41], s[4:5], s[6:7]
	;; [unrolled: 3-line block ×3, first 2 shown]
	s_andn2_b64 s[4:5], s[36:37], exec
	s_and_b64 s[6:7], s[46:47], exec
	s_mov_b64 s[2:3], -1
	s_or_b64 s[36:37], s[4:5], s[6:7]
	s_and_saveexec_b64 s[4:5], s[8:9]
	s_cbranch_execz .LBB6_2
; %bb.60:                               ;   in Loop: Header=BB6_3 Depth=1
	v_add_u32_e32 v32, s65, v32
	v_cmp_le_u32_e32 vcc, s33, v32
	s_andn2_b64 s[42:43], s[42:43], exec
	s_andn2_b64 s[40:41], s[40:41], exec
	;; [unrolled: 1-line block ×4, first 2 shown]
	s_orn2_b64 s[2:3], vcc, exec
	s_branch .LBB6_2
.LBB6_61:
	s_or_b64 exec, exec, s[26:27]
	s_xor_b64 s[6:7], s[34:35], -1
	s_xor_b64 s[8:9], s[30:31], -1
	;; [unrolled: 1-line block ×3, first 2 shown]
	s_mov_b64 s[2:3], 0
	s_and_saveexec_b64 s[4:5], s[0:1]
	s_xor_b64 s[0:1], exec, s[4:5]
	s_cbranch_execnz .LBB6_66
; %bb.62:
	s_andn2_saveexec_b64 s[0:1], s[0:1]
	s_cbranch_execnz .LBB6_74
.LBB6_63:
	s_or_b64 exec, exec, s[0:1]
	s_and_b64 exec, exec, s[2:3]
.LBB6_64:
	; divergent unreachable
.LBB6_65:
	s_endpgm
.LBB6_66:
	s_mov_b64 s[4:5], 0
	s_and_saveexec_b64 s[2:3], s[8:9]
	s_xor_b64 s[2:3], exec, s[2:3]
	s_cbranch_execz .LBB6_72
; %bb.67:
	s_and_saveexec_b64 s[8:9], s[6:7]
	s_xor_b64 s[6:7], exec, s[8:9]
	s_cbranch_execz .LBB6_70
; %bb.68:
	s_and_saveexec_b64 s[8:9], s[20:21]
	s_xor_b64 s[8:9], exec, s[8:9]
	s_cbranch_execnz .LBB6_77
.LBB6_69:
	s_or_b64 exec, exec, s[8:9]
	s_and_b64 s[4:5], s[4:5], exec
.LBB6_70:
	s_andn2_saveexec_b64 s[6:7], s[6:7]
	s_cbranch_execnz .LBB6_76
.LBB6_71:
	s_or_b64 exec, exec, s[6:7]
	s_and_b64 s[4:5], s[4:5], exec
.LBB6_72:
	s_andn2_saveexec_b64 s[2:3], s[2:3]
	s_cbranch_execnz .LBB6_75
.LBB6_73:
	s_or_b64 exec, exec, s[2:3]
	s_and_b64 s[2:3], s[4:5], exec
	s_andn2_saveexec_b64 s[0:1], s[0:1]
	s_cbranch_execz .LBB6_63
.LBB6_74:
	s_or_b64 s[2:3], s[2:3], exec
	s_trap 2
	s_or_b64 exec, exec, s[0:1]
	s_and_b64 exec, exec, s[2:3]
	s_cbranch_execnz .LBB6_64
	s_branch .LBB6_65
.LBB6_75:
	s_or_b64 s[4:5], s[4:5], exec
	s_trap 2
	s_branch .LBB6_73
.LBB6_76:
	s_trap 2
	s_or_b64 s[4:5], s[4:5], exec
	s_branch .LBB6_71
.LBB6_77:
	s_mov_b64 s[4:5], exec
	s_trap 2
	s_branch .LBB6_69
	.section	.rodata,"a",@progbits
	.p2align	6, 0x0
	.amdhsa_kernel _ZN2at4cuda12_GLOBAL__N_121kernelPointwiseApply2IZNS_6native9templates4cuda28bernoulli_tensor_cuda_kernelIddEEvRKNS_10TensorBaseES9_NS_15PhiloxCudaStateEEUliRdSB_SB_SB_RKdSD_SD_SD_E_dSC_jLin1ELi1ELi4ELi512ELi2EEEvNS0_6detail10TensorInfoIT0_T2_EENSG_IT1_SI_EESI_T_
		.amdhsa_group_segment_fixed_size 0
		.amdhsa_private_segment_fixed_size 0
		.amdhsa_kernarg_size 728
		.amdhsa_user_sgpr_count 6
		.amdhsa_user_sgpr_private_segment_buffer 1
		.amdhsa_user_sgpr_dispatch_ptr 0
		.amdhsa_user_sgpr_queue_ptr 0
		.amdhsa_user_sgpr_kernarg_segment_ptr 1
		.amdhsa_user_sgpr_dispatch_id 0
		.amdhsa_user_sgpr_flat_scratch_init 0
		.amdhsa_user_sgpr_kernarg_preload_length 0
		.amdhsa_user_sgpr_kernarg_preload_offset 0
		.amdhsa_user_sgpr_private_segment_size 0
		.amdhsa_uses_dynamic_stack 0
		.amdhsa_system_sgpr_private_segment_wavefront_offset 0
		.amdhsa_system_sgpr_workgroup_id_x 1
		.amdhsa_system_sgpr_workgroup_id_y 0
		.amdhsa_system_sgpr_workgroup_id_z 0
		.amdhsa_system_sgpr_workgroup_info 0
		.amdhsa_system_vgpr_workitem_id 0
		.amdhsa_next_free_vgpr 53
		.amdhsa_next_free_sgpr 69
		.amdhsa_accum_offset 56
		.amdhsa_reserve_vcc 1
		.amdhsa_reserve_flat_scratch 0
		.amdhsa_float_round_mode_32 0
		.amdhsa_float_round_mode_16_64 0
		.amdhsa_float_denorm_mode_32 3
		.amdhsa_float_denorm_mode_16_64 3
		.amdhsa_dx10_clamp 1
		.amdhsa_ieee_mode 1
		.amdhsa_fp16_overflow 0
		.amdhsa_tg_split 0
		.amdhsa_exception_fp_ieee_invalid_op 0
		.amdhsa_exception_fp_denorm_src 0
		.amdhsa_exception_fp_ieee_div_zero 0
		.amdhsa_exception_fp_ieee_overflow 0
		.amdhsa_exception_fp_ieee_underflow 0
		.amdhsa_exception_fp_ieee_inexact 0
		.amdhsa_exception_int_div_zero 0
	.end_amdhsa_kernel
	.section	.text._ZN2at4cuda12_GLOBAL__N_121kernelPointwiseApply2IZNS_6native9templates4cuda28bernoulli_tensor_cuda_kernelIddEEvRKNS_10TensorBaseES9_NS_15PhiloxCudaStateEEUliRdSB_SB_SB_RKdSD_SD_SD_E_dSC_jLin1ELi1ELi4ELi512ELi2EEEvNS0_6detail10TensorInfoIT0_T2_EENSG_IT1_SI_EESI_T_,"axG",@progbits,_ZN2at4cuda12_GLOBAL__N_121kernelPointwiseApply2IZNS_6native9templates4cuda28bernoulli_tensor_cuda_kernelIddEEvRKNS_10TensorBaseES9_NS_15PhiloxCudaStateEEUliRdSB_SB_SB_RKdSD_SD_SD_E_dSC_jLin1ELi1ELi4ELi512ELi2EEEvNS0_6detail10TensorInfoIT0_T2_EENSG_IT1_SI_EESI_T_,comdat
.Lfunc_end6:
	.size	_ZN2at4cuda12_GLOBAL__N_121kernelPointwiseApply2IZNS_6native9templates4cuda28bernoulli_tensor_cuda_kernelIddEEvRKNS_10TensorBaseES9_NS_15PhiloxCudaStateEEUliRdSB_SB_SB_RKdSD_SD_SD_E_dSC_jLin1ELi1ELi4ELi512ELi2EEEvNS0_6detail10TensorInfoIT0_T2_EENSG_IT1_SI_EESI_T_, .Lfunc_end6-_ZN2at4cuda12_GLOBAL__N_121kernelPointwiseApply2IZNS_6native9templates4cuda28bernoulli_tensor_cuda_kernelIddEEvRKNS_10TensorBaseES9_NS_15PhiloxCudaStateEEUliRdSB_SB_SB_RKdSD_SD_SD_E_dSC_jLin1ELi1ELi4ELi512ELi2EEEvNS0_6detail10TensorInfoIT0_T2_EENSG_IT1_SI_EESI_T_
                                        ; -- End function
	.section	.AMDGPU.csdata,"",@progbits
; Kernel info:
; codeLenInByte = 3492
; NumSgprs: 73
; NumVgprs: 53
; NumAgprs: 0
; TotalNumVgprs: 53
; ScratchSize: 0
; MemoryBound: 0
; FloatMode: 240
; IeeeMode: 1
; LDSByteSize: 0 bytes/workgroup (compile time only)
; SGPRBlocks: 9
; VGPRBlocks: 6
; NumSGPRsForWavesPerEU: 73
; NumVGPRsForWavesPerEU: 53
; AccumOffset: 56
; Occupancy: 8
; WaveLimiterHint : 1
; COMPUTE_PGM_RSRC2:SCRATCH_EN: 0
; COMPUTE_PGM_RSRC2:USER_SGPR: 6
; COMPUTE_PGM_RSRC2:TRAP_HANDLER: 0
; COMPUTE_PGM_RSRC2:TGID_X_EN: 1
; COMPUTE_PGM_RSRC2:TGID_Y_EN: 0
; COMPUTE_PGM_RSRC2:TGID_Z_EN: 0
; COMPUTE_PGM_RSRC2:TIDIG_COMP_CNT: 0
; COMPUTE_PGM_RSRC3_GFX90A:ACCUM_OFFSET: 13
; COMPUTE_PGM_RSRC3_GFX90A:TG_SPLIT: 0
	.section	.text._ZN2at4cuda12_GLOBAL__N_121kernelPointwiseApply2IZNS_6native9templates4cuda28bernoulli_tensor_cuda_kernelIddEEvRKNS_10TensorBaseES9_NS_15PhiloxCudaStateEEUliRdSB_SB_SB_RKdSD_SD_SD_E_dSC_jLin1ELi2ELi4ELi512ELi2EEEvNS0_6detail10TensorInfoIT0_T2_EENSG_IT1_SI_EESI_T_,"axG",@progbits,_ZN2at4cuda12_GLOBAL__N_121kernelPointwiseApply2IZNS_6native9templates4cuda28bernoulli_tensor_cuda_kernelIddEEvRKNS_10TensorBaseES9_NS_15PhiloxCudaStateEEUliRdSB_SB_SB_RKdSD_SD_SD_E_dSC_jLin1ELi2ELi4ELi512ELi2EEEvNS0_6detail10TensorInfoIT0_T2_EENSG_IT1_SI_EESI_T_,comdat
	.globl	_ZN2at4cuda12_GLOBAL__N_121kernelPointwiseApply2IZNS_6native9templates4cuda28bernoulli_tensor_cuda_kernelIddEEvRKNS_10TensorBaseES9_NS_15PhiloxCudaStateEEUliRdSB_SB_SB_RKdSD_SD_SD_E_dSC_jLin1ELi2ELi4ELi512ELi2EEEvNS0_6detail10TensorInfoIT0_T2_EENSG_IT1_SI_EESI_T_ ; -- Begin function _ZN2at4cuda12_GLOBAL__N_121kernelPointwiseApply2IZNS_6native9templates4cuda28bernoulli_tensor_cuda_kernelIddEEvRKNS_10TensorBaseES9_NS_15PhiloxCudaStateEEUliRdSB_SB_SB_RKdSD_SD_SD_E_dSC_jLin1ELi2ELi4ELi512ELi2EEEvNS0_6detail10TensorInfoIT0_T2_EENSG_IT1_SI_EESI_T_
	.p2align	8
	.type	_ZN2at4cuda12_GLOBAL__N_121kernelPointwiseApply2IZNS_6native9templates4cuda28bernoulli_tensor_cuda_kernelIddEEvRKNS_10TensorBaseES9_NS_15PhiloxCudaStateEEUliRdSB_SB_SB_RKdSD_SD_SD_E_dSC_jLin1ELi2ELi4ELi512ELi2EEEvNS0_6detail10TensorInfoIT0_T2_EENSG_IT1_SI_EESI_T_,@function
_ZN2at4cuda12_GLOBAL__N_121kernelPointwiseApply2IZNS_6native9templates4cuda28bernoulli_tensor_cuda_kernelIddEEvRKNS_10TensorBaseES9_NS_15PhiloxCudaStateEEUliRdSB_SB_SB_RKdSD_SD_SD_E_dSC_jLin1ELi2ELi4ELi512ELi2EEEvNS0_6detail10TensorInfoIT0_T2_EENSG_IT1_SI_EESI_T_: ; @_ZN2at4cuda12_GLOBAL__N_121kernelPointwiseApply2IZNS_6native9templates4cuda28bernoulli_tensor_cuda_kernelIddEEvRKNS_10TensorBaseES9_NS_15PhiloxCudaStateEEUliRdSB_SB_SB_RKdSD_SD_SD_E_dSC_jLin1ELi2ELi4ELi512ELi2EEEvNS0_6detail10TensorInfoIT0_T2_EENSG_IT1_SI_EESI_T_
; %bb.0:
	s_load_dword s2, s[4:5], 0x1e4
	s_load_dword s33, s[4:5], 0x1b0
	s_add_u32 s0, s4, 0x1d8
	s_addc_u32 s1, s5, 0
	s_waitcnt lgkmcnt(0)
	s_and_b32 s2, s2, 0xffff
	s_mul_i32 s6, s6, s2
	v_add_u32_e32 v5, s6, v0
	v_lshlrev_b32_e32 v36, 2, v5
	v_cmp_gt_u32_e32 vcc, s33, v36
	s_and_saveexec_b64 s[6:7], vcc
	s_cbranch_execz .LBB7_73
; %bb.1:
	s_load_dword s56, s[4:5], 0xe4
	s_load_dwordx2 s[6:7], s[4:5], 0x144
	s_load_dword s3, s[0:1], 0x0
	s_load_dwordx2 s[12:13], s[4:5], 0xd8
	;; [unrolled: 2-line block ×3, first 2 shown]
	s_load_dwordx4 s[8:11], s[4:5], 0x1b8
	s_waitcnt lgkmcnt(0)
	v_cvt_f32_u32_e32 v0, s56
	s_mul_i32 s21, s3, s2
	s_load_dword s2, s[4:5], 0x1d0
	s_load_dword s57, s[4:5], 0x6c
	s_cmp_gt_i32 s20, 1
	v_rcp_iflag_f32_e32 v2, v0
	s_mov_b32 s58, 0xcd9e8d57
	s_cselect_b64 s[0:1], -1, 0
	s_waitcnt lgkmcnt(0)
	s_bitcmp1_b32 s2, 0
	v_mul_f32_e32 v2, 0x4f7ffffe, v2
	v_cvt_u32_f32_e32 v2, v2
	v_mad_u64_u32 v[0:1], s[2:3], v5, s58, 0
	s_cselect_b64 s[18:19], -1, 0
	s_sub_i32 s2, 0, s56
	s_mov_b32 s3, 0
	v_mov_b32_e32 v4, v1
	v_mul_lo_u32 v1, s2, v2
	s_add_i32 s2, s20, -1
	s_load_dwordx2 s[16:17], s[4:5], 0x0
	s_lshl_b32 s59, s21, 2
	s_add_i32 s60, s20, 1
	s_lshl_b64 s[2:3], s[2:3], 2
	s_add_u32 s2, s2, s4
	v_mul_hi_u32 v1, v2, v1
	s_addc_u32 s3, s3, s5
	v_add_u32_e32 v1, v2, v1
	s_add_u32 s20, s2, 8
	v_cndmask_b32_e64 v2, 0, 1, s[0:1]
	v_mov_b32_e32 v3, 0
	s_addc_u32 s21, s3, 0
	s_mov_b64 s[22:23], 0
	s_mov_b32 s61, 0xd2511f53
	v_cmp_ne_u32_e64 s[0:1], 1, v2
	s_mov_b32 s62, 0xf1bbcdc8
	v_mov_b32_e32 v37, 0x3ff00000
                                        ; implicit-def: $sgpr24_sgpr25
                                        ; implicit-def: $sgpr26_sgpr27
                                        ; implicit-def: $sgpr28_sgpr29
                                        ; implicit-def: $sgpr4_sgpr5
                                        ; implicit-def: $sgpr30_sgpr31
                                        ; implicit-def: $sgpr34_sgpr35
                                        ; implicit-def: $sgpr36_sgpr37
                                        ; implicit-def: $sgpr38_sgpr39
	s_branch .LBB7_3
.LBB7_2:                                ;   in Loop: Header=BB7_3 Depth=1
	s_or_b64 exec, exec, s[40:41]
	s_and_b64 s[2:3], exec, s[2:3]
	s_or_b64 s[22:23], s[2:3], s[22:23]
	s_andn2_b64 s[2:3], s[4:5], exec
	s_and_b64 s[4:5], s[38:39], exec
	s_or_b64 s[4:5], s[2:3], s[4:5]
	s_andn2_b64 s[2:3], s[28:29], exec
	s_and_b64 s[28:29], s[36:37], exec
	;; [unrolled: 3-line block ×4, first 2 shown]
	s_or_b64 s[24:25], s[2:3], s[24:25]
	s_andn2_b64 exec, exec, s[22:23]
	s_cbranch_execz .LBB7_69
.LBB7_3:                                ; =>This Loop Header: Depth=1
                                        ;     Child Loop BB7_6 Depth 2
                                        ;     Child Loop BB7_13 Depth 2
	;; [unrolled: 1-line block ×4, first 2 shown]
	v_sub_u32_e32 v38, s33, v36
	v_cmp_lt_i32_e64 s[2:3], 0, v38
	v_mov_b32_e32 v6, 0
	s_and_saveexec_b64 s[40:41], s[2:3]
	s_cbranch_execz .LBB7_8
; %bb.4:                                ;   in Loop: Header=BB7_3 Depth=1
	s_and_b64 vcc, exec, s[0:1]
	v_mov_b32_e32 v6, 0
	v_mov_b32_e32 v2, v36
	s_cbranch_vccnz .LBB7_7
; %bb.5:                                ;   in Loop: Header=BB7_3 Depth=1
	v_mov_b32_e32 v6, 0
	s_mov_b64 s[42:43], s[20:21]
	s_mov_b32 s44, s60
	v_mov_b32_e32 v2, v36
.LBB7_6:                                ;   Parent Loop BB7_3 Depth=1
                                        ; =>  This Inner Loop Header: Depth=2
	s_load_dword s45, s[42:43], 0x0
	s_load_dword s46, s[42:43], 0x64
	v_mov_b32_e32 v7, v2
	s_add_i32 s44, s44, -1
	s_waitcnt lgkmcnt(0)
	v_cvt_f32_u32_e32 v2, s45
	s_sub_i32 s47, 0, s45
	s_add_u32 s42, s42, -4
	s_addc_u32 s43, s43, -1
	v_rcp_iflag_f32_e32 v2, v2
	s_cmp_gt_u32 s44, 2
	v_mul_f32_e32 v2, 0x4f7ffffe, v2
	v_cvt_u32_f32_e32 v2, v2
	v_mul_lo_u32 v8, s47, v2
	v_mul_hi_u32 v8, v2, v8
	v_add_u32_e32 v2, v2, v8
	v_mul_hi_u32 v2, v7, v2
	v_mul_lo_u32 v8, v2, s45
	v_sub_u32_e32 v8, v7, v8
	v_add_u32_e32 v9, 1, v2
	v_cmp_le_u32_e32 vcc, s45, v8
	v_cndmask_b32_e32 v2, v2, v9, vcc
	v_subrev_u32_e32 v9, s45, v8
	v_cndmask_b32_e32 v8, v8, v9, vcc
	v_add_u32_e32 v9, 1, v2
	v_cmp_le_u32_e32 vcc, s45, v8
	v_cndmask_b32_e32 v2, v2, v9, vcc
	v_mul_lo_u32 v8, v2, s45
	v_sub_u32_e32 v7, v7, v8
	v_mad_u64_u32 v[6:7], s[46:47], s46, v7, v[6:7]
	s_cbranch_scc1 .LBB7_6
.LBB7_7:                                ;   in Loop: Header=BB7_3 Depth=1
	v_mad_u64_u32 v[6:7], s[42:43], s57, v2, v[6:7]
.LBB7_8:                                ;   in Loop: Header=BB7_3 Depth=1
	s_or_b64 exec, exec, s[40:41]
	v_mov_b32_e32 v10, 0
	v_mov_b32_e32 v8, 0
	s_and_saveexec_b64 s[40:41], s[2:3]
	s_cbranch_execz .LBB7_10
; %bb.9:                                ;   in Loop: Header=BB7_3 Depth=1
	v_mul_hi_u32 v2, v36, v1
	v_mul_lo_u32 v7, v2, s56
	v_sub_u32_e32 v7, v36, v7
	v_add_u32_e32 v8, 1, v2
	v_cmp_le_u32_e32 vcc, s56, v7
	v_cndmask_b32_e32 v2, v2, v8, vcc
	v_subrev_u32_e32 v8, s56, v7
	v_cndmask_b32_e32 v7, v7, v8, vcc
	v_add_u32_e32 v8, 1, v2
	v_cmp_le_u32_e32 vcc, s56, v7
	v_cndmask_b32_e32 v7, v2, v8, vcc
	v_mul_lo_u32 v2, v7, s56
	v_sub_u32_e32 v2, v36, v2
	v_mul_lo_u32 v2, v2, s7
	v_mad_u64_u32 v[8:9], s[2:3], v7, s6, v[2:3]
.LBB7_10:                               ;   in Loop: Header=BB7_3 Depth=1
	s_or_b64 exec, exec, s[40:41]
	v_or_b32_e32 v7, 1, v36
	v_cmp_lt_i32_e64 s[2:3], 1, v38
	s_and_saveexec_b64 s[40:41], s[2:3]
	s_cbranch_execz .LBB7_15
; %bb.11:                               ;   in Loop: Header=BB7_3 Depth=1
	s_and_b64 vcc, exec, s[0:1]
	v_mov_b32_e32 v10, 0
	v_mov_b32_e32 v2, v7
	s_cbranch_vccnz .LBB7_14
; %bb.12:                               ;   in Loop: Header=BB7_3 Depth=1
	v_mov_b32_e32 v10, 0
	s_mov_b64 s[42:43], s[20:21]
	s_mov_b32 s44, s60
	v_mov_b32_e32 v2, v7
.LBB7_13:                               ;   Parent Loop BB7_3 Depth=1
                                        ; =>  This Inner Loop Header: Depth=2
	s_load_dword s45, s[42:43], 0x0
	s_load_dword s46, s[42:43], 0x64
	v_mov_b32_e32 v9, v2
	s_add_i32 s44, s44, -1
	s_waitcnt lgkmcnt(0)
	v_cvt_f32_u32_e32 v2, s45
	s_sub_i32 s47, 0, s45
	s_add_u32 s42, s42, -4
	s_addc_u32 s43, s43, -1
	v_rcp_iflag_f32_e32 v2, v2
	s_cmp_gt_u32 s44, 2
	v_mul_f32_e32 v2, 0x4f7ffffe, v2
	v_cvt_u32_f32_e32 v2, v2
	v_mul_lo_u32 v11, s47, v2
	v_mul_hi_u32 v11, v2, v11
	v_add_u32_e32 v2, v2, v11
	v_mul_hi_u32 v2, v9, v2
	v_mul_lo_u32 v11, v2, s45
	v_sub_u32_e32 v11, v9, v11
	v_add_u32_e32 v12, 1, v2
	v_cmp_le_u32_e32 vcc, s45, v11
	v_cndmask_b32_e32 v2, v2, v12, vcc
	v_subrev_u32_e32 v12, s45, v11
	v_cndmask_b32_e32 v11, v11, v12, vcc
	v_add_u32_e32 v12, 1, v2
	v_cmp_le_u32_e32 vcc, s45, v11
	v_cndmask_b32_e32 v2, v2, v12, vcc
	v_mul_lo_u32 v11, v2, s45
	v_sub_u32_e32 v9, v9, v11
	v_mad_u64_u32 v[10:11], s[46:47], s46, v9, v[10:11]
	s_cbranch_scc1 .LBB7_13
.LBB7_14:                               ;   in Loop: Header=BB7_3 Depth=1
	v_mad_u64_u32 v[10:11], s[42:43], s57, v2, v[10:11]
.LBB7_15:                               ;   in Loop: Header=BB7_3 Depth=1
	s_or_b64 exec, exec, s[40:41]
	v_mov_b32_e32 v2, 0
	s_and_saveexec_b64 s[40:41], s[2:3]
	s_cbranch_execz .LBB7_17
; %bb.16:                               ;   in Loop: Header=BB7_3 Depth=1
	v_mul_hi_u32 v2, v7, v1
	v_mul_lo_u32 v9, v2, s56
	v_sub_u32_e32 v9, v7, v9
	v_add_u32_e32 v11, 1, v2
	v_cmp_le_u32_e32 vcc, s56, v9
	v_cndmask_b32_e32 v2, v2, v11, vcc
	v_subrev_u32_e32 v11, s56, v9
	v_cndmask_b32_e32 v9, v9, v11, vcc
	v_add_u32_e32 v11, 1, v2
	v_cmp_le_u32_e32 vcc, s56, v9
	v_cndmask_b32_e32 v9, v2, v11, vcc
	v_mul_lo_u32 v2, v9, s56
	v_sub_u32_e32 v2, v7, v2
	v_mul_lo_u32 v2, v2, s7
	v_mad_u64_u32 v[12:13], s[2:3], v9, s6, v[2:3]
	v_mov_b32_e32 v2, v12
.LBB7_17:                               ;   in Loop: Header=BB7_3 Depth=1
	s_or_b64 exec, exec, s[40:41]
	v_or_b32_e32 v7, 2, v36
	v_cmp_lt_i32_e64 s[2:3], 2, v38
	v_pk_mov_b32 v[12:13], 0, 0
	s_and_saveexec_b64 s[40:41], s[2:3]
	s_cbranch_execz .LBB7_22
; %bb.18:                               ;   in Loop: Header=BB7_3 Depth=1
	s_and_b64 vcc, exec, s[0:1]
	v_mov_b32_e32 v12, 0
	v_mov_b32_e32 v9, v7
	s_cbranch_vccnz .LBB7_21
; %bb.19:                               ;   in Loop: Header=BB7_3 Depth=1
	v_mov_b32_e32 v12, 0
	s_mov_b64 s[42:43], s[20:21]
	s_mov_b32 s44, s60
	v_mov_b32_e32 v9, v7
.LBB7_20:                               ;   Parent Loop BB7_3 Depth=1
                                        ; =>  This Inner Loop Header: Depth=2
	s_load_dword s45, s[42:43], 0x0
	s_load_dword s46, s[42:43], 0x64
	v_mov_b32_e32 v11, v9
	s_add_i32 s44, s44, -1
	s_waitcnt lgkmcnt(0)
	v_cvt_f32_u32_e32 v9, s45
	s_sub_i32 s47, 0, s45
	s_add_u32 s42, s42, -4
	s_addc_u32 s43, s43, -1
	v_rcp_iflag_f32_e32 v9, v9
	s_cmp_gt_u32 s44, 2
	v_mul_f32_e32 v9, 0x4f7ffffe, v9
	v_cvt_u32_f32_e32 v9, v9
	v_mul_lo_u32 v13, s47, v9
	v_mul_hi_u32 v13, v9, v13
	v_add_u32_e32 v9, v9, v13
	v_mul_hi_u32 v9, v11, v9
	v_mul_lo_u32 v13, v9, s45
	v_sub_u32_e32 v13, v11, v13
	v_add_u32_e32 v14, 1, v9
	v_cmp_le_u32_e32 vcc, s45, v13
	v_cndmask_b32_e32 v9, v9, v14, vcc
	v_subrev_u32_e32 v14, s45, v13
	v_cndmask_b32_e32 v13, v13, v14, vcc
	v_add_u32_e32 v14, 1, v9
	v_cmp_le_u32_e32 vcc, s45, v13
	v_cndmask_b32_e32 v9, v9, v14, vcc
	v_mul_lo_u32 v13, v9, s45
	v_sub_u32_e32 v11, v11, v13
	v_mad_u64_u32 v[12:13], s[46:47], s46, v11, v[12:13]
	s_cbranch_scc1 .LBB7_20
.LBB7_21:                               ;   in Loop: Header=BB7_3 Depth=1
	v_mad_u64_u32 v[12:13], s[42:43], s57, v9, v[12:13]
	v_mov_b32_e32 v13, v3
.LBB7_22:                               ;   in Loop: Header=BB7_3 Depth=1
	s_or_b64 exec, exec, s[40:41]
	v_pk_mov_b32 v[18:19], 0, 0
	v_pk_mov_b32 v[16:17], v[18:19], v[18:19] op_sel:[0,1]
	s_and_saveexec_b64 s[40:41], s[2:3]
	s_cbranch_execz .LBB7_24
; %bb.23:                               ;   in Loop: Header=BB7_3 Depth=1
	v_mul_hi_u32 v9, v7, v1
	v_mul_lo_u32 v11, v9, s56
	v_sub_u32_e32 v11, v7, v11
	v_add_u32_e32 v14, 1, v9
	v_cmp_le_u32_e32 vcc, s56, v11
	v_cndmask_b32_e32 v9, v9, v14, vcc
	v_subrev_u32_e32 v14, s56, v11
	v_cndmask_b32_e32 v11, v11, v14, vcc
	v_add_u32_e32 v14, 1, v9
	v_cmp_le_u32_e32 vcc, s56, v11
	v_cndmask_b32_e32 v9, v9, v14, vcc
	v_mul_lo_u32 v11, v9, s56
	v_sub_u32_e32 v7, v7, v11
	v_mul_lo_u32 v14, v7, s7
	v_mad_u64_u32 v[16:17], s[2:3], v9, s6, v[14:15]
	v_mov_b32_e32 v17, v3
.LBB7_24:                               ;   in Loop: Header=BB7_3 Depth=1
	s_or_b64 exec, exec, s[40:41]
	v_or_b32_e32 v7, 3, v36
	v_cmp_lt_i32_e64 s[2:3], 3, v38
	s_and_saveexec_b64 s[40:41], s[2:3]
	s_cbranch_execz .LBB7_29
; %bb.25:                               ;   in Loop: Header=BB7_3 Depth=1
	s_and_b64 vcc, exec, s[0:1]
	v_mov_b32_e32 v14, 0
	v_mov_b32_e32 v9, v7
	s_cbranch_vccnz .LBB7_28
; %bb.26:                               ;   in Loop: Header=BB7_3 Depth=1
	v_mov_b32_e32 v14, 0
	s_mov_b64 s[42:43], s[20:21]
	s_mov_b32 s44, s60
	v_mov_b32_e32 v9, v7
.LBB7_27:                               ;   Parent Loop BB7_3 Depth=1
                                        ; =>  This Inner Loop Header: Depth=2
	s_load_dword s45, s[42:43], 0x0
	s_load_dword s46, s[42:43], 0x64
	v_mov_b32_e32 v11, v9
	s_add_i32 s44, s44, -1
	s_waitcnt lgkmcnt(0)
	v_cvt_f32_u32_e32 v9, s45
	s_sub_i32 s47, 0, s45
	s_add_u32 s42, s42, -4
	s_addc_u32 s43, s43, -1
	v_rcp_iflag_f32_e32 v9, v9
	s_cmp_gt_u32 s44, 2
	v_mul_f32_e32 v9, 0x4f7ffffe, v9
	v_cvt_u32_f32_e32 v9, v9
	v_mul_lo_u32 v15, s47, v9
	v_mul_hi_u32 v15, v9, v15
	v_add_u32_e32 v9, v9, v15
	v_mul_hi_u32 v9, v11, v9
	v_mul_lo_u32 v15, v9, s45
	v_sub_u32_e32 v15, v11, v15
	v_add_u32_e32 v18, 1, v9
	v_cmp_le_u32_e32 vcc, s45, v15
	v_cndmask_b32_e32 v9, v9, v18, vcc
	v_subrev_u32_e32 v18, s45, v15
	v_cndmask_b32_e32 v15, v15, v18, vcc
	v_add_u32_e32 v18, 1, v9
	v_cmp_le_u32_e32 vcc, s45, v15
	v_cndmask_b32_e32 v9, v9, v18, vcc
	v_mul_lo_u32 v15, v9, s45
	v_sub_u32_e32 v11, v11, v15
	v_mad_u64_u32 v[14:15], s[46:47], s46, v11, v[14:15]
	s_cbranch_scc1 .LBB7_27
.LBB7_28:                               ;   in Loop: Header=BB7_3 Depth=1
	v_mad_u64_u32 v[18:19], s[42:43], s57, v9, v[14:15]
	v_mov_b32_e32 v19, v3
.LBB7_29:                               ;   in Loop: Header=BB7_3 Depth=1
	s_or_b64 exec, exec, s[40:41]
	v_pk_mov_b32 v[14:15], 0, 0
	s_and_saveexec_b64 s[40:41], s[2:3]
	s_cbranch_execz .LBB7_31
; %bb.30:                               ;   in Loop: Header=BB7_3 Depth=1
	v_mul_hi_u32 v9, v7, v1
	v_mul_lo_u32 v11, v9, s56
	v_sub_u32_e32 v11, v7, v11
	v_add_u32_e32 v14, 1, v9
	v_cmp_le_u32_e32 vcc, s56, v11
	v_cndmask_b32_e32 v9, v9, v14, vcc
	v_subrev_u32_e32 v14, s56, v11
	v_cndmask_b32_e32 v11, v11, v14, vcc
	v_add_u32_e32 v14, 1, v9
	v_cmp_le_u32_e32 vcc, s56, v11
	v_cndmask_b32_e32 v9, v9, v14, vcc
	v_mul_lo_u32 v11, v9, s56
	v_sub_u32_e32 v7, v7, v11
	v_mul_lo_u32 v14, v7, s7
	v_mad_u64_u32 v[14:15], s[2:3], v9, s6, v[14:15]
	v_mov_b32_e32 v15, v3
.LBB7_31:                               ;   in Loop: Header=BB7_3 Depth=1
	s_or_b64 exec, exec, s[40:41]
	v_lshlrev_b64 v[14:15], 3, v[14:15]
	v_mov_b32_e32 v7, s13
	v_add_co_u32_e32 v14, vcc, s12, v14
	v_addc_co_u32_e32 v15, vcc, v7, v15, vcc
	global_load_dwordx2 v[20:21], v[14:15], off
	s_andn2_b64 vcc, exec, s[18:19]
	v_pk_mov_b32 v[14:15], s[10:11], s[10:11] op_sel:[0,1]
	v_pk_mov_b32 v[22:23], s[8:9], s[8:9] op_sel:[0,1]
	s_cbranch_vccnz .LBB7_33
; %bb.32:                               ;   in Loop: Header=BB7_3 Depth=1
	v_pk_mov_b32 v[14:15], s[10:11], s[10:11] op_sel:[0,1]
	flat_load_dwordx2 v[14:15], v[14:15]
	v_pk_mov_b32 v[22:23], s[8:9], s[8:9] op_sel:[0,1]
	flat_load_dwordx2 v[22:23], v[22:23]
	v_mov_b32_e32 v7, s15
	s_waitcnt vmcnt(0) lgkmcnt(0)
	v_add_co_u32_e32 v14, vcc, s14, v14
	v_addc_co_u32_e32 v15, vcc, v15, v7, vcc
.LBB7_33:                               ;   in Loop: Header=BB7_3 Depth=1
	v_alignbit_b32 v7, v15, v14, 2
	v_lshrrev_b32_e32 v11, 2, v15
	v_xor_b32_e32 v24, v4, v22
	v_and_b32_e32 v9, 3, v14
	v_mad_u64_u32 v[14:15], s[2:3], v7, s61, 0
	v_xor_b32_e32 v24, v24, v11
	v_xor_b32_e32 v15, v15, v23
	v_add_u32_e32 v42, 0xbb67ae85, v23
	v_mad_u64_u32 v[24:25], s[2:3], v24, s61, 0
	v_mad_u64_u32 v[26:27], s[2:3], v15, s58, 0
	v_xor_b32_e32 v25, v42, v25
	v_add_u32_e32 v41, 0x9e3779b9, v22
	v_xor_b32_e32 v15, v0, v27
	v_xor_b32_e32 v25, v25, v14
	v_xor_b32_e32 v15, v15, v41
	v_add_u32_e32 v43, 0x3c6ef372, v22
	v_mad_u64_u32 v[28:29], s[2:3], v25, s58, 0
	v_add_u32_e32 v44, 0x76cf5d0a, v23
	v_mad_u64_u32 v[14:15], s[2:3], v15, s61, 0
	v_xor_b32_e32 v25, v43, v29
	v_xor_b32_e32 v25, v25, v26
	v_xor_b32_e32 v15, v44, v15
	v_xor_b32_e32 v15, v15, v24
	v_add_u32_e32 v46, 0x32370b8f, v23
	v_mad_u64_u32 v[24:25], s[2:3], v25, s61, 0
	v_add_u32_e32 v45, 0xdaa66d2b, v22
	v_mad_u64_u32 v[26:27], s[2:3], v15, s58, 0
	v_xor_b32_e32 v25, v46, v25
	;; [unrolled: 8-line block ×5, first 2 shown]
	v_xor_b32_e32 v25, v25, v26
	v_xor_b32_e32 v15, v52, v15
	;; [unrolled: 1-line block ×3, first 2 shown]
	v_add_u32_e32 v54, 0x1fd5c5a3, v23
	v_mad_u64_u32 v[24:25], s[2:3], v25, s61, 0
	v_xor_b32_e32 v25, v54, v25
	v_xor_b32_e32 v14, v25, v14
	v_add_u32_e32 v53, 0x5384540f, v22
	v_mad_u64_u32 v[30:31], s[2:3], v15, s58, 0
	v_add_co_u32_e32 v39, vcc, s62, v22
	v_mad_u64_u32 v[26:27], s[2:3], v14, s58, 0
	v_xor_b32_e32 v15, v53, v31
	v_xor_b32_e32 v14, v39, v27
	;; [unrolled: 1-line block ×4, first 2 shown]
	v_mad_u64_u32 v[28:29], s[2:3], v15, s61, 0
	v_mad_u64_u32 v[14:15], s[2:3], v14, s61, 0
	v_add_co_u32_e32 v7, vcc, 1, v7
	v_xor_b32_e32 v15, v15, v28
	v_cndmask_b32_e64 v28, 0, 1, vcc
	v_addc_co_u32_e32 v11, vcc, 0, v11, vcc
	v_cmp_eq_u32_e32 vcc, 0, v11
	v_cndmask_b32_e32 v28, 0, v28, vcc
	v_add_u32_e32 v32, v28, v5
	v_cmp_eq_u32_e32 vcc, 0, v32
	v_mad_u64_u32 v[32:33], s[2:3], v32, s58, 0
	v_mad_u64_u32 v[30:31], s[2:3], v7, s61, 0
	v_xor_b32_e32 v7, v33, v22
	v_cndmask_b32_e32 v28, 0, v28, vcc
	v_xor_b32_e32 v7, v11, v7
	v_xor_b32_e32 v11, v31, v23
	;; [unrolled: 1-line block ×3, first 2 shown]
	v_mad_u64_u32 v[34:35], s[2:3], v11, s58, 0
	v_add_u32_e32 v25, 0xdb3d7428, v23
	v_add_u32_e32 v27, 0x8ff34781, v22
	;; [unrolled: 1-line block ×3, first 2 shown]
	v_mad_u64_u32 v[22:23], s[2:3], v7, s61, 0
	v_xor_b32_e32 v7, v41, v35
	v_xor_b32_e32 v7, v7, v32
	v_xor_b32_e32 v11, v42, v23
	v_xor_b32_e32 v11, v11, v30
	v_mad_u64_u32 v[30:31], s[2:3], v7, s61, 0
	v_mad_u64_u32 v[32:33], s[2:3], v11, s58, 0
	v_xor_b32_e32 v11, v44, v31
	v_xor_b32_e32 v7, v43, v33
	v_xor_b32_e32 v11, v11, v22
	v_xor_b32_e32 v7, v7, v34
	v_mad_u64_u32 v[34:35], s[2:3], v11, s58, 0
	;; [unrolled: 6-line block ×7, first 2 shown]
	v_xor_b32_e32 v7, v25, v33
	v_xor_b32_e32 v7, v7, v22
	v_mad_u64_u32 v[34:35], s[2:3], v11, s58, 0
	v_mad_u64_u32 v[22:23], s[2:3], v7, s58, 0
	v_xor_b32_e32 v7, v23, v34
	v_xor_b32_e32 v15, v40, v15
	;; [unrolled: 1-line block ×3, first 2 shown]
	v_cmp_lt_i32_e32 vcc, 1, v9
                                        ; implicit-def: $vgpr11
	s_and_saveexec_b64 s[2:3], vcc
	s_xor_b64 s[2:3], exec, s[2:3]
	s_cbranch_execz .LBB7_39
; %bb.34:                               ;   in Loop: Header=BB7_3 Depth=1
	v_cmp_lt_i32_e32 vcc, 2, v9
                                        ; implicit-def: $vgpr11
	s_and_saveexec_b64 s[40:41], vcc
	s_xor_b64 s[40:41], exec, s[40:41]
; %bb.35:                               ;   in Loop: Header=BB7_3 Depth=1
	v_xor_b32_e32 v9, v39, v35
	v_xor_b32_e32 v9, v9, v30
	v_mul_hi_u32 v9, v9, s61
	v_xor_b32_e32 v9, v9, v32
	v_xor_b32_e32 v11, v40, v9
                                        ; implicit-def: $vgpr15
; %bb.36:                               ;   in Loop: Header=BB7_3 Depth=1
	s_andn2_saveexec_b64 s[40:41], s[40:41]
; %bb.37:                               ;   in Loop: Header=BB7_3 Depth=1
	v_mov_b32_e32 v11, v22
	v_mov_b32_e32 v22, v7
	v_mov_b32_e32 v7, v14
	v_mov_b32_e32 v14, v15
; %bb.38:                               ;   in Loop: Header=BB7_3 Depth=1
	s_or_b64 exec, exec, s[40:41]
                                        ; implicit-def: $vgpr24_vgpr25
                                        ; implicit-def: $vgpr26_vgpr27
                                        ; implicit-def: $vgpr9
                                        ; implicit-def: $vgpr15
                                        ; implicit-def: $vgpr28_vgpr29
                                        ; implicit-def: $vgpr25
                                        ; implicit-def: $vgpr27
.LBB7_39:                               ;   in Loop: Header=BB7_3 Depth=1
	s_andn2_saveexec_b64 s[2:3], s[2:3]
	s_cbranch_execz .LBB7_43
; %bb.40:                               ;   in Loop: Header=BB7_3 Depth=1
	v_xor_b32_e32 v11, v25, v29
	v_xor_b32_e32 v11, v11, v24
	v_mad_u64_u32 v[24:25], s[40:41], v11, s58, 0
	v_xor_b32_e32 v11, v25, v26
	v_xor_b32_e32 v23, v27, v11
	v_cmp_eq_u32_e32 vcc, 1, v9
	v_mov_b32_e32 v11, v14
	v_mov_b32_e32 v22, v15
	;; [unrolled: 1-line block ×3, first 2 shown]
	s_and_saveexec_b64 s[40:41], vcc
; %bb.41:                               ;   in Loop: Header=BB7_3 Depth=1
	v_mov_b32_e32 v11, v7
	v_mov_b32_e32 v22, v14
	;; [unrolled: 1-line block ×4, first 2 shown]
; %bb.42:                               ;   in Loop: Header=BB7_3 Depth=1
	s_or_b64 exec, exec, s[40:41]
	v_mov_b32_e32 v14, v23
	v_mov_b32_e32 v7, v9
.LBB7_43:                               ;   in Loop: Header=BB7_3 Depth=1
	s_or_b64 exec, exec, s[2:3]
	v_min_i32_e32 v9, 4, v38
	v_cmp_lt_i32_e32 vcc, 2, v9
	s_mov_b64 s[40:41], 0
	s_mov_b64 s[54:55], 0
	s_mov_b64 s[42:43], 0
                                        ; implicit-def: $sgpr44_sgpr45
                                        ; implicit-def: $sgpr46_sgpr47
                                        ; implicit-def: $sgpr48_sgpr49
	s_and_saveexec_b64 s[2:3], vcc
	s_xor_b64 s[50:51], exec, s[2:3]
	s_cbranch_execz .LBB7_55
; %bb.44:                               ;   in Loop: Header=BB7_3 Depth=1
	v_cmp_lt_i32_e32 vcc, 3, v9
	s_mov_b64 s[2:3], -1
	s_mov_b64 s[52:53], 0
                                        ; implicit-def: $sgpr42_sgpr43
                                        ; implicit-def: $sgpr44_sgpr45
	s_and_saveexec_b64 s[46:47], vcc
	s_cbranch_execz .LBB7_50
; %bb.45:                               ;   in Loop: Header=BB7_3 Depth=1
	v_cmp_eq_u32_e32 vcc, 4, v9
	s_mov_b64 s[2:3], 0
	s_mov_b64 s[54:55], -1
                                        ; implicit-def: $sgpr42_sgpr43
                                        ; implicit-def: $sgpr44_sgpr45
	s_and_saveexec_b64 s[48:49], vcc
	s_cbranch_execz .LBB7_49
; %bb.46:                               ;   in Loop: Header=BB7_3 Depth=1
	s_waitcnt vmcnt(0)
	v_cmp_le_f64_e32 vcc, 0, v[20:21]
	v_cmp_ge_f64_e64 s[2:3], 1.0, v[20:21]
	s_and_b64 s[54:55], vcc, s[2:3]
	s_mov_b64 s[42:43], 0
	s_mov_b64 s[2:3], 0
	s_and_saveexec_b64 s[44:45], s[54:55]
	s_cbranch_execz .LBB7_48
; %bb.47:                               ;   in Loop: Header=BB7_3 Depth=1
	v_cvt_f32_u32_e32 v11, v11
	v_mov_b32_e32 v15, 0x2f800000
	v_lshlrev_b64 v[18:19], 3, v[18:19]
	s_waitcnt lgkmcnt(0)
	v_add_co_u32_e32 v18, vcc, s16, v18
	v_fmac_f32_e32 v15, 0x2f800000, v11
	v_mov_b32_e32 v11, s17
	v_addc_co_u32_e32 v19, vcc, v11, v19, vcc
	v_cvt_f64_f32_e32 v[24:25], v15
	v_cmp_ge_f64_e32 vcc, v[20:21], v[24:25]
	s_mov_b64 s[2:3], exec
	v_cndmask_b32_e32 v21, 0, v37, vcc
	v_mov_b32_e32 v20, v3
	global_store_dwordx2 v[18:19], v[20:21], off
.LBB7_48:                               ;   in Loop: Header=BB7_3 Depth=1
	s_or_b64 exec, exec, s[44:45]
	s_mov_b64 s[44:45], -1
	s_xor_b64 s[54:55], exec, -1
	s_and_b64 s[2:3], s[2:3], exec
.LBB7_49:                               ;   in Loop: Header=BB7_3 Depth=1
	s_or_b64 exec, exec, s[48:49]
	s_and_b64 s[54:55], s[54:55], exec
	s_orn2_b64 s[2:3], s[2:3], exec
.LBB7_50:                               ;   in Loop: Header=BB7_3 Depth=1
	s_or_b64 exec, exec, s[46:47]
	s_mov_b64 s[48:49], s[42:43]
	s_and_saveexec_b64 s[46:47], s[2:3]
	s_cbranch_execz .LBB7_54
; %bb.51:                               ;   in Loop: Header=BB7_3 Depth=1
	v_lshlrev_b64 v[16:17], 3, v[16:17]
	v_mov_b32_e32 v11, s13
	v_add_co_u32_e32 v16, vcc, s12, v16
	v_addc_co_u32_e32 v17, vcc, v11, v17, vcc
	global_load_dwordx2 v[16:17], v[16:17], off
	s_waitcnt vmcnt(0)
	v_cmp_le_f64_e32 vcc, 0, v[16:17]
	v_cmp_ge_f64_e64 s[2:3], 1.0, v[16:17]
	s_and_b64 s[48:49], vcc, s[2:3]
	s_mov_b64 s[2:3], 0
	s_and_saveexec_b64 s[52:53], s[48:49]
	s_xor_b64 s[48:49], exec, s[52:53]
	s_cbranch_execz .LBB7_53
; %bb.52:                               ;   in Loop: Header=BB7_3 Depth=1
	v_cvt_f32_u32_e32 v11, v22
	v_mov_b32_e32 v15, 0x2f800000
	v_lshlrev_b64 v[12:13], 3, v[12:13]
	s_waitcnt lgkmcnt(0)
	v_add_co_u32_e32 v12, vcc, s16, v12
	v_fmac_f32_e32 v15, 0x2f800000, v11
	v_mov_b32_e32 v11, s17
	v_addc_co_u32_e32 v13, vcc, v11, v13, vcc
	v_cvt_f64_f32_e32 v[18:19], v15
	v_cmp_ge_f64_e32 vcc, v[16:17], v[18:19]
	v_cndmask_b32_e32 v17, 0, v37, vcc
	v_mov_b32_e32 v16, v3
	s_mov_b64 s[2:3], exec
	global_store_dwordx2 v[12:13], v[16:17], off
.LBB7_53:                               ;   in Loop: Header=BB7_3 Depth=1
	s_or_b64 exec, exec, s[48:49]
	s_andn2_b64 s[48:49], s[42:43], exec
	s_or_b64 s[42:43], s[42:43], exec
	s_andn2_b64 s[44:45], s[44:45], exec
	s_and_b64 s[52:53], s[2:3], exec
.LBB7_54:                               ;   in Loop: Header=BB7_3 Depth=1
	s_or_b64 exec, exec, s[46:47]
	s_and_b64 s[48:49], s[48:49], exec
	s_and_b64 s[46:47], s[42:43], exec
	;; [unrolled: 1-line block ×5, first 2 shown]
.LBB7_55:                               ;   in Loop: Header=BB7_3 Depth=1
	s_andn2_saveexec_b64 s[2:3], s[50:51]
; %bb.56:                               ;   in Loop: Header=BB7_3 Depth=1
	v_cmp_lt_i32_e32 vcc, 1, v9
	s_andn2_b64 s[50:51], s[54:55], exec
	s_and_b64 s[52:53], vcc, exec
	s_mov_b64 s[40:41], exec
	s_andn2_b64 s[48:49], s[48:49], exec
	s_andn2_b64 s[46:47], s[46:47], exec
	s_andn2_b64 s[44:45], s[44:45], exec
	s_or_b64 s[54:55], s[50:51], s[52:53]
; %bb.57:                               ;   in Loop: Header=BB7_3 Depth=1
	s_or_b64 exec, exec, s[2:3]
	s_mov_b64 s[2:3], 0
	s_mov_b64 s[50:51], s[48:49]
	s_and_saveexec_b64 s[52:53], s[54:55]
	s_cbranch_execnz .LBB7_60
; %bb.58:                               ;   in Loop: Header=BB7_3 Depth=1
	s_or_b64 exec, exec, s[52:53]
	s_and_saveexec_b64 s[52:53], s[40:41]
	s_cbranch_execnz .LBB7_63
.LBB7_59:                               ;   in Loop: Header=BB7_3 Depth=1
	s_or_b64 exec, exec, s[52:53]
	s_and_saveexec_b64 s[40:41], s[2:3]
	s_cbranch_execnz .LBB7_64
	s_branch .LBB7_67
.LBB7_60:                               ;   in Loop: Header=BB7_3 Depth=1
	v_lshlrev_b64 v[12:13], 3, v[2:3]
	v_mov_b32_e32 v2, s13
	v_add_co_u32_e32 v12, vcc, s12, v12
	v_addc_co_u32_e32 v13, vcc, v2, v13, vcc
	global_load_dwordx2 v[12:13], v[12:13], off
	s_waitcnt vmcnt(0)
	v_cmp_le_f64_e32 vcc, 0, v[12:13]
	v_cmp_ge_f64_e64 s[2:3], 1.0, v[12:13]
	s_and_b64 s[50:51], vcc, s[2:3]
	s_mov_b64 s[2:3], 0
	s_and_saveexec_b64 s[54:55], s[50:51]
	s_xor_b64 s[50:51], exec, s[54:55]
	s_cbranch_execz .LBB7_62
; %bb.61:                               ;   in Loop: Header=BB7_3 Depth=1
	v_cvt_f32_u32_e32 v2, v7
	v_mov_b32_e32 v11, v3
	v_mov_b32_e32 v7, 0x2f800000
	v_lshlrev_b64 v[10:11], 3, v[10:11]
	v_fmac_f32_e32 v7, 0x2f800000, v2
	s_waitcnt lgkmcnt(0)
	v_mov_b32_e32 v2, s17
	v_add_co_u32_e32 v10, vcc, s16, v10
	v_addc_co_u32_e32 v11, vcc, v2, v11, vcc
	v_cvt_f64_f32_e32 v[16:17], v7
	v_cmp_ge_f64_e32 vcc, v[12:13], v[16:17]
	v_cndmask_b32_e32 v13, 0, v37, vcc
	v_mov_b32_e32 v12, v3
	s_mov_b64 s[2:3], exec
	global_store_dwordx2 v[10:11], v[12:13], off
.LBB7_62:                               ;   in Loop: Header=BB7_3 Depth=1
	s_or_b64 exec, exec, s[50:51]
	s_andn2_b64 s[50:51], s[48:49], exec
	s_or_b64 s[48:49], s[48:49], exec
	s_andn2_b64 s[46:47], s[46:47], exec
	s_andn2_b64 s[44:45], s[44:45], exec
	s_and_b64 s[2:3], s[2:3], exec
	s_andn2_b64 s[40:41], s[40:41], exec
	s_or_b64 exec, exec, s[52:53]
	s_and_saveexec_b64 s[52:53], s[40:41]
	s_cbranch_execz .LBB7_59
.LBB7_63:                               ;   in Loop: Header=BB7_3 Depth=1
	v_cmp_eq_u32_e32 vcc, 1, v9
	s_andn2_b64 s[2:3], s[2:3], exec
	s_and_b64 s[40:41], vcc, exec
	s_andn2_b64 s[50:51], s[50:51], exec
	s_andn2_b64 s[48:49], s[48:49], exec
	;; [unrolled: 1-line block ×4, first 2 shown]
	s_or_b64 s[42:43], s[42:43], exec
	s_or_b64 s[2:3], s[2:3], s[40:41]
	s_or_b64 exec, exec, s[52:53]
	s_and_saveexec_b64 s[40:41], s[2:3]
	s_cbranch_execz .LBB7_67
.LBB7_64:                               ;   in Loop: Header=BB7_3 Depth=1
	v_mov_b32_e32 v9, v3
	v_lshlrev_b64 v[8:9], 3, v[8:9]
	v_mov_b32_e32 v2, s13
	v_add_co_u32_e32 v8, vcc, s12, v8
	v_addc_co_u32_e32 v9, vcc, v2, v9, vcc
	global_load_dwordx2 v[8:9], v[8:9], off
	s_waitcnt vmcnt(0)
	v_cmp_le_f64_e32 vcc, 0, v[8:9]
	v_cmp_ge_f64_e64 s[2:3], 1.0, v[8:9]
	s_and_b64 s[54:55], vcc, s[2:3]
	s_mov_b64 s[2:3], 0
	s_and_saveexec_b64 s[52:53], s[54:55]
	s_cbranch_execz .LBB7_66
; %bb.65:                               ;   in Loop: Header=BB7_3 Depth=1
	v_cvt_f32_u32_e32 v2, v14
	v_mov_b32_e32 v7, v3
	v_mov_b32_e32 v10, 0x2f800000
	v_lshlrev_b64 v[6:7], 3, v[6:7]
	v_fmac_f32_e32 v10, 0x2f800000, v2
	s_waitcnt lgkmcnt(0)
	v_mov_b32_e32 v2, s17
	v_add_co_u32_e32 v6, vcc, s16, v6
	v_addc_co_u32_e32 v7, vcc, v2, v7, vcc
	v_cvt_f64_f32_e32 v[10:11], v10
	v_cmp_ge_f64_e32 vcc, v[8:9], v[10:11]
	s_mov_b64 s[2:3], exec
	v_cndmask_b32_e32 v9, 0, v37, vcc
	v_mov_b32_e32 v8, v3
	global_store_dwordx2 v[6:7], v[8:9], off
.LBB7_66:                               ;   in Loop: Header=BB7_3 Depth=1
	s_or_b64 exec, exec, s[52:53]
	s_andn2_b64 s[42:43], s[42:43], exec
	s_and_b64 s[2:3], s[2:3], exec
	s_or_b64 s[50:51], s[50:51], exec
	s_andn2_b64 s[48:49], s[48:49], exec
	s_andn2_b64 s[46:47], s[46:47], exec
	;; [unrolled: 1-line block ×3, first 2 shown]
	s_or_b64 s[42:43], s[42:43], s[2:3]
.LBB7_67:                               ;   in Loop: Header=BB7_3 Depth=1
	s_or_b64 exec, exec, s[40:41]
	s_andn2_b64 s[38:39], s[38:39], exec
	s_and_b64 s[40:41], s[50:51], exec
	s_or_b64 s[38:39], s[38:39], s[40:41]
	s_andn2_b64 s[36:37], s[36:37], exec
	s_and_b64 s[40:41], s[48:49], exec
	s_or_b64 s[36:37], s[36:37], s[40:41]
	s_andn2_b64 s[34:35], s[34:35], exec
	s_and_b64 s[40:41], s[46:47], exec
	s_or_b64 s[34:35], s[34:35], s[40:41]
	s_andn2_b64 s[30:31], s[30:31], exec
	s_and_b64 s[40:41], s[44:45], exec
	s_mov_b64 s[2:3], -1
	s_or_b64 s[30:31], s[30:31], s[40:41]
	s_and_saveexec_b64 s[40:41], s[42:43]
	s_cbranch_execz .LBB7_2
; %bb.68:                               ;   in Loop: Header=BB7_3 Depth=1
	v_add_u32_e32 v36, s59, v36
	v_cmp_le_u32_e32 vcc, s33, v36
	s_andn2_b64 s[38:39], s[38:39], exec
	s_andn2_b64 s[36:37], s[36:37], exec
	;; [unrolled: 1-line block ×4, first 2 shown]
	s_orn2_b64 s[2:3], vcc, exec
	s_branch .LBB7_2
.LBB7_69:
	s_or_b64 exec, exec, s[22:23]
	s_xor_b64 s[8:9], s[28:29], -1
	s_xor_b64 s[10:11], s[26:27], -1
	;; [unrolled: 1-line block ×3, first 2 shown]
	s_mov_b64 s[2:3], 0
	s_and_saveexec_b64 s[6:7], s[0:1]
	s_xor_b64 s[0:1], exec, s[6:7]
	s_cbranch_execnz .LBB7_74
; %bb.70:
	s_andn2_saveexec_b64 s[0:1], s[0:1]
	s_cbranch_execnz .LBB7_82
.LBB7_71:
	s_or_b64 exec, exec, s[0:1]
	s_and_b64 exec, exec, s[2:3]
.LBB7_72:
	; divergent unreachable
.LBB7_73:
	s_endpgm
.LBB7_74:
	s_mov_b64 s[6:7], 0
	s_and_saveexec_b64 s[2:3], s[10:11]
	s_xor_b64 s[2:3], exec, s[2:3]
	s_cbranch_execz .LBB7_80
; %bb.75:
	s_and_saveexec_b64 s[10:11], s[8:9]
	s_xor_b64 s[8:9], exec, s[10:11]
	s_cbranch_execz .LBB7_78
; %bb.76:
	s_and_saveexec_b64 s[10:11], s[4:5]
	s_xor_b64 s[4:5], exec, s[10:11]
	s_cbranch_execnz .LBB7_85
.LBB7_77:
	s_or_b64 exec, exec, s[4:5]
	s_and_b64 s[6:7], s[6:7], exec
.LBB7_78:
	s_andn2_saveexec_b64 s[4:5], s[8:9]
	s_cbranch_execnz .LBB7_84
.LBB7_79:
	s_or_b64 exec, exec, s[4:5]
	s_and_b64 s[6:7], s[6:7], exec
.LBB7_80:
	s_andn2_saveexec_b64 s[2:3], s[2:3]
	s_cbranch_execnz .LBB7_83
.LBB7_81:
	s_or_b64 exec, exec, s[2:3]
	s_and_b64 s[2:3], s[6:7], exec
	s_andn2_saveexec_b64 s[0:1], s[0:1]
	s_cbranch_execz .LBB7_71
.LBB7_82:
	s_or_b64 s[2:3], s[2:3], exec
	s_trap 2
	s_or_b64 exec, exec, s[0:1]
	s_and_b64 exec, exec, s[2:3]
	s_cbranch_execnz .LBB7_72
	s_branch .LBB7_73
.LBB7_83:
	s_or_b64 s[6:7], s[6:7], exec
	s_trap 2
	s_branch .LBB7_81
.LBB7_84:
	s_trap 2
	s_or_b64 s[6:7], s[6:7], exec
	s_branch .LBB7_79
.LBB7_85:
	s_mov_b64 s[6:7], exec
	s_trap 2
	s_branch .LBB7_77
	.section	.rodata,"a",@progbits
	.p2align	6, 0x0
	.amdhsa_kernel _ZN2at4cuda12_GLOBAL__N_121kernelPointwiseApply2IZNS_6native9templates4cuda28bernoulli_tensor_cuda_kernelIddEEvRKNS_10TensorBaseES9_NS_15PhiloxCudaStateEEUliRdSB_SB_SB_RKdSD_SD_SD_E_dSC_jLin1ELi2ELi4ELi512ELi2EEEvNS0_6detail10TensorInfoIT0_T2_EENSG_IT1_SI_EESI_T_
		.amdhsa_group_segment_fixed_size 0
		.amdhsa_private_segment_fixed_size 0
		.amdhsa_kernarg_size 728
		.amdhsa_user_sgpr_count 6
		.amdhsa_user_sgpr_private_segment_buffer 1
		.amdhsa_user_sgpr_dispatch_ptr 0
		.amdhsa_user_sgpr_queue_ptr 0
		.amdhsa_user_sgpr_kernarg_segment_ptr 1
		.amdhsa_user_sgpr_dispatch_id 0
		.amdhsa_user_sgpr_flat_scratch_init 0
		.amdhsa_user_sgpr_kernarg_preload_length 0
		.amdhsa_user_sgpr_kernarg_preload_offset 0
		.amdhsa_user_sgpr_private_segment_size 0
		.amdhsa_uses_dynamic_stack 0
		.amdhsa_system_sgpr_private_segment_wavefront_offset 0
		.amdhsa_system_sgpr_workgroup_id_x 1
		.amdhsa_system_sgpr_workgroup_id_y 0
		.amdhsa_system_sgpr_workgroup_id_z 0
		.amdhsa_system_sgpr_workgroup_info 0
		.amdhsa_system_vgpr_workitem_id 0
		.amdhsa_next_free_vgpr 55
		.amdhsa_next_free_sgpr 63
		.amdhsa_accum_offset 56
		.amdhsa_reserve_vcc 1
		.amdhsa_reserve_flat_scratch 0
		.amdhsa_float_round_mode_32 0
		.amdhsa_float_round_mode_16_64 0
		.amdhsa_float_denorm_mode_32 3
		.amdhsa_float_denorm_mode_16_64 3
		.amdhsa_dx10_clamp 1
		.amdhsa_ieee_mode 1
		.amdhsa_fp16_overflow 0
		.amdhsa_tg_split 0
		.amdhsa_exception_fp_ieee_invalid_op 0
		.amdhsa_exception_fp_denorm_src 0
		.amdhsa_exception_fp_ieee_div_zero 0
		.amdhsa_exception_fp_ieee_overflow 0
		.amdhsa_exception_fp_ieee_underflow 0
		.amdhsa_exception_fp_ieee_inexact 0
		.amdhsa_exception_int_div_zero 0
	.end_amdhsa_kernel
	.section	.text._ZN2at4cuda12_GLOBAL__N_121kernelPointwiseApply2IZNS_6native9templates4cuda28bernoulli_tensor_cuda_kernelIddEEvRKNS_10TensorBaseES9_NS_15PhiloxCudaStateEEUliRdSB_SB_SB_RKdSD_SD_SD_E_dSC_jLin1ELi2ELi4ELi512ELi2EEEvNS0_6detail10TensorInfoIT0_T2_EENSG_IT1_SI_EESI_T_,"axG",@progbits,_ZN2at4cuda12_GLOBAL__N_121kernelPointwiseApply2IZNS_6native9templates4cuda28bernoulli_tensor_cuda_kernelIddEEvRKNS_10TensorBaseES9_NS_15PhiloxCudaStateEEUliRdSB_SB_SB_RKdSD_SD_SD_E_dSC_jLin1ELi2ELi4ELi512ELi2EEEvNS0_6detail10TensorInfoIT0_T2_EENSG_IT1_SI_EESI_T_,comdat
.Lfunc_end7:
	.size	_ZN2at4cuda12_GLOBAL__N_121kernelPointwiseApply2IZNS_6native9templates4cuda28bernoulli_tensor_cuda_kernelIddEEvRKNS_10TensorBaseES9_NS_15PhiloxCudaStateEEUliRdSB_SB_SB_RKdSD_SD_SD_E_dSC_jLin1ELi2ELi4ELi512ELi2EEEvNS0_6detail10TensorInfoIT0_T2_EENSG_IT1_SI_EESI_T_, .Lfunc_end7-_ZN2at4cuda12_GLOBAL__N_121kernelPointwiseApply2IZNS_6native9templates4cuda28bernoulli_tensor_cuda_kernelIddEEvRKNS_10TensorBaseES9_NS_15PhiloxCudaStateEEUliRdSB_SB_SB_RKdSD_SD_SD_E_dSC_jLin1ELi2ELi4ELi512ELi2EEEvNS0_6detail10TensorInfoIT0_T2_EENSG_IT1_SI_EESI_T_
                                        ; -- End function
	.section	.AMDGPU.csdata,"",@progbits
; Kernel info:
; codeLenInByte = 3940
; NumSgprs: 67
; NumVgprs: 55
; NumAgprs: 0
; TotalNumVgprs: 55
; ScratchSize: 0
; MemoryBound: 0
; FloatMode: 240
; IeeeMode: 1
; LDSByteSize: 0 bytes/workgroup (compile time only)
; SGPRBlocks: 8
; VGPRBlocks: 6
; NumSGPRsForWavesPerEU: 67
; NumVGPRsForWavesPerEU: 55
; AccumOffset: 56
; Occupancy: 8
; WaveLimiterHint : 1
; COMPUTE_PGM_RSRC2:SCRATCH_EN: 0
; COMPUTE_PGM_RSRC2:USER_SGPR: 6
; COMPUTE_PGM_RSRC2:TRAP_HANDLER: 0
; COMPUTE_PGM_RSRC2:TGID_X_EN: 1
; COMPUTE_PGM_RSRC2:TGID_Y_EN: 0
; COMPUTE_PGM_RSRC2:TGID_Z_EN: 0
; COMPUTE_PGM_RSRC2:TIDIG_COMP_CNT: 0
; COMPUTE_PGM_RSRC3_GFX90A:ACCUM_OFFSET: 13
; COMPUTE_PGM_RSRC3_GFX90A:TG_SPLIT: 0
	.section	.text._ZN2at4cuda12_GLOBAL__N_121kernelPointwiseApply2IZNS_6native9templates4cuda28bernoulli_tensor_cuda_kernelIddEEvRKNS_10TensorBaseES9_NS_15PhiloxCudaStateEEUliRdSB_SB_SB_RKdSD_SD_SD_E_dSC_jLin1ELin1ELi4ELi512ELi2EEEvNS0_6detail10TensorInfoIT0_T2_EENSG_IT1_SI_EESI_T_,"axG",@progbits,_ZN2at4cuda12_GLOBAL__N_121kernelPointwiseApply2IZNS_6native9templates4cuda28bernoulli_tensor_cuda_kernelIddEEvRKNS_10TensorBaseES9_NS_15PhiloxCudaStateEEUliRdSB_SB_SB_RKdSD_SD_SD_E_dSC_jLin1ELin1ELi4ELi512ELi2EEEvNS0_6detail10TensorInfoIT0_T2_EENSG_IT1_SI_EESI_T_,comdat
	.globl	_ZN2at4cuda12_GLOBAL__N_121kernelPointwiseApply2IZNS_6native9templates4cuda28bernoulli_tensor_cuda_kernelIddEEvRKNS_10TensorBaseES9_NS_15PhiloxCudaStateEEUliRdSB_SB_SB_RKdSD_SD_SD_E_dSC_jLin1ELin1ELi4ELi512ELi2EEEvNS0_6detail10TensorInfoIT0_T2_EENSG_IT1_SI_EESI_T_ ; -- Begin function _ZN2at4cuda12_GLOBAL__N_121kernelPointwiseApply2IZNS_6native9templates4cuda28bernoulli_tensor_cuda_kernelIddEEvRKNS_10TensorBaseES9_NS_15PhiloxCudaStateEEUliRdSB_SB_SB_RKdSD_SD_SD_E_dSC_jLin1ELin1ELi4ELi512ELi2EEEvNS0_6detail10TensorInfoIT0_T2_EENSG_IT1_SI_EESI_T_
	.p2align	8
	.type	_ZN2at4cuda12_GLOBAL__N_121kernelPointwiseApply2IZNS_6native9templates4cuda28bernoulli_tensor_cuda_kernelIddEEvRKNS_10TensorBaseES9_NS_15PhiloxCudaStateEEUliRdSB_SB_SB_RKdSD_SD_SD_E_dSC_jLin1ELin1ELi4ELi512ELi2EEEvNS0_6detail10TensorInfoIT0_T2_EENSG_IT1_SI_EESI_T_,@function
_ZN2at4cuda12_GLOBAL__N_121kernelPointwiseApply2IZNS_6native9templates4cuda28bernoulli_tensor_cuda_kernelIddEEvRKNS_10TensorBaseES9_NS_15PhiloxCudaStateEEUliRdSB_SB_SB_RKdSD_SD_SD_E_dSC_jLin1ELin1ELi4ELi512ELi2EEEvNS0_6detail10TensorInfoIT0_T2_EENSG_IT1_SI_EESI_T_: ; @_ZN2at4cuda12_GLOBAL__N_121kernelPointwiseApply2IZNS_6native9templates4cuda28bernoulli_tensor_cuda_kernelIddEEvRKNS_10TensorBaseES9_NS_15PhiloxCudaStateEEUliRdSB_SB_SB_RKdSD_SD_SD_E_dSC_jLin1ELin1ELi4ELi512ELi2EEEvNS0_6detail10TensorInfoIT0_T2_EENSG_IT1_SI_EESI_T_
; %bb.0:
	s_load_dword s2, s[4:5], 0x1e4
	s_load_dword s33, s[4:5], 0x1b0
	s_add_u32 s0, s4, 0x1d8
	s_addc_u32 s1, s5, 0
	s_waitcnt lgkmcnt(0)
	s_and_b32 s2, s2, 0xffff
	s_mul_i32 s6, s6, s2
	v_add_u32_e32 v5, s6, v0
	v_lshlrev_b32_e32 v36, 2, v5
	v_cmp_gt_u32_e32 vcc, s33, v36
	s_and_saveexec_b64 s[6:7], vcc
	s_cbranch_execz .LBB8_85
; %bb.1:
	s_load_dword s0, s[0:1], 0x0
	s_nop 0
	s_load_dword s16, s[4:5], 0x1d0
	s_load_dword s20, s[4:5], 0xd0
	s_add_u32 s22, s4, 0xd8
	s_load_dwordx2 s[6:7], s[4:5], 0x1c8
	s_load_dwordx4 s[8:11], s[4:5], 0x1b8
	s_load_dword s24, s[4:5], 0x1a8
	s_load_dwordx2 s[12:13], s[4:5], 0xd8
	s_load_dword s56, s[4:5], 0x6c
	s_addc_u32 s23, s5, 0
	s_waitcnt lgkmcnt(0)
	s_mul_i32 s21, s0, s2
	s_cmp_gt_i32 s20, 1
	s_cselect_b64 s[0:1], -1, 0
	s_cmp_gt_i32 s24, 1
	s_mov_b32 s58, 0xcd9e8d57
	s_cselect_b64 s[2:3], -1, 0
	s_bitcmp1_b32 s16, 0
	v_mad_u64_u32 v[0:1], s[18:19], v5, s58, 0
	s_cselect_b64 s[16:17], -1, 0
	s_add_i32 s18, s20, -1
	s_mov_b32 s19, 0
	s_lshl_b32 s59, s21, 2
	s_add_i32 s60, s20, 1
	s_lshl_b64 s[20:21], s[18:19], 2
	s_load_dword s57, s[4:5], 0x144
	s_load_dwordx2 s[14:15], s[4:5], 0x0
	s_add_u32 s4, s20, s4
	s_addc_u32 s5, s21, s5
	s_add_u32 s20, s4, 8
	s_addc_u32 s21, s5, 0
	s_add_i32 s18, s24, -1
	s_add_i32 s61, s24, 1
	s_lshl_b64 s[4:5], s[18:19], 2
	s_add_u32 s4, s4, s22
	s_addc_u32 s5, s5, s23
	s_add_u32 s22, s4, 8
	v_cndmask_b32_e64 v2, 0, 1, s[0:1]
	v_mov_b32_e32 v3, 0
	v_mov_b32_e32 v4, v1
	s_addc_u32 s23, s5, 0
	s_mov_b64 s[24:25], 0
	v_cndmask_b32_e64 v1, 0, 1, s[2:3]
	s_mov_b32 s62, 0xd2511f53
	v_cmp_ne_u32_e64 s[0:1], 1, v2
	s_mov_b32 s63, 0xf1bbcdc8
	v_mov_b32_e32 v37, 0x3ff00000
                                        ; implicit-def: $sgpr26_sgpr27
                                        ; implicit-def: $sgpr28_sgpr29
                                        ; implicit-def: $sgpr30_sgpr31
                                        ; implicit-def: $sgpr18_sgpr19
                                        ; implicit-def: $sgpr34_sgpr35
                                        ; implicit-def: $sgpr36_sgpr37
                                        ; implicit-def: $sgpr38_sgpr39
                                        ; implicit-def: $sgpr40_sgpr41
	s_branch .LBB8_3
.LBB8_2:                                ;   in Loop: Header=BB8_3 Depth=1
	s_or_b64 exec, exec, s[4:5]
	s_and_b64 s[2:3], exec, s[2:3]
	s_or_b64 s[24:25], s[2:3], s[24:25]
	s_andn2_b64 s[2:3], s[18:19], exec
	s_and_b64 s[4:5], s[40:41], exec
	s_or_b64 s[18:19], s[2:3], s[4:5]
	s_andn2_b64 s[2:3], s[30:31], exec
	s_and_b64 s[4:5], s[38:39], exec
	;; [unrolled: 3-line block ×4, first 2 shown]
	s_or_b64 s[26:27], s[2:3], s[4:5]
	s_andn2_b64 exec, exec, s[24:25]
	s_cbranch_execz .LBB8_81
.LBB8_3:                                ; =>This Loop Header: Depth=1
                                        ;     Child Loop BB8_6 Depth 2
                                        ;     Child Loop BB8_11 Depth 2
	;; [unrolled: 1-line block ×8, first 2 shown]
	v_sub_u32_e32 v38, s33, v36
	v_cmp_lt_i32_e64 s[4:5], 0, v38
	v_mov_b32_e32 v6, 0
	s_and_saveexec_b64 s[2:3], s[4:5]
	s_cbranch_execz .LBB8_8
; %bb.4:                                ;   in Loop: Header=BB8_3 Depth=1
	s_and_b64 vcc, exec, s[0:1]
	v_mov_b32_e32 v6, 0
	v_mov_b32_e32 v2, v36
	s_cbranch_vccnz .LBB8_7
; %bb.5:                                ;   in Loop: Header=BB8_3 Depth=1
	v_mov_b32_e32 v6, 0
	s_mov_b64 s[42:43], s[20:21]
	s_mov_b32 s44, s60
	v_mov_b32_e32 v2, v36
.LBB8_6:                                ;   Parent Loop BB8_3 Depth=1
                                        ; =>  This Inner Loop Header: Depth=2
	s_load_dword s45, s[42:43], 0x0
	s_load_dword s46, s[42:43], 0x64
	v_mov_b32_e32 v7, v2
	s_add_i32 s44, s44, -1
	s_waitcnt lgkmcnt(0)
	v_cvt_f32_u32_e32 v2, s45
	s_sub_i32 s47, 0, s45
	s_add_u32 s42, s42, -4
	s_addc_u32 s43, s43, -1
	v_rcp_iflag_f32_e32 v2, v2
	s_cmp_gt_u32 s44, 2
	v_mul_f32_e32 v2, 0x4f7ffffe, v2
	v_cvt_u32_f32_e32 v2, v2
	v_mul_lo_u32 v8, s47, v2
	v_mul_hi_u32 v8, v2, v8
	v_add_u32_e32 v2, v2, v8
	v_mul_hi_u32 v2, v7, v2
	v_mul_lo_u32 v8, v2, s45
	v_sub_u32_e32 v8, v7, v8
	v_add_u32_e32 v9, 1, v2
	v_cmp_le_u32_e32 vcc, s45, v8
	v_cndmask_b32_e32 v2, v2, v9, vcc
	v_subrev_u32_e32 v9, s45, v8
	v_cndmask_b32_e32 v8, v8, v9, vcc
	v_add_u32_e32 v9, 1, v2
	v_cmp_le_u32_e32 vcc, s45, v8
	v_cndmask_b32_e32 v2, v2, v9, vcc
	v_mul_lo_u32 v8, v2, s45
	v_sub_u32_e32 v7, v7, v8
	v_mad_u64_u32 v[6:7], s[46:47], s46, v7, v[6:7]
	s_cbranch_scc1 .LBB8_6
.LBB8_7:                                ;   in Loop: Header=BB8_3 Depth=1
	v_mad_u64_u32 v[6:7], s[42:43], s56, v2, v[6:7]
.LBB8_8:                                ;   in Loop: Header=BB8_3 Depth=1
	s_or_b64 exec, exec, s[2:3]
	v_mov_b32_e32 v8, 0
	v_cmp_ne_u32_e64 s[2:3], 1, v1
	s_and_saveexec_b64 s[42:43], s[4:5]
	s_cbranch_execz .LBB8_13
; %bb.9:                                ;   in Loop: Header=BB8_3 Depth=1
	s_and_b64 vcc, exec, s[2:3]
	v_mov_b32_e32 v8, 0
	v_mov_b32_e32 v2, v36
	s_cbranch_vccnz .LBB8_12
; %bb.10:                               ;   in Loop: Header=BB8_3 Depth=1
	v_mov_b32_e32 v8, 0
	s_mov_b64 s[4:5], s[22:23]
	s_mov_b32 s44, s61
	v_mov_b32_e32 v2, v36
.LBB8_11:                               ;   Parent Loop BB8_3 Depth=1
                                        ; =>  This Inner Loop Header: Depth=2
	s_load_dword s45, s[4:5], 0x0
	s_load_dword s46, s[4:5], 0x64
	v_mov_b32_e32 v7, v2
	s_add_i32 s44, s44, -1
	s_waitcnt lgkmcnt(0)
	v_cvt_f32_u32_e32 v2, s45
	s_sub_i32 s47, 0, s45
	s_add_u32 s4, s4, -4
	s_addc_u32 s5, s5, -1
	v_rcp_iflag_f32_e32 v2, v2
	s_cmp_gt_u32 s44, 2
	v_mul_f32_e32 v2, 0x4f7ffffe, v2
	v_cvt_u32_f32_e32 v2, v2
	v_mul_lo_u32 v9, s47, v2
	v_mul_hi_u32 v9, v2, v9
	v_add_u32_e32 v2, v2, v9
	v_mul_hi_u32 v2, v7, v2
	v_mul_lo_u32 v9, v2, s45
	v_sub_u32_e32 v9, v7, v9
	v_add_u32_e32 v10, 1, v2
	v_cmp_le_u32_e32 vcc, s45, v9
	v_cndmask_b32_e32 v2, v2, v10, vcc
	v_subrev_u32_e32 v10, s45, v9
	v_cndmask_b32_e32 v9, v9, v10, vcc
	v_add_u32_e32 v10, 1, v2
	v_cmp_le_u32_e32 vcc, s45, v9
	v_cndmask_b32_e32 v2, v2, v10, vcc
	v_mul_lo_u32 v9, v2, s45
	v_sub_u32_e32 v7, v7, v9
	v_mad_u64_u32 v[8:9], s[46:47], s46, v7, v[8:9]
	s_cbranch_scc1 .LBB8_11
.LBB8_12:                               ;   in Loop: Header=BB8_3 Depth=1
	s_waitcnt lgkmcnt(0)
	v_mad_u64_u32 v[8:9], s[4:5], s57, v2, v[8:9]
.LBB8_13:                               ;   in Loop: Header=BB8_3 Depth=1
	s_or_b64 exec, exec, s[42:43]
	v_or_b32_e32 v7, 1, v36
	v_cmp_lt_i32_e64 s[4:5], 1, v38
	v_mov_b32_e32 v10, 0
	s_and_saveexec_b64 s[42:43], s[4:5]
	s_cbranch_execz .LBB8_18
; %bb.14:                               ;   in Loop: Header=BB8_3 Depth=1
	s_and_b64 vcc, exec, s[0:1]
	v_mov_b32_e32 v10, 0
	v_mov_b32_e32 v2, v7
	s_cbranch_vccnz .LBB8_17
; %bb.15:                               ;   in Loop: Header=BB8_3 Depth=1
	v_mov_b32_e32 v10, 0
	s_mov_b64 s[44:45], s[20:21]
	s_mov_b32 s46, s60
	v_mov_b32_e32 v2, v7
.LBB8_16:                               ;   Parent Loop BB8_3 Depth=1
                                        ; =>  This Inner Loop Header: Depth=2
	s_load_dword s47, s[44:45], 0x0
	s_load_dword s48, s[44:45], 0x64
	v_mov_b32_e32 v9, v2
	s_add_i32 s46, s46, -1
	s_waitcnt lgkmcnt(0)
	v_cvt_f32_u32_e32 v2, s47
	s_sub_i32 s49, 0, s47
	s_add_u32 s44, s44, -4
	s_addc_u32 s45, s45, -1
	v_rcp_iflag_f32_e32 v2, v2
	s_cmp_gt_u32 s46, 2
	v_mul_f32_e32 v2, 0x4f7ffffe, v2
	v_cvt_u32_f32_e32 v2, v2
	v_mul_lo_u32 v11, s49, v2
	v_mul_hi_u32 v11, v2, v11
	v_add_u32_e32 v2, v2, v11
	v_mul_hi_u32 v2, v9, v2
	v_mul_lo_u32 v11, v2, s47
	v_sub_u32_e32 v11, v9, v11
	v_add_u32_e32 v12, 1, v2
	v_cmp_le_u32_e32 vcc, s47, v11
	v_cndmask_b32_e32 v2, v2, v12, vcc
	v_subrev_u32_e32 v12, s47, v11
	v_cndmask_b32_e32 v11, v11, v12, vcc
	v_add_u32_e32 v12, 1, v2
	v_cmp_le_u32_e32 vcc, s47, v11
	v_cndmask_b32_e32 v2, v2, v12, vcc
	v_mul_lo_u32 v11, v2, s47
	v_sub_u32_e32 v9, v9, v11
	v_mad_u64_u32 v[10:11], s[48:49], s48, v9, v[10:11]
	s_cbranch_scc1 .LBB8_16
.LBB8_17:                               ;   in Loop: Header=BB8_3 Depth=1
	v_mad_u64_u32 v[10:11], s[44:45], s56, v2, v[10:11]
.LBB8_18:                               ;   in Loop: Header=BB8_3 Depth=1
	s_or_b64 exec, exec, s[42:43]
	v_mov_b32_e32 v2, 0
	s_and_saveexec_b64 s[42:43], s[4:5]
	s_cbranch_execz .LBB8_23
; %bb.19:                               ;   in Loop: Header=BB8_3 Depth=1
	s_and_b64 vcc, exec, s[2:3]
	v_mov_b32_e32 v12, 0
	s_cbranch_vccnz .LBB8_22
; %bb.20:                               ;   in Loop: Header=BB8_3 Depth=1
	v_mov_b32_e32 v12, 0
	s_mov_b64 s[4:5], s[22:23]
	s_mov_b32 s44, s61
.LBB8_21:                               ;   Parent Loop BB8_3 Depth=1
                                        ; =>  This Inner Loop Header: Depth=2
	s_load_dword s45, s[4:5], 0x0
	s_load_dword s46, s[4:5], 0x64
	v_mov_b32_e32 v2, v7
	s_add_i32 s44, s44, -1
	s_waitcnt lgkmcnt(0)
	v_cvt_f32_u32_e32 v7, s45
	s_sub_i32 s47, 0, s45
	s_add_u32 s4, s4, -4
	s_addc_u32 s5, s5, -1
	v_rcp_iflag_f32_e32 v7, v7
	s_cmp_gt_u32 s44, 2
	v_mul_f32_e32 v7, 0x4f7ffffe, v7
	v_cvt_u32_f32_e32 v7, v7
	v_mul_lo_u32 v9, s47, v7
	v_mul_hi_u32 v9, v7, v9
	v_add_u32_e32 v7, v7, v9
	v_mul_hi_u32 v7, v2, v7
	v_mul_lo_u32 v9, v7, s45
	v_sub_u32_e32 v9, v2, v9
	v_add_u32_e32 v11, 1, v7
	v_cmp_le_u32_e32 vcc, s45, v9
	v_cndmask_b32_e32 v7, v7, v11, vcc
	v_subrev_u32_e32 v11, s45, v9
	v_cndmask_b32_e32 v9, v9, v11, vcc
	v_add_u32_e32 v11, 1, v7
	v_cmp_le_u32_e32 vcc, s45, v9
	v_cndmask_b32_e32 v7, v7, v11, vcc
	v_mul_lo_u32 v9, v7, s45
	v_sub_u32_e32 v2, v2, v9
	v_mad_u64_u32 v[12:13], s[46:47], s46, v2, v[12:13]
	s_cbranch_scc1 .LBB8_21
.LBB8_22:                               ;   in Loop: Header=BB8_3 Depth=1
	s_waitcnt lgkmcnt(0)
	v_mad_u64_u32 v[12:13], s[4:5], s57, v7, v[12:13]
	v_mov_b32_e32 v2, v12
.LBB8_23:                               ;   in Loop: Header=BB8_3 Depth=1
	s_or_b64 exec, exec, s[42:43]
	v_or_b32_e32 v7, 2, v36
	v_cmp_lt_i32_e64 s[4:5], 2, v38
	v_mov_b32_e32 v12, 0
	s_and_saveexec_b64 s[42:43], s[4:5]
	s_cbranch_execz .LBB8_28
; %bb.24:                               ;   in Loop: Header=BB8_3 Depth=1
	s_and_b64 vcc, exec, s[0:1]
	v_mov_b32_e32 v12, 0
	v_mov_b32_e32 v9, v7
	s_cbranch_vccnz .LBB8_27
; %bb.25:                               ;   in Loop: Header=BB8_3 Depth=1
	v_mov_b32_e32 v12, 0
	s_mov_b64 s[44:45], s[20:21]
	s_mov_b32 s46, s60
	v_mov_b32_e32 v9, v7
.LBB8_26:                               ;   Parent Loop BB8_3 Depth=1
                                        ; =>  This Inner Loop Header: Depth=2
	s_load_dword s47, s[44:45], 0x0
	s_load_dword s48, s[44:45], 0x64
	v_mov_b32_e32 v11, v9
	s_add_i32 s46, s46, -1
	s_waitcnt lgkmcnt(0)
	v_cvt_f32_u32_e32 v9, s47
	s_sub_i32 s49, 0, s47
	s_add_u32 s44, s44, -4
	s_addc_u32 s45, s45, -1
	v_rcp_iflag_f32_e32 v9, v9
	s_cmp_gt_u32 s46, 2
	v_mul_f32_e32 v9, 0x4f7ffffe, v9
	v_cvt_u32_f32_e32 v9, v9
	v_mul_lo_u32 v13, s49, v9
	v_mul_hi_u32 v13, v9, v13
	v_add_u32_e32 v9, v9, v13
	v_mul_hi_u32 v9, v11, v9
	v_mul_lo_u32 v13, v9, s47
	v_sub_u32_e32 v13, v11, v13
	v_add_u32_e32 v14, 1, v9
	v_cmp_le_u32_e32 vcc, s47, v13
	v_cndmask_b32_e32 v9, v9, v14, vcc
	v_subrev_u32_e32 v14, s47, v13
	v_cndmask_b32_e32 v13, v13, v14, vcc
	v_add_u32_e32 v14, 1, v9
	v_cmp_le_u32_e32 vcc, s47, v13
	v_cndmask_b32_e32 v9, v9, v14, vcc
	v_mul_lo_u32 v13, v9, s47
	v_sub_u32_e32 v11, v11, v13
	v_mad_u64_u32 v[12:13], s[48:49], s48, v11, v[12:13]
	s_cbranch_scc1 .LBB8_26
.LBB8_27:                               ;   in Loop: Header=BB8_3 Depth=1
	v_mad_u64_u32 v[12:13], s[44:45], s56, v9, v[12:13]
.LBB8_28:                               ;   in Loop: Header=BB8_3 Depth=1
	s_or_b64 exec, exec, s[42:43]
	v_pk_mov_b32 v[14:15], 0, 0
	s_and_saveexec_b64 s[42:43], s[4:5]
	s_cbranch_execz .LBB8_33
; %bb.29:                               ;   in Loop: Header=BB8_3 Depth=1
	s_and_b64 vcc, exec, s[2:3]
	v_mov_b32_e32 v14, 0
	s_cbranch_vccnz .LBB8_32
; %bb.30:                               ;   in Loop: Header=BB8_3 Depth=1
	v_mov_b32_e32 v14, 0
	s_mov_b64 s[4:5], s[22:23]
	s_mov_b32 s44, s61
.LBB8_31:                               ;   Parent Loop BB8_3 Depth=1
                                        ; =>  This Inner Loop Header: Depth=2
	s_load_dword s45, s[4:5], 0x0
	s_load_dword s46, s[4:5], 0x64
	v_mov_b32_e32 v9, v7
	s_add_i32 s44, s44, -1
	s_waitcnt lgkmcnt(0)
	v_cvt_f32_u32_e32 v7, s45
	s_sub_i32 s47, 0, s45
	s_add_u32 s4, s4, -4
	s_addc_u32 s5, s5, -1
	v_rcp_iflag_f32_e32 v7, v7
	s_cmp_gt_u32 s44, 2
	v_mul_f32_e32 v7, 0x4f7ffffe, v7
	v_cvt_u32_f32_e32 v7, v7
	v_mul_lo_u32 v11, s47, v7
	v_mul_hi_u32 v11, v7, v11
	v_add_u32_e32 v7, v7, v11
	v_mul_hi_u32 v7, v9, v7
	v_mul_lo_u32 v11, v7, s45
	v_sub_u32_e32 v11, v9, v11
	v_add_u32_e32 v13, 1, v7
	v_cmp_le_u32_e32 vcc, s45, v11
	v_cndmask_b32_e32 v7, v7, v13, vcc
	v_subrev_u32_e32 v13, s45, v11
	v_cndmask_b32_e32 v11, v11, v13, vcc
	v_add_u32_e32 v13, 1, v7
	v_cmp_le_u32_e32 vcc, s45, v11
	v_cndmask_b32_e32 v7, v7, v13, vcc
	v_mul_lo_u32 v11, v7, s45
	v_sub_u32_e32 v9, v9, v11
	v_mad_u64_u32 v[14:15], s[46:47], s46, v9, v[14:15]
	s_cbranch_scc1 .LBB8_31
.LBB8_32:                               ;   in Loop: Header=BB8_3 Depth=1
	s_waitcnt lgkmcnt(0)
	v_mad_u64_u32 v[14:15], s[4:5], s57, v7, v[14:15]
	v_mov_b32_e32 v15, v3
.LBB8_33:                               ;   in Loop: Header=BB8_3 Depth=1
	s_or_b64 exec, exec, s[42:43]
	v_or_b32_e32 v7, 3, v36
	v_cmp_lt_i32_e64 s[4:5], 3, v38
	v_pk_mov_b32 v[18:19], 0, 0
	s_and_saveexec_b64 s[42:43], s[4:5]
	s_cbranch_execz .LBB8_38
; %bb.34:                               ;   in Loop: Header=BB8_3 Depth=1
	s_and_b64 vcc, exec, s[0:1]
	v_mov_b32_e32 v16, 0
	v_mov_b32_e32 v9, v7
	s_cbranch_vccnz .LBB8_37
; %bb.35:                               ;   in Loop: Header=BB8_3 Depth=1
	v_mov_b32_e32 v16, 0
	s_mov_b64 s[44:45], s[20:21]
	s_mov_b32 s46, s60
	v_mov_b32_e32 v9, v7
.LBB8_36:                               ;   Parent Loop BB8_3 Depth=1
                                        ; =>  This Inner Loop Header: Depth=2
	s_load_dword s47, s[44:45], 0x0
	s_load_dword s48, s[44:45], 0x64
	v_mov_b32_e32 v11, v9
	s_add_i32 s46, s46, -1
	s_waitcnt lgkmcnt(0)
	v_cvt_f32_u32_e32 v9, s47
	s_sub_i32 s49, 0, s47
	s_add_u32 s44, s44, -4
	s_addc_u32 s45, s45, -1
	v_rcp_iflag_f32_e32 v9, v9
	s_cmp_gt_u32 s46, 2
	v_mul_f32_e32 v9, 0x4f7ffffe, v9
	v_cvt_u32_f32_e32 v9, v9
	v_mul_lo_u32 v13, s49, v9
	v_mul_hi_u32 v13, v9, v13
	v_add_u32_e32 v9, v9, v13
	v_mul_hi_u32 v9, v11, v9
	v_mul_lo_u32 v13, v9, s47
	v_sub_u32_e32 v13, v11, v13
	v_add_u32_e32 v17, 1, v9
	v_cmp_le_u32_e32 vcc, s47, v13
	v_cndmask_b32_e32 v9, v9, v17, vcc
	v_subrev_u32_e32 v17, s47, v13
	v_cndmask_b32_e32 v13, v13, v17, vcc
	v_add_u32_e32 v17, 1, v9
	v_cmp_le_u32_e32 vcc, s47, v13
	v_cndmask_b32_e32 v9, v9, v17, vcc
	v_mul_lo_u32 v13, v9, s47
	v_sub_u32_e32 v11, v11, v13
	v_mad_u64_u32 v[16:17], s[48:49], s48, v11, v[16:17]
	s_cbranch_scc1 .LBB8_36
.LBB8_37:                               ;   in Loop: Header=BB8_3 Depth=1
	v_mad_u64_u32 v[18:19], s[44:45], s56, v9, v[16:17]
	v_mov_b32_e32 v19, v3
.LBB8_38:                               ;   in Loop: Header=BB8_3 Depth=1
	s_or_b64 exec, exec, s[42:43]
	v_pk_mov_b32 v[16:17], 0, 0
	s_and_saveexec_b64 s[42:43], s[4:5]
	s_cbranch_execz .LBB8_43
; %bb.39:                               ;   in Loop: Header=BB8_3 Depth=1
	s_and_b64 vcc, exec, s[2:3]
	v_mov_b32_e32 v16, 0
	s_cbranch_vccnz .LBB8_42
; %bb.40:                               ;   in Loop: Header=BB8_3 Depth=1
	v_mov_b32_e32 v16, 0
	s_mov_b64 s[2:3], s[22:23]
	s_mov_b32 s4, s61
.LBB8_41:                               ;   Parent Loop BB8_3 Depth=1
                                        ; =>  This Inner Loop Header: Depth=2
	s_load_dword s5, s[2:3], 0x0
	s_load_dword s44, s[2:3], 0x64
	v_mov_b32_e32 v9, v7
	s_add_i32 s4, s4, -1
	s_waitcnt lgkmcnt(0)
	v_cvt_f32_u32_e32 v7, s5
	s_sub_i32 s45, 0, s5
	s_add_u32 s2, s2, -4
	s_addc_u32 s3, s3, -1
	v_rcp_iflag_f32_e32 v7, v7
	s_cmp_gt_u32 s4, 2
	v_mul_f32_e32 v7, 0x4f7ffffe, v7
	v_cvt_u32_f32_e32 v7, v7
	v_mul_lo_u32 v11, s45, v7
	v_mul_hi_u32 v11, v7, v11
	v_add_u32_e32 v7, v7, v11
	v_mul_hi_u32 v7, v9, v7
	v_mul_lo_u32 v11, v7, s5
	v_sub_u32_e32 v11, v9, v11
	v_add_u32_e32 v13, 1, v7
	v_cmp_le_u32_e32 vcc, s5, v11
	v_cndmask_b32_e32 v7, v7, v13, vcc
	v_subrev_u32_e32 v13, s5, v11
	v_cndmask_b32_e32 v11, v11, v13, vcc
	v_add_u32_e32 v13, 1, v7
	v_cmp_le_u32_e32 vcc, s5, v11
	v_cndmask_b32_e32 v7, v7, v13, vcc
	v_mul_lo_u32 v11, v7, s5
	v_sub_u32_e32 v9, v9, v11
	v_mad_u64_u32 v[16:17], s[44:45], s44, v9, v[16:17]
	s_cbranch_scc1 .LBB8_41
.LBB8_42:                               ;   in Loop: Header=BB8_3 Depth=1
	s_waitcnt lgkmcnt(0)
	v_mad_u64_u32 v[16:17], s[2:3], s57, v7, v[16:17]
	v_mov_b32_e32 v17, v3
.LBB8_43:                               ;   in Loop: Header=BB8_3 Depth=1
	s_or_b64 exec, exec, s[42:43]
	v_lshlrev_b64 v[16:17], 3, v[16:17]
	v_mov_b32_e32 v7, s13
	v_add_co_u32_e32 v16, vcc, s12, v16
	v_addc_co_u32_e32 v17, vcc, v7, v17, vcc
	global_load_dwordx2 v[20:21], v[16:17], off
	s_andn2_b64 vcc, exec, s[16:17]
	v_pk_mov_b32 v[16:17], s[10:11], s[10:11] op_sel:[0,1]
	v_pk_mov_b32 v[22:23], s[8:9], s[8:9] op_sel:[0,1]
	s_cbranch_vccnz .LBB8_45
; %bb.44:                               ;   in Loop: Header=BB8_3 Depth=1
	v_pk_mov_b32 v[16:17], s[10:11], s[10:11] op_sel:[0,1]
	flat_load_dwordx2 v[16:17], v[16:17]
	v_pk_mov_b32 v[22:23], s[8:9], s[8:9] op_sel:[0,1]
	flat_load_dwordx2 v[22:23], v[22:23]
	v_mov_b32_e32 v7, s7
	s_waitcnt vmcnt(0) lgkmcnt(0)
	v_add_co_u32_e32 v16, vcc, s6, v16
	v_addc_co_u32_e32 v17, vcc, v17, v7, vcc
.LBB8_45:                               ;   in Loop: Header=BB8_3 Depth=1
	v_alignbit_b32 v7, v17, v16, 2
	v_and_b32_e32 v9, 3, v16
	v_lshrrev_b32_e32 v11, 2, v17
	v_mad_u64_u32 v[16:17], s[2:3], v7, s62, 0
	v_xor_b32_e32 v13, v17, v23
	v_xor_b32_e32 v17, v4, v22
	v_xor_b32_e32 v17, v17, v11
	v_add_u32_e32 v42, 0xbb67ae85, v23
	v_mad_u64_u32 v[24:25], s[2:3], v17, s62, 0
	v_mad_u64_u32 v[26:27], s[2:3], v13, s58, 0
	v_xor_b32_e32 v17, v42, v25
	v_add_u32_e32 v41, 0x9e3779b9, v22
	v_xor_b32_e32 v13, v0, v27
	v_xor_b32_e32 v25, v17, v16
	v_xor_b32_e32 v13, v13, v41
	v_add_u32_e32 v43, 0x3c6ef372, v22
	v_mad_u64_u32 v[28:29], s[2:3], v25, s58, 0
	v_add_u32_e32 v44, 0x76cf5d0a, v23
	v_mad_u64_u32 v[16:17], s[2:3], v13, s62, 0
	v_xor_b32_e32 v13, v43, v29
	v_xor_b32_e32 v13, v13, v26
	v_xor_b32_e32 v17, v44, v17
	v_xor_b32_e32 v17, v17, v24
	v_add_u32_e32 v46, 0x32370b8f, v23
	v_mad_u64_u32 v[24:25], s[2:3], v13, s62, 0
	v_add_u32_e32 v45, 0xdaa66d2b, v22
	v_mad_u64_u32 v[26:27], s[2:3], v17, s58, 0
	v_xor_b32_e32 v17, v46, v25
	;; [unrolled: 8-line block ×6, first 2 shown]
	v_xor_b32_e32 v13, v53, v31
	v_xor_b32_e32 v16, v17, v16
	;; [unrolled: 1-line block ×3, first 2 shown]
	v_add_co_u32_e32 v39, vcc, s63, v22
	v_mad_u64_u32 v[26:27], s[2:3], v16, s58, 0
	v_mad_u64_u32 v[28:29], s[2:3], v13, s62, 0
	v_xor_b32_e32 v13, v39, v27
	v_xor_b32_e32 v13, v13, v30
	v_mad_u64_u32 v[16:17], s[2:3], v13, s62, 0
	v_add_co_u32_e32 v7, vcc, 1, v7
	v_xor_b32_e32 v13, v17, v28
	v_cndmask_b32_e64 v17, 0, 1, vcc
	v_addc_co_u32_e32 v11, vcc, 0, v11, vcc
	v_cmp_eq_u32_e32 vcc, 0, v11
	v_cndmask_b32_e32 v17, 0, v17, vcc
	v_add_u32_e32 v28, v17, v5
	v_mad_u64_u32 v[32:33], s[2:3], v28, s58, 0
	v_cmp_eq_u32_e32 vcc, 0, v28
	v_mad_u64_u32 v[30:31], s[2:3], v7, s62, 0
	v_xor_b32_e32 v7, v33, v22
	v_cndmask_b32_e32 v17, 0, v17, vcc
	v_xor_b32_e32 v7, v11, v7
	v_xor_b32_e32 v11, v31, v23
	;; [unrolled: 1-line block ×3, first 2 shown]
	v_mad_u64_u32 v[34:35], s[2:3], v11, s58, 0
	v_add_u32_e32 v25, 0xdb3d7428, v23
	v_add_u32_e32 v27, 0x8ff34781, v22
	;; [unrolled: 1-line block ×3, first 2 shown]
	v_mad_u64_u32 v[22:23], s[2:3], v7, s62, 0
	v_xor_b32_e32 v7, v41, v35
	v_xor_b32_e32 v7, v7, v32
	v_xor_b32_e32 v11, v42, v23
	v_xor_b32_e32 v11, v11, v30
	v_mad_u64_u32 v[30:31], s[2:3], v7, s62, 0
	v_mad_u64_u32 v[32:33], s[2:3], v11, s58, 0
	v_xor_b32_e32 v11, v44, v31
	v_xor_b32_e32 v7, v43, v33
	v_xor_b32_e32 v11, v11, v22
	v_xor_b32_e32 v7, v7, v34
	v_mad_u64_u32 v[34:35], s[2:3], v11, s58, 0
	;; [unrolled: 6-line block ×7, first 2 shown]
	v_xor_b32_e32 v7, v25, v33
	v_xor_b32_e32 v7, v7, v22
	v_mad_u64_u32 v[34:35], s[2:3], v11, s58, 0
	v_mad_u64_u32 v[22:23], s[2:3], v7, s58, 0
	v_xor_b32_e32 v7, v23, v34
	v_xor_b32_e32 v13, v40, v13
	;; [unrolled: 1-line block ×3, first 2 shown]
	v_cmp_lt_i32_e32 vcc, 1, v9
                                        ; implicit-def: $vgpr11
	s_and_saveexec_b64 s[2:3], vcc
	s_xor_b64 s[2:3], exec, s[2:3]
	s_cbranch_execz .LBB8_51
; %bb.46:                               ;   in Loop: Header=BB8_3 Depth=1
	v_cmp_lt_i32_e32 vcc, 2, v9
                                        ; implicit-def: $vgpr11
	s_and_saveexec_b64 s[4:5], vcc
	s_xor_b64 s[4:5], exec, s[4:5]
; %bb.47:                               ;   in Loop: Header=BB8_3 Depth=1
	v_xor_b32_e32 v9, v39, v35
	v_xor_b32_e32 v9, v9, v30
	v_mul_hi_u32 v9, v9, s62
	v_xor_b32_e32 v9, v9, v32
	v_xor_b32_e32 v11, v40, v9
                                        ; implicit-def: $vgpr13
; %bb.48:                               ;   in Loop: Header=BB8_3 Depth=1
	s_andn2_saveexec_b64 s[4:5], s[4:5]
; %bb.49:                               ;   in Loop: Header=BB8_3 Depth=1
	v_mov_b32_e32 v11, v22
	v_mov_b32_e32 v22, v7
	;; [unrolled: 1-line block ×4, first 2 shown]
; %bb.50:                               ;   in Loop: Header=BB8_3 Depth=1
	s_or_b64 exec, exec, s[4:5]
                                        ; implicit-def: $vgpr24_vgpr25
                                        ; implicit-def: $vgpr26_vgpr27
                                        ; implicit-def: $vgpr9
                                        ; implicit-def: $vgpr13
                                        ; implicit-def: $vgpr28_vgpr29
                                        ; implicit-def: $vgpr25
                                        ; implicit-def: $vgpr27
.LBB8_51:                               ;   in Loop: Header=BB8_3 Depth=1
	s_andn2_saveexec_b64 s[2:3], s[2:3]
	s_cbranch_execz .LBB8_55
; %bb.52:                               ;   in Loop: Header=BB8_3 Depth=1
	v_xor_b32_e32 v11, v25, v29
	v_xor_b32_e32 v11, v11, v24
	v_mad_u64_u32 v[24:25], s[4:5], v11, s58, 0
	v_xor_b32_e32 v11, v25, v26
	v_xor_b32_e32 v17, v27, v11
	v_cmp_eq_u32_e32 vcc, 1, v9
	v_mov_b32_e32 v11, v16
	v_mov_b32_e32 v22, v13
	;; [unrolled: 1-line block ×3, first 2 shown]
	s_and_saveexec_b64 s[4:5], vcc
; %bb.53:                               ;   in Loop: Header=BB8_3 Depth=1
	v_mov_b32_e32 v11, v7
	v_mov_b32_e32 v22, v16
	;; [unrolled: 1-line block ×4, first 2 shown]
; %bb.54:                               ;   in Loop: Header=BB8_3 Depth=1
	s_or_b64 exec, exec, s[4:5]
	v_mov_b32_e32 v16, v17
	v_mov_b32_e32 v7, v9
.LBB8_55:                               ;   in Loop: Header=BB8_3 Depth=1
	s_or_b64 exec, exec, s[2:3]
	v_min_i32_e32 v9, 4, v38
	v_cmp_lt_i32_e32 vcc, 2, v9
	s_mov_b64 s[4:5], 0
	s_mov_b64 s[54:55], 0
	;; [unrolled: 1-line block ×3, first 2 shown]
                                        ; implicit-def: $sgpr44_sgpr45
                                        ; implicit-def: $sgpr46_sgpr47
                                        ; implicit-def: $sgpr48_sgpr49
	s_and_saveexec_b64 s[2:3], vcc
	s_xor_b64 s[50:51], exec, s[2:3]
	s_cbranch_execz .LBB8_67
; %bb.56:                               ;   in Loop: Header=BB8_3 Depth=1
	v_cmp_lt_i32_e32 vcc, 3, v9
	s_mov_b64 s[2:3], -1
	s_mov_b64 s[52:53], 0
                                        ; implicit-def: $sgpr42_sgpr43
                                        ; implicit-def: $sgpr44_sgpr45
	s_and_saveexec_b64 s[46:47], vcc
	s_cbranch_execz .LBB8_62
; %bb.57:                               ;   in Loop: Header=BB8_3 Depth=1
	v_cmp_eq_u32_e32 vcc, 4, v9
	s_mov_b64 s[2:3], 0
	s_mov_b64 s[54:55], -1
                                        ; implicit-def: $sgpr42_sgpr43
                                        ; implicit-def: $sgpr44_sgpr45
	s_and_saveexec_b64 s[48:49], vcc
	s_cbranch_execz .LBB8_61
; %bb.58:                               ;   in Loop: Header=BB8_3 Depth=1
	s_waitcnt vmcnt(0)
	v_cmp_le_f64_e32 vcc, 0, v[20:21]
	v_cmp_ge_f64_e64 s[2:3], 1.0, v[20:21]
	s_and_b64 s[54:55], vcc, s[2:3]
	s_mov_b64 s[42:43], 0
	s_mov_b64 s[2:3], 0
	s_and_saveexec_b64 s[44:45], s[54:55]
	s_cbranch_execz .LBB8_60
; %bb.59:                               ;   in Loop: Header=BB8_3 Depth=1
	v_cvt_f32_u32_e32 v11, v11
	v_mov_b32_e32 v13, 0x2f800000
	v_lshlrev_b64 v[18:19], 3, v[18:19]
	s_waitcnt lgkmcnt(0)
	v_add_co_u32_e32 v18, vcc, s14, v18
	v_fmac_f32_e32 v13, 0x2f800000, v11
	v_mov_b32_e32 v11, s15
	v_addc_co_u32_e32 v19, vcc, v11, v19, vcc
	v_cvt_f64_f32_e32 v[24:25], v13
	v_cmp_ge_f64_e32 vcc, v[20:21], v[24:25]
	s_mov_b64 s[2:3], exec
	v_cndmask_b32_e32 v21, 0, v37, vcc
	v_mov_b32_e32 v20, v3
	global_store_dwordx2 v[18:19], v[20:21], off
.LBB8_60:                               ;   in Loop: Header=BB8_3 Depth=1
	s_or_b64 exec, exec, s[44:45]
	s_mov_b64 s[44:45], -1
	s_xor_b64 s[54:55], exec, -1
	s_and_b64 s[2:3], s[2:3], exec
.LBB8_61:                               ;   in Loop: Header=BB8_3 Depth=1
	s_or_b64 exec, exec, s[48:49]
	s_and_b64 s[54:55], s[54:55], exec
	s_orn2_b64 s[2:3], s[2:3], exec
.LBB8_62:                               ;   in Loop: Header=BB8_3 Depth=1
	s_or_b64 exec, exec, s[46:47]
	s_mov_b64 s[48:49], s[42:43]
	s_and_saveexec_b64 s[46:47], s[2:3]
	s_cbranch_execz .LBB8_66
; %bb.63:                               ;   in Loop: Header=BB8_3 Depth=1
	v_lshlrev_b64 v[14:15], 3, v[14:15]
	v_mov_b32_e32 v11, s13
	v_add_co_u32_e32 v14, vcc, s12, v14
	v_addc_co_u32_e32 v15, vcc, v11, v15, vcc
	global_load_dwordx2 v[14:15], v[14:15], off
	s_waitcnt vmcnt(0)
	v_cmp_le_f64_e32 vcc, 0, v[14:15]
	v_cmp_ge_f64_e64 s[2:3], 1.0, v[14:15]
	s_and_b64 s[48:49], vcc, s[2:3]
	s_mov_b64 s[2:3], 0
	s_and_saveexec_b64 s[52:53], s[48:49]
	s_xor_b64 s[48:49], exec, s[52:53]
	s_cbranch_execz .LBB8_65
; %bb.64:                               ;   in Loop: Header=BB8_3 Depth=1
	v_cvt_f32_u32_e32 v11, v22
	v_mov_b32_e32 v13, v3
	v_mov_b32_e32 v17, 0x2f800000
	v_lshlrev_b64 v[12:13], 3, v[12:13]
	v_fmac_f32_e32 v17, 0x2f800000, v11
	s_waitcnt lgkmcnt(0)
	v_mov_b32_e32 v11, s15
	v_add_co_u32_e32 v12, vcc, s14, v12
	v_addc_co_u32_e32 v13, vcc, v11, v13, vcc
	v_cvt_f64_f32_e32 v[18:19], v17
	v_cmp_ge_f64_e32 vcc, v[14:15], v[18:19]
	v_cndmask_b32_e32 v15, 0, v37, vcc
	v_mov_b32_e32 v14, v3
	s_mov_b64 s[2:3], exec
	global_store_dwordx2 v[12:13], v[14:15], off
.LBB8_65:                               ;   in Loop: Header=BB8_3 Depth=1
	s_or_b64 exec, exec, s[48:49]
	s_andn2_b64 s[48:49], s[42:43], exec
	s_or_b64 s[42:43], s[42:43], exec
	s_andn2_b64 s[44:45], s[44:45], exec
	s_and_b64 s[52:53], s[2:3], exec
.LBB8_66:                               ;   in Loop: Header=BB8_3 Depth=1
	s_or_b64 exec, exec, s[46:47]
	s_and_b64 s[48:49], s[48:49], exec
	s_and_b64 s[46:47], s[42:43], exec
	;; [unrolled: 1-line block ×5, first 2 shown]
.LBB8_67:                               ;   in Loop: Header=BB8_3 Depth=1
	s_andn2_saveexec_b64 s[2:3], s[50:51]
; %bb.68:                               ;   in Loop: Header=BB8_3 Depth=1
	v_cmp_lt_i32_e32 vcc, 1, v9
	s_andn2_b64 s[50:51], s[54:55], exec
	s_and_b64 s[52:53], vcc, exec
	s_mov_b64 s[4:5], exec
	s_andn2_b64 s[48:49], s[48:49], exec
	s_andn2_b64 s[46:47], s[46:47], exec
	;; [unrolled: 1-line block ×3, first 2 shown]
	s_or_b64 s[54:55], s[50:51], s[52:53]
; %bb.69:                               ;   in Loop: Header=BB8_3 Depth=1
	s_or_b64 exec, exec, s[2:3]
	s_mov_b64 s[2:3], 0
	s_mov_b64 s[50:51], s[48:49]
	s_and_saveexec_b64 s[52:53], s[54:55]
	s_cbranch_execnz .LBB8_72
; %bb.70:                               ;   in Loop: Header=BB8_3 Depth=1
	s_or_b64 exec, exec, s[52:53]
	s_and_saveexec_b64 s[52:53], s[4:5]
	s_cbranch_execnz .LBB8_75
.LBB8_71:                               ;   in Loop: Header=BB8_3 Depth=1
	s_or_b64 exec, exec, s[52:53]
	s_and_saveexec_b64 s[4:5], s[2:3]
	s_cbranch_execnz .LBB8_76
	s_branch .LBB8_79
.LBB8_72:                               ;   in Loop: Header=BB8_3 Depth=1
	v_lshlrev_b64 v[12:13], 3, v[2:3]
	v_mov_b32_e32 v2, s13
	v_add_co_u32_e32 v12, vcc, s12, v12
	v_addc_co_u32_e32 v13, vcc, v2, v13, vcc
	global_load_dwordx2 v[12:13], v[12:13], off
	s_waitcnt vmcnt(0)
	v_cmp_le_f64_e32 vcc, 0, v[12:13]
	v_cmp_ge_f64_e64 s[2:3], 1.0, v[12:13]
	s_and_b64 s[50:51], vcc, s[2:3]
	s_mov_b64 s[2:3], 0
	s_and_saveexec_b64 s[54:55], s[50:51]
	s_xor_b64 s[50:51], exec, s[54:55]
	s_cbranch_execz .LBB8_74
; %bb.73:                               ;   in Loop: Header=BB8_3 Depth=1
	v_cvt_f32_u32_e32 v2, v7
	v_mov_b32_e32 v11, v3
	v_mov_b32_e32 v7, 0x2f800000
	v_lshlrev_b64 v[10:11], 3, v[10:11]
	v_fmac_f32_e32 v7, 0x2f800000, v2
	s_waitcnt lgkmcnt(0)
	v_mov_b32_e32 v2, s15
	v_add_co_u32_e32 v10, vcc, s14, v10
	v_addc_co_u32_e32 v11, vcc, v2, v11, vcc
	v_cvt_f64_f32_e32 v[14:15], v7
	v_cmp_ge_f64_e32 vcc, v[12:13], v[14:15]
	v_cndmask_b32_e32 v13, 0, v37, vcc
	v_mov_b32_e32 v12, v3
	s_mov_b64 s[2:3], exec
	global_store_dwordx2 v[10:11], v[12:13], off
.LBB8_74:                               ;   in Loop: Header=BB8_3 Depth=1
	s_or_b64 exec, exec, s[50:51]
	s_andn2_b64 s[50:51], s[48:49], exec
	s_or_b64 s[48:49], s[48:49], exec
	s_andn2_b64 s[46:47], s[46:47], exec
	s_andn2_b64 s[44:45], s[44:45], exec
	s_and_b64 s[2:3], s[2:3], exec
	s_andn2_b64 s[4:5], s[4:5], exec
	s_or_b64 exec, exec, s[52:53]
	s_and_saveexec_b64 s[52:53], s[4:5]
	s_cbranch_execz .LBB8_71
.LBB8_75:                               ;   in Loop: Header=BB8_3 Depth=1
	v_cmp_eq_u32_e32 vcc, 1, v9
	s_andn2_b64 s[2:3], s[2:3], exec
	s_and_b64 s[4:5], vcc, exec
	s_andn2_b64 s[50:51], s[50:51], exec
	s_andn2_b64 s[48:49], s[48:49], exec
	;; [unrolled: 1-line block ×4, first 2 shown]
	s_or_b64 s[42:43], s[42:43], exec
	s_or_b64 s[2:3], s[2:3], s[4:5]
	s_or_b64 exec, exec, s[52:53]
	s_and_saveexec_b64 s[4:5], s[2:3]
	s_cbranch_execz .LBB8_79
.LBB8_76:                               ;   in Loop: Header=BB8_3 Depth=1
	v_mov_b32_e32 v9, v3
	v_lshlrev_b64 v[8:9], 3, v[8:9]
	v_mov_b32_e32 v2, s13
	v_add_co_u32_e32 v8, vcc, s12, v8
	v_addc_co_u32_e32 v9, vcc, v2, v9, vcc
	global_load_dwordx2 v[8:9], v[8:9], off
	s_waitcnt vmcnt(0)
	v_cmp_le_f64_e32 vcc, 0, v[8:9]
	v_cmp_ge_f64_e64 s[2:3], 1.0, v[8:9]
	s_and_b64 s[54:55], vcc, s[2:3]
	s_mov_b64 s[2:3], 0
	s_and_saveexec_b64 s[52:53], s[54:55]
	s_cbranch_execz .LBB8_78
; %bb.77:                               ;   in Loop: Header=BB8_3 Depth=1
	v_cvt_f32_u32_e32 v2, v16
	v_mov_b32_e32 v7, v3
	v_mov_b32_e32 v10, 0x2f800000
	v_lshlrev_b64 v[6:7], 3, v[6:7]
	v_fmac_f32_e32 v10, 0x2f800000, v2
	s_waitcnt lgkmcnt(0)
	v_mov_b32_e32 v2, s15
	v_add_co_u32_e32 v6, vcc, s14, v6
	v_addc_co_u32_e32 v7, vcc, v2, v7, vcc
	v_cvt_f64_f32_e32 v[10:11], v10
	v_cmp_ge_f64_e32 vcc, v[8:9], v[10:11]
	s_mov_b64 s[2:3], exec
	v_cndmask_b32_e32 v9, 0, v37, vcc
	v_mov_b32_e32 v8, v3
	global_store_dwordx2 v[6:7], v[8:9], off
.LBB8_78:                               ;   in Loop: Header=BB8_3 Depth=1
	s_or_b64 exec, exec, s[52:53]
	s_andn2_b64 s[42:43], s[42:43], exec
	s_and_b64 s[2:3], s[2:3], exec
	s_or_b64 s[50:51], s[50:51], exec
	s_andn2_b64 s[48:49], s[48:49], exec
	s_andn2_b64 s[46:47], s[46:47], exec
	;; [unrolled: 1-line block ×3, first 2 shown]
	s_or_b64 s[42:43], s[42:43], s[2:3]
.LBB8_79:                               ;   in Loop: Header=BB8_3 Depth=1
	s_or_b64 exec, exec, s[4:5]
	s_andn2_b64 s[4:5], s[40:41], exec
	s_and_b64 s[40:41], s[50:51], exec
	s_or_b64 s[40:41], s[4:5], s[40:41]
	s_andn2_b64 s[4:5], s[38:39], exec
	s_and_b64 s[38:39], s[48:49], exec
	s_or_b64 s[38:39], s[4:5], s[38:39]
	s_andn2_b64 s[4:5], s[36:37], exec
	s_and_b64 s[36:37], s[46:47], exec
	s_or_b64 s[36:37], s[4:5], s[36:37]
	s_andn2_b64 s[4:5], s[34:35], exec
	s_and_b64 s[34:35], s[44:45], exec
	s_mov_b64 s[2:3], -1
	s_or_b64 s[34:35], s[4:5], s[34:35]
	s_and_saveexec_b64 s[4:5], s[42:43]
	s_cbranch_execz .LBB8_2
; %bb.80:                               ;   in Loop: Header=BB8_3 Depth=1
	v_add_u32_e32 v36, s59, v36
	v_cmp_le_u32_e32 vcc, s33, v36
	s_andn2_b64 s[40:41], s[40:41], exec
	s_andn2_b64 s[38:39], s[38:39], exec
	;; [unrolled: 1-line block ×4, first 2 shown]
	s_orn2_b64 s[2:3], vcc, exec
	s_branch .LBB8_2
.LBB8_81:
	s_or_b64 exec, exec, s[24:25]
	s_xor_b64 s[6:7], s[30:31], -1
	s_xor_b64 s[8:9], s[28:29], -1
	;; [unrolled: 1-line block ×3, first 2 shown]
	s_mov_b64 s[2:3], 0
	s_and_saveexec_b64 s[4:5], s[0:1]
	s_xor_b64 s[0:1], exec, s[4:5]
	s_cbranch_execnz .LBB8_86
; %bb.82:
	s_andn2_saveexec_b64 s[0:1], s[0:1]
	s_cbranch_execnz .LBB8_94
.LBB8_83:
	s_or_b64 exec, exec, s[0:1]
	s_and_b64 exec, exec, s[2:3]
.LBB8_84:
	; divergent unreachable
.LBB8_85:
	s_endpgm
.LBB8_86:
	s_mov_b64 s[4:5], 0
	s_and_saveexec_b64 s[2:3], s[8:9]
	s_xor_b64 s[2:3], exec, s[2:3]
	s_cbranch_execz .LBB8_92
; %bb.87:
	s_and_saveexec_b64 s[8:9], s[6:7]
	s_xor_b64 s[6:7], exec, s[8:9]
	s_cbranch_execz .LBB8_90
; %bb.88:
	s_and_saveexec_b64 s[8:9], s[18:19]
	s_xor_b64 s[8:9], exec, s[8:9]
	s_cbranch_execnz .LBB8_97
.LBB8_89:
	s_or_b64 exec, exec, s[8:9]
	s_and_b64 s[4:5], s[4:5], exec
.LBB8_90:
	s_andn2_saveexec_b64 s[6:7], s[6:7]
	s_cbranch_execnz .LBB8_96
.LBB8_91:
	s_or_b64 exec, exec, s[6:7]
	s_and_b64 s[4:5], s[4:5], exec
.LBB8_92:
	s_andn2_saveexec_b64 s[2:3], s[2:3]
	s_cbranch_execnz .LBB8_95
.LBB8_93:
	s_or_b64 exec, exec, s[2:3]
	s_and_b64 s[2:3], s[4:5], exec
	s_andn2_saveexec_b64 s[0:1], s[0:1]
	s_cbranch_execz .LBB8_83
.LBB8_94:
	s_or_b64 s[2:3], s[2:3], exec
	s_trap 2
	s_or_b64 exec, exec, s[0:1]
	s_and_b64 exec, exec, s[2:3]
	s_cbranch_execnz .LBB8_84
	s_branch .LBB8_85
.LBB8_95:
	s_or_b64 s[4:5], s[4:5], exec
	s_trap 2
	s_branch .LBB8_93
.LBB8_96:
	s_trap 2
	s_or_b64 s[4:5], s[4:5], exec
	s_branch .LBB8_91
.LBB8_97:
	s_mov_b64 s[4:5], exec
	s_trap 2
	s_branch .LBB8_89
	.section	.rodata,"a",@progbits
	.p2align	6, 0x0
	.amdhsa_kernel _ZN2at4cuda12_GLOBAL__N_121kernelPointwiseApply2IZNS_6native9templates4cuda28bernoulli_tensor_cuda_kernelIddEEvRKNS_10TensorBaseES9_NS_15PhiloxCudaStateEEUliRdSB_SB_SB_RKdSD_SD_SD_E_dSC_jLin1ELin1ELi4ELi512ELi2EEEvNS0_6detail10TensorInfoIT0_T2_EENSG_IT1_SI_EESI_T_
		.amdhsa_group_segment_fixed_size 0
		.amdhsa_private_segment_fixed_size 0
		.amdhsa_kernarg_size 728
		.amdhsa_user_sgpr_count 6
		.amdhsa_user_sgpr_private_segment_buffer 1
		.amdhsa_user_sgpr_dispatch_ptr 0
		.amdhsa_user_sgpr_queue_ptr 0
		.amdhsa_user_sgpr_kernarg_segment_ptr 1
		.amdhsa_user_sgpr_dispatch_id 0
		.amdhsa_user_sgpr_flat_scratch_init 0
		.amdhsa_user_sgpr_kernarg_preload_length 0
		.amdhsa_user_sgpr_kernarg_preload_offset 0
		.amdhsa_user_sgpr_private_segment_size 0
		.amdhsa_uses_dynamic_stack 0
		.amdhsa_system_sgpr_private_segment_wavefront_offset 0
		.amdhsa_system_sgpr_workgroup_id_x 1
		.amdhsa_system_sgpr_workgroup_id_y 0
		.amdhsa_system_sgpr_workgroup_id_z 0
		.amdhsa_system_sgpr_workgroup_info 0
		.amdhsa_system_vgpr_workitem_id 0
		.amdhsa_next_free_vgpr 55
		.amdhsa_next_free_sgpr 64
		.amdhsa_accum_offset 56
		.amdhsa_reserve_vcc 1
		.amdhsa_reserve_flat_scratch 0
		.amdhsa_float_round_mode_32 0
		.amdhsa_float_round_mode_16_64 0
		.amdhsa_float_denorm_mode_32 3
		.amdhsa_float_denorm_mode_16_64 3
		.amdhsa_dx10_clamp 1
		.amdhsa_ieee_mode 1
		.amdhsa_fp16_overflow 0
		.amdhsa_tg_split 0
		.amdhsa_exception_fp_ieee_invalid_op 0
		.amdhsa_exception_fp_denorm_src 0
		.amdhsa_exception_fp_ieee_div_zero 0
		.amdhsa_exception_fp_ieee_overflow 0
		.amdhsa_exception_fp_ieee_underflow 0
		.amdhsa_exception_fp_ieee_inexact 0
		.amdhsa_exception_int_div_zero 0
	.end_amdhsa_kernel
	.section	.text._ZN2at4cuda12_GLOBAL__N_121kernelPointwiseApply2IZNS_6native9templates4cuda28bernoulli_tensor_cuda_kernelIddEEvRKNS_10TensorBaseES9_NS_15PhiloxCudaStateEEUliRdSB_SB_SB_RKdSD_SD_SD_E_dSC_jLin1ELin1ELi4ELi512ELi2EEEvNS0_6detail10TensorInfoIT0_T2_EENSG_IT1_SI_EESI_T_,"axG",@progbits,_ZN2at4cuda12_GLOBAL__N_121kernelPointwiseApply2IZNS_6native9templates4cuda28bernoulli_tensor_cuda_kernelIddEEvRKNS_10TensorBaseES9_NS_15PhiloxCudaStateEEUliRdSB_SB_SB_RKdSD_SD_SD_E_dSC_jLin1ELin1ELi4ELi512ELi2EEEvNS0_6detail10TensorInfoIT0_T2_EENSG_IT1_SI_EESI_T_,comdat
.Lfunc_end8:
	.size	_ZN2at4cuda12_GLOBAL__N_121kernelPointwiseApply2IZNS_6native9templates4cuda28bernoulli_tensor_cuda_kernelIddEEvRKNS_10TensorBaseES9_NS_15PhiloxCudaStateEEUliRdSB_SB_SB_RKdSD_SD_SD_E_dSC_jLin1ELin1ELi4ELi512ELi2EEEvNS0_6detail10TensorInfoIT0_T2_EENSG_IT1_SI_EESI_T_, .Lfunc_end8-_ZN2at4cuda12_GLOBAL__N_121kernelPointwiseApply2IZNS_6native9templates4cuda28bernoulli_tensor_cuda_kernelIddEEvRKNS_10TensorBaseES9_NS_15PhiloxCudaStateEEUliRdSB_SB_SB_RKdSD_SD_SD_E_dSC_jLin1ELin1ELi4ELi512ELi2EEEvNS0_6detail10TensorInfoIT0_T2_EENSG_IT1_SI_EESI_T_
                                        ; -- End function
	.section	.AMDGPU.csdata,"",@progbits
; Kernel info:
; codeLenInByte = 4428
; NumSgprs: 68
; NumVgprs: 55
; NumAgprs: 0
; TotalNumVgprs: 55
; ScratchSize: 0
; MemoryBound: 0
; FloatMode: 240
; IeeeMode: 1
; LDSByteSize: 0 bytes/workgroup (compile time only)
; SGPRBlocks: 8
; VGPRBlocks: 6
; NumSGPRsForWavesPerEU: 68
; NumVGPRsForWavesPerEU: 55
; AccumOffset: 56
; Occupancy: 8
; WaveLimiterHint : 1
; COMPUTE_PGM_RSRC2:SCRATCH_EN: 0
; COMPUTE_PGM_RSRC2:USER_SGPR: 6
; COMPUTE_PGM_RSRC2:TRAP_HANDLER: 0
; COMPUTE_PGM_RSRC2:TGID_X_EN: 1
; COMPUTE_PGM_RSRC2:TGID_Y_EN: 0
; COMPUTE_PGM_RSRC2:TGID_Z_EN: 0
; COMPUTE_PGM_RSRC2:TIDIG_COMP_CNT: 0
; COMPUTE_PGM_RSRC3_GFX90A:ACCUM_OFFSET: 13
; COMPUTE_PGM_RSRC3_GFX90A:TG_SPLIT: 0
	.section	.text._ZN2at4cuda12_GLOBAL__N_121kernelPointwiseApply2IZNS_6native9templates4cuda28bernoulli_tensor_cuda_kernelIddEEvRKNS_10TensorBaseES9_NS_15PhiloxCudaStateEEUliRdSB_SB_SB_RKdSD_SD_SD_E_dSC_mLi1ELi1ELi4ELi512ELi2EEEvNS0_6detail10TensorInfoIT0_T2_EENSG_IT1_SI_EESI_T_,"axG",@progbits,_ZN2at4cuda12_GLOBAL__N_121kernelPointwiseApply2IZNS_6native9templates4cuda28bernoulli_tensor_cuda_kernelIddEEvRKNS_10TensorBaseES9_NS_15PhiloxCudaStateEEUliRdSB_SB_SB_RKdSD_SD_SD_E_dSC_mLi1ELi1ELi4ELi512ELi2EEEvNS0_6detail10TensorInfoIT0_T2_EENSG_IT1_SI_EESI_T_,comdat
	.globl	_ZN2at4cuda12_GLOBAL__N_121kernelPointwiseApply2IZNS_6native9templates4cuda28bernoulli_tensor_cuda_kernelIddEEvRKNS_10TensorBaseES9_NS_15PhiloxCudaStateEEUliRdSB_SB_SB_RKdSD_SD_SD_E_dSC_mLi1ELi1ELi4ELi512ELi2EEEvNS0_6detail10TensorInfoIT0_T2_EENSG_IT1_SI_EESI_T_ ; -- Begin function _ZN2at4cuda12_GLOBAL__N_121kernelPointwiseApply2IZNS_6native9templates4cuda28bernoulli_tensor_cuda_kernelIddEEvRKNS_10TensorBaseES9_NS_15PhiloxCudaStateEEUliRdSB_SB_SB_RKdSD_SD_SD_E_dSC_mLi1ELi1ELi4ELi512ELi2EEEvNS0_6detail10TensorInfoIT0_T2_EENSG_IT1_SI_EESI_T_
	.p2align	8
	.type	_ZN2at4cuda12_GLOBAL__N_121kernelPointwiseApply2IZNS_6native9templates4cuda28bernoulli_tensor_cuda_kernelIddEEvRKNS_10TensorBaseES9_NS_15PhiloxCudaStateEEUliRdSB_SB_SB_RKdSD_SD_SD_E_dSC_mLi1ELi1ELi4ELi512ELi2EEEvNS0_6detail10TensorInfoIT0_T2_EENSG_IT1_SI_EESI_T_,@function
_ZN2at4cuda12_GLOBAL__N_121kernelPointwiseApply2IZNS_6native9templates4cuda28bernoulli_tensor_cuda_kernelIddEEvRKNS_10TensorBaseES9_NS_15PhiloxCudaStateEEUliRdSB_SB_SB_RKdSD_SD_SD_E_dSC_mLi1ELi1ELi4ELi512ELi2EEEvNS0_6detail10TensorInfoIT0_T2_EENSG_IT1_SI_EESI_T_: ; @_ZN2at4cuda12_GLOBAL__N_121kernelPointwiseApply2IZNS_6native9templates4cuda28bernoulli_tensor_cuda_kernelIddEEvRKNS_10TensorBaseES9_NS_15PhiloxCudaStateEEUliRdSB_SB_SB_RKdSD_SD_SD_E_dSC_mLi1ELi1ELi4ELi512ELi2EEEvNS0_6detail10TensorInfoIT0_T2_EENSG_IT1_SI_EESI_T_
; %bb.0:
	s_load_dword s2, s[4:5], 0x374
	s_load_dwordx8 s[8:15], s[4:5], 0x340
	s_add_u32 s0, s4, 0x368
	s_addc_u32 s1, s5, 0
	v_mov_b32_e32 v2, 0
	s_waitcnt lgkmcnt(0)
	s_and_b32 s2, s2, 0xffff
	s_mul_i32 s6, s6, s2
	v_add_u32_e32 v7, s6, v0
	v_lshlrev_b32_e32 v0, 2, v7
	v_mov_b32_e32 v1, v2
	v_cmp_gt_u64_e32 vcc, s[8:9], v[0:1]
	s_and_saveexec_b64 s[6:7], vcc
	s_cbranch_execz .LBB9_43
; %bb.1:
	s_load_dword s3, s[0:1], 0x0
	s_load_dword s22, s[4:5], 0x360
	s_load_dwordx2 s[6:7], s[4:5], 0x0
	s_load_dwordx2 s[18:19], s[4:5], 0xd0
	;; [unrolled: 1-line block ×4, first 2 shown]
	s_waitcnt lgkmcnt(0)
	s_mul_i32 s3, s3, s2
	s_bitcmp1_b32 s22, 0
	s_mov_b32 s33, 0xcd9e8d57
	v_pk_mov_b32 v[8:9], s[18:19], s[18:19] op_sel:[0,1]
	s_cselect_b64 s[4:5], -1, 0
	v_mad_u64_u32 v[4:5], s[0:1], v7, s33, 0
	s_lshl_b32 s56, s3, 2
	v_mad_u64_u32 v[8:9], s[0:1], s18, v0, v[8:9]
	s_mul_i32 s0, s19, s56
	s_mul_hi_u32 s1, s18, s56
	v_add_co_u32_e32 v18, vcc, 2, v0
	s_add_i32 s58, s1, s0
	v_addc_co_u32_e64 v19, s[0:1], 0, 0, vcc
	v_add_co_u32_e32 v20, vcc, 3, v0
	v_mul_lo_u32 v12, s19, v18
	v_mul_lo_u32 v13, s18, v19
	v_mad_u64_u32 v[10:11], s[0:1], s18, v18, 0
	v_addc_co_u32_e64 v21, s[0:1], 0, 0, vcc
	v_add3_u32 v11, v11, v13, v12
	v_mul_lo_u32 v14, s19, v20
	v_mul_lo_u32 v15, s18, v21
	v_mad_u64_u32 v[12:13], s[0:1], s18, v20, 0
	v_pk_mov_b32 v[16:17], s[20:21], s[20:21] op_sel:[0,1]
	v_add3_u32 v13, v13, v15, v14
	v_mad_u64_u32 v[14:15], s[0:1], s18, v0, 0
	v_mad_u64_u32 v[16:17], s[0:1], s20, v0, v[16:17]
	s_mul_i32 s0, s21, s56
	s_mul_hi_u32 s1, s20, s56
	s_add_i32 s60, s1, s0
	v_mul_lo_u32 v22, s21, v18
	v_mul_lo_u32 v23, s20, v19
	v_mad_u64_u32 v[18:19], s[0:1], s20, v18, 0
	v_mul_lo_u32 v3, s19, v0
	v_add3_u32 v19, v19, v23, v22
	v_mul_lo_u32 v22, s21, v20
	v_mul_lo_u32 v23, s20, v21
	v_mad_u64_u32 v[20:21], s[0:1], s20, v20, 0
	v_add_u32_e32 v9, v3, v9
	v_add_u32_e32 v15, v15, v3
	v_mul_lo_u32 v3, s21, v0
	v_add3_u32 v21, v21, v23, v22
	v_mad_u64_u32 v[22:23], s[0:1], s20, v0, 0
	v_mov_b32_e32 v6, v5
	s_mov_b32 s57, 0
	v_sub_u32_e32 v5, s8, v0
	s_mul_i32 s59, s18, s56
	v_add_u32_e32 v17, v3, v17
	s_mul_i32 s61, s20, s56
	v_add_u32_e32 v23, v23, v3
	s_mov_b64 s[20:21], 0
	s_mov_b32 s62, 0xd2511f53
	v_mov_b32_e32 v42, s17
	s_mov_b32 s63, 0xf1bbcdc8
	v_mov_b32_e32 v43, 0x3ff00000
	s_mov_b64 s[36:37], 0
	s_mov_b64 s[40:41], 0
                                        ; implicit-def: $sgpr22_sgpr23
                                        ; implicit-def: $sgpr24_sgpr25
                                        ; implicit-def: $sgpr26_sgpr27
                                        ; implicit-def: $sgpr18_sgpr19
                                        ; implicit-def: $sgpr28_sgpr29
                                        ; implicit-def: $sgpr30_sgpr31
                                        ; implicit-def: $sgpr34_sgpr35
                                        ; implicit-def: $sgpr38_sgpr39
	s_branch .LBB9_3
.LBB9_2:                                ;   in Loop: Header=BB9_3 Depth=1
	s_or_b64 exec, exec, s[2:3]
	s_and_b64 s[0:1], exec, s[0:1]
	s_or_b64 s[20:21], s[0:1], s[20:21]
	s_andn2_b64 s[0:1], s[18:19], exec
	s_and_b64 s[2:3], s[38:39], exec
	s_or_b64 s[18:19], s[0:1], s[2:3]
	s_andn2_b64 s[0:1], s[26:27], exec
	s_and_b64 s[2:3], s[34:35], exec
	;; [unrolled: 3-line block ×4, first 2 shown]
	s_or_b64 s[22:23], s[0:1], s[2:3]
	s_andn2_b64 exec, exec, s[20:21]
	s_cbranch_execz .LBB9_39
.LBB9_3:                                ; =>This Inner Loop Header: Depth=1
	v_mov_b32_e32 v3, s37
	v_add_co_u32_e32 v24, vcc, s36, v20
	v_addc_co_u32_e32 v3, vcc, v21, v3, vcc
	v_cmp_lt_i32_e64 s[0:1], 3, v5
	v_cndmask_b32_e64 v25, 0, v3, s[0:1]
	v_cndmask_b32_e64 v24, 0, v24, s[0:1]
	v_lshlrev_b64 v[24:25], 3, v[24:25]
	v_add_co_u32_e32 v24, vcc, s16, v24
	v_addc_co_u32_e32 v25, vcc, v42, v25, vcc
	global_load_dwordx2 v[26:27], v[24:25], off
	s_andn2_b64 vcc, exec, s[4:5]
	v_pk_mov_b32 v[24:25], s[12:13], s[12:13] op_sel:[0,1]
	v_pk_mov_b32 v[28:29], s[10:11], s[10:11] op_sel:[0,1]
	s_cbranch_vccnz .LBB9_5
; %bb.4:                                ;   in Loop: Header=BB9_3 Depth=1
	v_pk_mov_b32 v[24:25], s[12:13], s[12:13] op_sel:[0,1]
	flat_load_dwordx2 v[24:25], v[24:25]
	v_pk_mov_b32 v[28:29], s[10:11], s[10:11] op_sel:[0,1]
	flat_load_dwordx2 v[28:29], v[28:29]
	v_mov_b32_e32 v3, s15
	s_waitcnt vmcnt(0) lgkmcnt(0)
	v_add_co_u32_e32 v24, vcc, s14, v24
	v_addc_co_u32_e32 v25, vcc, v25, v3, vcc
.LBB9_5:                                ;   in Loop: Header=BB9_3 Depth=1
	v_alignbit_b32 v38, v25, v24, 2
	v_lshrrev_b32_e32 v39, 2, v25
	v_xor_b32_e32 v30, v6, v28
	v_and_b32_e32 v3, 3, v24
	v_mad_u64_u32 v[24:25], s[2:3], v38, s62, 0
	v_xor_b32_e32 v30, v30, v39
	v_xor_b32_e32 v25, v25, v29
	v_add_u32_e32 v48, 0xbb67ae85, v29
	v_mad_u64_u32 v[30:31], s[2:3], v30, s62, 0
	v_mad_u64_u32 v[32:33], s[2:3], v25, s33, 0
	v_xor_b32_e32 v31, v48, v31
	v_add_u32_e32 v47, 0x9e3779b9, v28
	v_xor_b32_e32 v25, v4, v33
	v_xor_b32_e32 v31, v31, v24
	v_xor_b32_e32 v25, v25, v47
	v_add_u32_e32 v49, 0x3c6ef372, v28
	v_mad_u64_u32 v[34:35], s[2:3], v31, s33, 0
	v_add_u32_e32 v50, 0x76cf5d0a, v29
	v_mad_u64_u32 v[24:25], s[2:3], v25, s62, 0
	v_xor_b32_e32 v31, v49, v35
	v_xor_b32_e32 v31, v31, v32
	v_xor_b32_e32 v25, v50, v25
	v_xor_b32_e32 v25, v25, v30
	v_add_u32_e32 v52, 0x32370b8f, v29
	v_mad_u64_u32 v[30:31], s[2:3], v31, s62, 0
	v_add_u32_e32 v51, 0xdaa66d2b, v28
	v_mad_u64_u32 v[32:33], s[2:3], v25, s33, 0
	v_xor_b32_e32 v31, v52, v31
	;; [unrolled: 8-line block ×5, first 2 shown]
	v_xor_b32_e32 v31, v31, v32
	v_xor_b32_e32 v25, v58, v25
	;; [unrolled: 1-line block ×3, first 2 shown]
	v_add_u32_e32 v60, 0x1fd5c5a3, v29
	v_mad_u64_u32 v[30:31], s[2:3], v31, s62, 0
	v_xor_b32_e32 v31, v60, v31
	v_xor_b32_e32 v24, v31, v24
	v_add_u32_e32 v59, 0x5384540f, v28
	v_mad_u64_u32 v[36:37], s[2:3], v25, s33, 0
	v_add_co_u32_e32 v45, vcc, s63, v28
	v_mad_u64_u32 v[32:33], s[2:3], v24, s33, 0
	v_xor_b32_e32 v25, v59, v37
	v_xor_b32_e32 v24, v45, v33
	;; [unrolled: 1-line block ×4, first 2 shown]
	v_mad_u64_u32 v[34:35], s[2:3], v25, s62, 0
	v_mad_u64_u32 v[24:25], s[2:3], v24, s62, 0
	v_add_u32_e32 v46, 0x96a522ad, v29
	v_xor_b32_e32 v25, v25, v34
	v_xor_b32_e32 v44, v46, v25
	v_add_co_u32_e32 v25, vcc, 1, v38
	v_cndmask_b32_e64 v34, 0, 1, vcc
	v_addc_co_u32_e32 v40, vcc, 0, v39, vcc
	v_cmp_eq_u32_e32 vcc, 0, v40
	v_cndmask_b32_e32 v34, 0, v34, vcc
	v_add_u32_e32 v38, v34, v7
	v_cmp_eq_u32_e32 vcc, 0, v38
	v_mad_u64_u32 v[36:37], s[2:3], v25, s62, 0
	v_mad_u64_u32 v[38:39], s[2:3], v38, s33, 0
	v_add_u32_e32 v33, 0x8ff34781, v28
	v_cndmask_b32_e32 v34, 0, v34, vcc
	v_xor_b32_e32 v25, v39, v28
	v_xor_b32_e32 v28, v37, v29
	v_xor_b32_e32 v34, v34, v28
	v_xor_b32_e32 v25, v40, v25
	v_mad_u64_u32 v[40:41], s[2:3], v34, s33, 0
	v_add_u32_e32 v31, 0xdb3d7428, v29
	v_mad_u64_u32 v[28:29], s[2:3], v25, s62, 0
	v_xor_b32_e32 v25, v47, v41
	v_xor_b32_e32 v25, v25, v38
	v_xor_b32_e32 v29, v48, v29
	v_xor_b32_e32 v29, v29, v36
	v_mad_u64_u32 v[36:37], s[2:3], v25, s62, 0
	v_mad_u64_u32 v[38:39], s[2:3], v29, s33, 0
	v_xor_b32_e32 v29, v50, v37
	v_xor_b32_e32 v25, v49, v39
	v_xor_b32_e32 v34, v29, v28
	v_xor_b32_e32 v25, v25, v40
	v_mad_u64_u32 v[40:41], s[2:3], v34, s33, 0
	v_mad_u64_u32 v[28:29], s[2:3], v25, s62, 0
	v_xor_b32_e32 v25, v51, v41
	v_xor_b32_e32 v25, v25, v38
	v_xor_b32_e32 v29, v52, v29
	v_xor_b32_e32 v29, v29, v36
	v_mad_u64_u32 v[36:37], s[2:3], v25, s62, 0
	v_mad_u64_u32 v[38:39], s[2:3], v29, s33, 0
	v_xor_b32_e32 v29, v54, v37
	v_xor_b32_e32 v25, v53, v39
	v_xor_b32_e32 v34, v29, v28
	v_xor_b32_e32 v25, v25, v40
	v_mad_u64_u32 v[40:41], s[2:3], v34, s33, 0
	v_mad_u64_u32 v[28:29], s[2:3], v25, s62, 0
	v_xor_b32_e32 v25, v55, v41
	v_xor_b32_e32 v25, v25, v38
	v_xor_b32_e32 v29, v56, v29
	v_xor_b32_e32 v29, v29, v36
	v_mad_u64_u32 v[38:39], s[2:3], v25, s62, 0
	v_mad_u64_u32 v[48:49], s[2:3], v29, s33, 0
	v_xor_b32_e32 v29, v58, v39
	v_xor_b32_e32 v25, v57, v49
	v_xor_b32_e32 v34, v29, v28
	v_xor_b32_e32 v25, v25, v40
	v_mad_u64_u32 v[36:37], s[2:3], v34, s33, 0
	v_mad_u64_u32 v[28:29], s[2:3], v25, s62, 0
	v_xor_b32_e32 v25, v59, v37
	v_xor_b32_e32 v25, v25, v48
	v_xor_b32_e32 v29, v60, v29
	v_xor_b32_e32 v29, v29, v38
	v_mad_u64_u32 v[38:39], s[2:3], v25, s62, 0
	v_xor_b32_e32 v25, v31, v39
	v_xor_b32_e32 v25, v25, v28
	v_mad_u64_u32 v[40:41], s[2:3], v29, s33, 0
	v_mad_u64_u32 v[28:29], s[2:3], v25, s33, 0
	v_xor_b32_e32 v25, v29, v40
	v_xor_b32_e32 v25, v33, v25
	v_cmp_lt_i32_e32 vcc, 1, v3
                                        ; implicit-def: $vgpr37
	s_and_saveexec_b64 s[2:3], vcc
	s_xor_b64 s[2:3], exec, s[2:3]
	s_cbranch_execz .LBB9_11
; %bb.6:                                ;   in Loop: Header=BB9_3 Depth=1
	v_cmp_lt_i32_e32 vcc, 2, v3
                                        ; implicit-def: $vgpr37
	s_and_saveexec_b64 s[42:43], vcc
	s_xor_b64 s[42:43], exec, s[42:43]
; %bb.7:                                ;   in Loop: Header=BB9_3 Depth=1
	v_xor_b32_e32 v3, v45, v41
	v_xor_b32_e32 v3, v3, v36
	v_mul_hi_u32 v3, v3, s62
	v_xor_b32_e32 v3, v3, v38
	v_xor_b32_e32 v37, v46, v3
                                        ; implicit-def: $vgpr44
; %bb.8:                                ;   in Loop: Header=BB9_3 Depth=1
	s_andn2_saveexec_b64 s[42:43], s[42:43]
; %bb.9:                                ;   in Loop: Header=BB9_3 Depth=1
	v_mov_b32_e32 v37, v28
	v_mov_b32_e32 v28, v25
	;; [unrolled: 1-line block ×4, first 2 shown]
; %bb.10:                               ;   in Loop: Header=BB9_3 Depth=1
	s_or_b64 exec, exec, s[42:43]
                                        ; implicit-def: $vgpr30_vgpr31
                                        ; implicit-def: $vgpr32_vgpr33
                                        ; implicit-def: $vgpr3
                                        ; implicit-def: $vgpr44
                                        ; implicit-def: $vgpr34_vgpr35
                                        ; implicit-def: $vgpr31
                                        ; implicit-def: $vgpr33
.LBB9_11:                               ;   in Loop: Header=BB9_3 Depth=1
	s_andn2_saveexec_b64 s[2:3], s[2:3]
	s_cbranch_execz .LBB9_15
; %bb.12:                               ;   in Loop: Header=BB9_3 Depth=1
	v_xor_b32_e32 v28, v31, v35
	v_xor_b32_e32 v28, v28, v30
	v_mad_u64_u32 v[30:31], s[42:43], v28, s33, 0
	v_xor_b32_e32 v28, v31, v32
	v_xor_b32_e32 v29, v33, v28
	v_cmp_eq_u32_e32 vcc, 1, v3
	v_mov_b32_e32 v37, v24
	v_mov_b32_e32 v28, v44
	;; [unrolled: 1-line block ×3, first 2 shown]
	s_and_saveexec_b64 s[42:43], vcc
; %bb.13:                               ;   in Loop: Header=BB9_3 Depth=1
	v_mov_b32_e32 v37, v25
	v_mov_b32_e32 v28, v24
	;; [unrolled: 1-line block ×4, first 2 shown]
; %bb.14:                               ;   in Loop: Header=BB9_3 Depth=1
	s_or_b64 exec, exec, s[42:43]
	v_mov_b32_e32 v24, v29
	v_mov_b32_e32 v25, v3
.LBB9_15:                               ;   in Loop: Header=BB9_3 Depth=1
	s_or_b64 exec, exec, s[2:3]
	v_min_i32_e32 v29, 4, v5
	v_cmp_lt_i32_e32 vcc, 2, v29
	s_mov_b64 s[42:43], 0
	s_mov_b64 s[2:3], 0
                                        ; implicit-def: $sgpr44_sgpr45
                                        ; implicit-def: $sgpr46_sgpr47
                                        ; implicit-def: $sgpr48_sgpr49
	s_and_saveexec_b64 s[50:51], vcc
	s_xor_b64 s[50:51], exec, s[50:51]
	s_cbranch_execz .LBB9_25
; %bb.16:                               ;   in Loop: Header=BB9_3 Depth=1
	v_cmp_lt_i32_e32 vcc, 3, v29
	s_mov_b64 s[2:3], -1
                                        ; implicit-def: $sgpr44_sgpr45
                                        ; implicit-def: $sgpr52_sgpr53
	s_and_saveexec_b64 s[46:47], vcc
	s_cbranch_execz .LBB9_20
; %bb.17:                               ;   in Loop: Header=BB9_3 Depth=1
	s_waitcnt vmcnt(0)
	v_cmp_le_f64_e32 vcc, 0, v[26:27]
	v_cmp_ge_f64_e64 s[2:3], 1.0, v[26:27]
	s_and_b64 s[52:53], vcc, s[2:3]
	s_mov_b64 s[44:45], 0
	s_mov_b64 s[2:3], 0
	s_and_saveexec_b64 s[48:49], s[52:53]
	s_cbranch_execz .LBB9_19
; %bb.18:                               ;   in Loop: Header=BB9_3 Depth=1
	v_cvt_f32_u32_e32 v3, v37
	v_mov_b32_e32 v32, 0x2f800000
	v_mov_b32_e32 v30, s41
	s_mov_b64 s[2:3], exec
	v_fmac_f32_e32 v32, 0x2f800000, v3
	v_add_co_u32_e32 v3, vcc, s40, v12
	v_addc_co_u32_e32 v30, vcc, v13, v30, vcc
	v_cndmask_b32_e64 v31, 0, v30, s[0:1]
	v_cndmask_b32_e64 v30, 0, v3, s[0:1]
	v_lshlrev_b64 v[30:31], 3, v[30:31]
	v_mov_b32_e32 v3, s7
	v_add_co_u32_e32 v30, vcc, s6, v30
	v_addc_co_u32_e32 v31, vcc, v3, v31, vcc
	v_cvt_f64_f32_e32 v[32:33], v32
	v_cmp_ge_f64_e32 vcc, v[26:27], v[32:33]
	v_cndmask_b32_e32 v3, 0, v43, vcc
	global_store_dwordx2 v[30:31], v[2:3], off
.LBB9_19:                               ;   in Loop: Header=BB9_3 Depth=1
	s_or_b64 exec, exec, s[48:49]
	s_mov_b64 s[52:53], -1
	s_orn2_b64 s[2:3], s[2:3], exec
.LBB9_20:                               ;   in Loop: Header=BB9_3 Depth=1
	s_or_b64 exec, exec, s[46:47]
	s_mov_b64 s[0:1], 0
	s_mov_b64 s[48:49], s[44:45]
	s_and_saveexec_b64 s[46:47], s[2:3]
	s_cbranch_execz .LBB9_24
; %bb.21:                               ;   in Loop: Header=BB9_3 Depth=1
	v_mov_b32_e32 v3, s37
	s_waitcnt vmcnt(0)
	v_add_co_u32_e32 v26, vcc, s36, v18
	v_addc_co_u32_e32 v3, vcc, v19, v3, vcc
	v_cmp_lt_i32_e32 vcc, 2, v5
	v_cndmask_b32_e32 v27, 0, v3, vcc
	v_cndmask_b32_e32 v26, 0, v26, vcc
	v_lshlrev_b64 v[26:27], 3, v[26:27]
	v_mov_b32_e32 v3, s17
	v_add_co_u32_e64 v26, s[0:1], s16, v26
	v_addc_co_u32_e64 v27, s[0:1], v3, v27, s[0:1]
	global_load_dwordx2 v[26:27], v[26:27], off
	s_waitcnt vmcnt(0)
	v_cmp_le_f64_e64 s[0:1], 0, v[26:27]
	v_cmp_ge_f64_e64 s[2:3], 1.0, v[26:27]
	s_and_b64 s[0:1], s[0:1], s[2:3]
	s_mov_b64 s[2:3], 0
	s_and_saveexec_b64 s[48:49], s[0:1]
	s_xor_b64 s[48:49], exec, s[48:49]
	s_cbranch_execz .LBB9_23
; %bb.22:                               ;   in Loop: Header=BB9_3 Depth=1
	v_cvt_f32_u32_e32 v3, v28
	v_mov_b32_e32 v28, 0x2f800000
	v_mov_b32_e32 v30, s41
	s_mov_b64 s[2:3], exec
	v_fmac_f32_e32 v28, 0x2f800000, v3
	v_add_co_u32_e64 v3, s[0:1], s40, v10
	v_addc_co_u32_e64 v30, s[0:1], v11, v30, s[0:1]
	v_cndmask_b32_e32 v31, 0, v30, vcc
	v_cndmask_b32_e32 v30, 0, v3, vcc
	v_lshlrev_b64 v[30:31], 3, v[30:31]
	v_mov_b32_e32 v3, s7
	v_add_co_u32_e32 v30, vcc, s6, v30
	v_addc_co_u32_e32 v31, vcc, v3, v31, vcc
	v_cvt_f64_f32_e32 v[32:33], v28
	v_cmp_ge_f64_e32 vcc, v[26:27], v[32:33]
	v_cndmask_b32_e32 v3, 0, v43, vcc
	global_store_dwordx2 v[30:31], v[2:3], off
.LBB9_23:                               ;   in Loop: Header=BB9_3 Depth=1
	s_or_b64 exec, exec, s[48:49]
	s_andn2_b64 s[48:49], s[44:45], exec
	s_or_b64 s[44:45], s[44:45], exec
	s_andn2_b64 s[52:53], s[52:53], exec
	s_and_b64 s[0:1], s[2:3], exec
.LBB9_24:                               ;   in Loop: Header=BB9_3 Depth=1
	s_or_b64 exec, exec, s[46:47]
	s_and_b64 s[48:49], s[48:49], exec
	s_and_b64 s[46:47], s[44:45], exec
	;; [unrolled: 1-line block ×4, first 2 shown]
.LBB9_25:                               ;   in Loop: Header=BB9_3 Depth=1
	s_andn2_saveexec_b64 s[0:1], s[50:51]
; %bb.26:                               ;   in Loop: Header=BB9_3 Depth=1
	v_cmp_lt_i32_e32 vcc, 1, v29
	s_andn2_b64 s[2:3], s[2:3], exec
	s_and_b64 s[50:51], vcc, exec
	s_mov_b64 s[42:43], exec
	s_andn2_b64 s[48:49], s[48:49], exec
	s_andn2_b64 s[46:47], s[46:47], exec
	;; [unrolled: 1-line block ×3, first 2 shown]
	s_or_b64 s[2:3], s[2:3], s[50:51]
; %bb.27:                               ;   in Loop: Header=BB9_3 Depth=1
	s_or_b64 exec, exec, s[0:1]
	s_mov_b64 s[50:51], 0
	s_mov_b64 s[0:1], 0
	;; [unrolled: 1-line block ×3, first 2 shown]
	s_and_saveexec_b64 s[54:55], s[2:3]
	s_cbranch_execnz .LBB9_30
; %bb.28:                               ;   in Loop: Header=BB9_3 Depth=1
	s_or_b64 exec, exec, s[54:55]
	s_and_saveexec_b64 s[2:3], s[42:43]
	s_cbranch_execnz .LBB9_33
.LBB9_29:                               ;   in Loop: Header=BB9_3 Depth=1
	s_or_b64 exec, exec, s[2:3]
	s_and_saveexec_b64 s[42:43], s[0:1]
	s_cbranch_execnz .LBB9_34
	s_branch .LBB9_37
.LBB9_30:                               ;   in Loop: Header=BB9_3 Depth=1
	v_mov_b32_e32 v3, s37
	s_waitcnt vmcnt(0)
	v_add_co_u32_e32 v26, vcc, s36, v16
	v_addc_co_u32_e32 v3, vcc, v17, v3, vcc
	v_cmp_lt_i32_e32 vcc, 1, v5
	v_cndmask_b32_e32 v27, 0, v3, vcc
	v_cndmask_b32_e32 v26, 0, v26, vcc
	v_lshlrev_b64 v[26:27], 3, v[26:27]
	v_mov_b32_e32 v3, s17
	v_add_co_u32_e64 v26, s[0:1], s16, v26
	v_addc_co_u32_e64 v27, s[0:1], v3, v27, s[0:1]
	global_load_dwordx2 v[26:27], v[26:27], off
	s_waitcnt vmcnt(0)
	v_cmp_le_f64_e64 s[0:1], 0, v[26:27]
	v_cmp_ge_f64_e64 s[2:3], 1.0, v[26:27]
	s_and_b64 s[0:1], s[0:1], s[2:3]
	s_mov_b64 s[2:3], 0
	s_and_saveexec_b64 s[52:53], s[0:1]
	s_xor_b64 s[52:53], exec, s[52:53]
	s_cbranch_execz .LBB9_32
; %bb.31:                               ;   in Loop: Header=BB9_3 Depth=1
	v_cvt_f32_u32_e32 v3, v25
	v_mov_b32_e32 v25, 0x2f800000
	v_mov_b32_e32 v28, s41
	s_mov_b64 s[2:3], exec
	v_fmac_f32_e32 v25, 0x2f800000, v3
	v_add_co_u32_e64 v3, s[0:1], s40, v8
	v_addc_co_u32_e64 v28, s[0:1], v9, v28, s[0:1]
	v_cndmask_b32_e32 v31, 0, v28, vcc
	v_cndmask_b32_e32 v30, 0, v3, vcc
	v_lshlrev_b64 v[30:31], 3, v[30:31]
	v_mov_b32_e32 v3, s7
	v_add_co_u32_e32 v30, vcc, s6, v30
	v_addc_co_u32_e32 v31, vcc, v3, v31, vcc
	v_cvt_f64_f32_e32 v[32:33], v25
	v_cmp_ge_f64_e32 vcc, v[26:27], v[32:33]
	v_cndmask_b32_e32 v3, 0, v43, vcc
	global_store_dwordx2 v[30:31], v[2:3], off
.LBB9_32:                               ;   in Loop: Header=BB9_3 Depth=1
	s_or_b64 exec, exec, s[52:53]
	s_andn2_b64 s[52:53], s[48:49], exec
	s_or_b64 s[48:49], s[48:49], exec
	s_andn2_b64 s[46:47], s[46:47], exec
	s_andn2_b64 s[44:45], s[44:45], exec
	s_and_b64 s[0:1], s[2:3], exec
	s_andn2_b64 s[42:43], s[42:43], exec
	s_or_b64 exec, exec, s[54:55]
	s_and_saveexec_b64 s[2:3], s[42:43]
	s_cbranch_execz .LBB9_29
.LBB9_33:                               ;   in Loop: Header=BB9_3 Depth=1
	v_cmp_eq_u32_e32 vcc, 1, v29
	s_andn2_b64 s[0:1], s[0:1], exec
	s_and_b64 s[42:43], vcc, exec
	s_mov_b64 s[50:51], exec
	s_andn2_b64 s[52:53], s[52:53], exec
	s_andn2_b64 s[48:49], s[48:49], exec
	;; [unrolled: 1-line block ×4, first 2 shown]
	s_or_b64 s[0:1], s[0:1], s[42:43]
	s_or_b64 exec, exec, s[2:3]
	s_and_saveexec_b64 s[42:43], s[0:1]
	s_cbranch_execz .LBB9_37
.LBB9_34:                               ;   in Loop: Header=BB9_3 Depth=1
	v_mov_b32_e32 v3, s37
	v_add_co_u32_e32 v25, vcc, s36, v22
	v_addc_co_u32_e32 v3, vcc, v23, v3, vcc
	v_cmp_lt_i32_e32 vcc, 0, v5
	s_waitcnt vmcnt(0)
	v_cndmask_b32_e32 v27, 0, v3, vcc
	v_cndmask_b32_e32 v26, 0, v25, vcc
	v_lshlrev_b64 v[26:27], 3, v[26:27]
	v_mov_b32_e32 v3, s17
	v_add_co_u32_e64 v26, s[0:1], s16, v26
	v_addc_co_u32_e64 v27, s[0:1], v3, v27, s[0:1]
	global_load_dwordx2 v[26:27], v[26:27], off
	s_waitcnt vmcnt(0)
	v_cmp_le_f64_e64 s[0:1], 0, v[26:27]
	v_cmp_ge_f64_e64 s[2:3], 1.0, v[26:27]
	s_and_b64 s[0:1], s[0:1], s[2:3]
	s_mov_b64 s[2:3], 0
	s_and_saveexec_b64 s[54:55], s[0:1]
	s_cbranch_execz .LBB9_36
; %bb.35:                               ;   in Loop: Header=BB9_3 Depth=1
	v_cvt_f32_u32_e32 v3, v24
	v_mov_b32_e32 v28, 0x2f800000
	v_mov_b32_e32 v24, s41
	s_mov_b64 s[2:3], exec
	v_fmac_f32_e32 v28, 0x2f800000, v3
	v_add_co_u32_e64 v3, s[0:1], s40, v14
	v_addc_co_u32_e64 v24, s[0:1], v15, v24, s[0:1]
	v_cndmask_b32_e32 v25, 0, v24, vcc
	v_cndmask_b32_e32 v24, 0, v3, vcc
	v_lshlrev_b64 v[24:25], 3, v[24:25]
	v_mov_b32_e32 v3, s7
	v_add_co_u32_e32 v24, vcc, s6, v24
	v_addc_co_u32_e32 v25, vcc, v3, v25, vcc
	v_cvt_f64_f32_e32 v[28:29], v28
	v_cmp_ge_f64_e32 vcc, v[26:27], v[28:29]
	v_cndmask_b32_e32 v3, 0, v43, vcc
	global_store_dwordx2 v[24:25], v[2:3], off
.LBB9_36:                               ;   in Loop: Header=BB9_3 Depth=1
	s_or_b64 exec, exec, s[54:55]
	s_andn2_b64 s[0:1], s[50:51], exec
	s_and_b64 s[2:3], s[2:3], exec
	s_or_b64 s[52:53], s[52:53], exec
	s_andn2_b64 s[48:49], s[48:49], exec
	s_andn2_b64 s[46:47], s[46:47], exec
	;; [unrolled: 1-line block ×3, first 2 shown]
	s_or_b64 s[50:51], s[0:1], s[2:3]
.LBB9_37:                               ;   in Loop: Header=BB9_3 Depth=1
	s_or_b64 exec, exec, s[42:43]
	s_andn2_b64 s[2:3], s[38:39], exec
	s_and_b64 s[38:39], s[52:53], exec
	s_or_b64 s[38:39], s[2:3], s[38:39]
	s_andn2_b64 s[2:3], s[34:35], exec
	s_and_b64 s[34:35], s[48:49], exec
	s_or_b64 s[34:35], s[2:3], s[34:35]
	;; [unrolled: 3-line block ×3, first 2 shown]
	s_andn2_b64 s[2:3], s[28:29], exec
	s_and_b64 s[28:29], s[44:45], exec
	s_mov_b64 s[0:1], -1
	s_or_b64 s[28:29], s[2:3], s[28:29]
	s_and_saveexec_b64 s[2:3], s[50:51]
	s_cbranch_execz .LBB9_2
; %bb.38:                               ;   in Loop: Header=BB9_3 Depth=1
	v_mov_b32_e32 v3, s57
	v_add_co_u32_e32 v0, vcc, s56, v0
	s_add_u32 s40, s40, s59
	v_addc_co_u32_e32 v1, vcc, v1, v3, vcc
	s_addc_u32 s41, s41, s58
	s_add_u32 s36, s36, s61
	v_cmp_le_u64_e32 vcc, s[8:9], v[0:1]
	v_subrev_u32_e32 v5, s56, v5
	s_addc_u32 s37, s37, s60
	s_andn2_b64 s[38:39], s[38:39], exec
	s_andn2_b64 s[34:35], s[34:35], exec
	;; [unrolled: 1-line block ×4, first 2 shown]
	s_orn2_b64 s[0:1], vcc, exec
	s_branch .LBB9_2
.LBB9_39:
	s_or_b64 exec, exec, s[20:21]
	s_xor_b64 s[6:7], s[26:27], -1
	s_xor_b64 s[8:9], s[24:25], -1
	;; [unrolled: 1-line block ×3, first 2 shown]
	s_mov_b64 s[2:3], 0
	s_and_saveexec_b64 s[4:5], s[0:1]
	s_xor_b64 s[0:1], exec, s[4:5]
	s_cbranch_execnz .LBB9_44
; %bb.40:
	s_andn2_saveexec_b64 s[0:1], s[0:1]
	s_cbranch_execnz .LBB9_52
.LBB9_41:
	s_or_b64 exec, exec, s[0:1]
	s_and_b64 exec, exec, s[2:3]
.LBB9_42:
	; divergent unreachable
.LBB9_43:
	s_endpgm
.LBB9_44:
	s_mov_b64 s[4:5], 0
	s_and_saveexec_b64 s[2:3], s[8:9]
	s_xor_b64 s[2:3], exec, s[2:3]
	s_cbranch_execz .LBB9_50
; %bb.45:
	s_and_saveexec_b64 s[8:9], s[6:7]
	s_xor_b64 s[6:7], exec, s[8:9]
	s_cbranch_execz .LBB9_48
; %bb.46:
	s_and_saveexec_b64 s[8:9], s[18:19]
	s_xor_b64 s[8:9], exec, s[8:9]
	s_cbranch_execnz .LBB9_55
.LBB9_47:
	s_or_b64 exec, exec, s[8:9]
	s_and_b64 s[4:5], s[4:5], exec
.LBB9_48:
	s_andn2_saveexec_b64 s[6:7], s[6:7]
	s_cbranch_execnz .LBB9_54
.LBB9_49:
	s_or_b64 exec, exec, s[6:7]
	s_and_b64 s[4:5], s[4:5], exec
.LBB9_50:
	s_andn2_saveexec_b64 s[2:3], s[2:3]
	s_cbranch_execnz .LBB9_53
.LBB9_51:
	s_or_b64 exec, exec, s[2:3]
	s_and_b64 s[2:3], s[4:5], exec
	s_andn2_saveexec_b64 s[0:1], s[0:1]
	s_cbranch_execz .LBB9_41
.LBB9_52:
	s_or_b64 s[2:3], s[2:3], exec
	s_trap 2
	s_or_b64 exec, exec, s[0:1]
	s_and_b64 exec, exec, s[2:3]
	s_cbranch_execnz .LBB9_42
	s_branch .LBB9_43
.LBB9_53:
	s_or_b64 s[4:5], s[4:5], exec
	s_trap 2
	s_branch .LBB9_51
.LBB9_54:
	s_trap 2
	s_or_b64 s[4:5], s[4:5], exec
	s_branch .LBB9_49
.LBB9_55:
	s_mov_b64 s[4:5], exec
	s_trap 2
	s_branch .LBB9_47
	.section	.rodata,"a",@progbits
	.p2align	6, 0x0
	.amdhsa_kernel _ZN2at4cuda12_GLOBAL__N_121kernelPointwiseApply2IZNS_6native9templates4cuda28bernoulli_tensor_cuda_kernelIddEEvRKNS_10TensorBaseES9_NS_15PhiloxCudaStateEEUliRdSB_SB_SB_RKdSD_SD_SD_E_dSC_mLi1ELi1ELi4ELi512ELi2EEEvNS0_6detail10TensorInfoIT0_T2_EENSG_IT1_SI_EESI_T_
		.amdhsa_group_segment_fixed_size 0
		.amdhsa_private_segment_fixed_size 0
		.amdhsa_kernarg_size 1128
		.amdhsa_user_sgpr_count 6
		.amdhsa_user_sgpr_private_segment_buffer 1
		.amdhsa_user_sgpr_dispatch_ptr 0
		.amdhsa_user_sgpr_queue_ptr 0
		.amdhsa_user_sgpr_kernarg_segment_ptr 1
		.amdhsa_user_sgpr_dispatch_id 0
		.amdhsa_user_sgpr_flat_scratch_init 0
		.amdhsa_user_sgpr_kernarg_preload_length 0
		.amdhsa_user_sgpr_kernarg_preload_offset 0
		.amdhsa_user_sgpr_private_segment_size 0
		.amdhsa_uses_dynamic_stack 0
		.amdhsa_system_sgpr_private_segment_wavefront_offset 0
		.amdhsa_system_sgpr_workgroup_id_x 1
		.amdhsa_system_sgpr_workgroup_id_y 0
		.amdhsa_system_sgpr_workgroup_id_z 0
		.amdhsa_system_sgpr_workgroup_info 0
		.amdhsa_system_vgpr_workitem_id 0
		.amdhsa_next_free_vgpr 61
		.amdhsa_next_free_sgpr 64
		.amdhsa_accum_offset 64
		.amdhsa_reserve_vcc 1
		.amdhsa_reserve_flat_scratch 0
		.amdhsa_float_round_mode_32 0
		.amdhsa_float_round_mode_16_64 0
		.amdhsa_float_denorm_mode_32 3
		.amdhsa_float_denorm_mode_16_64 3
		.amdhsa_dx10_clamp 1
		.amdhsa_ieee_mode 1
		.amdhsa_fp16_overflow 0
		.amdhsa_tg_split 0
		.amdhsa_exception_fp_ieee_invalid_op 0
		.amdhsa_exception_fp_denorm_src 0
		.amdhsa_exception_fp_ieee_div_zero 0
		.amdhsa_exception_fp_ieee_overflow 0
		.amdhsa_exception_fp_ieee_underflow 0
		.amdhsa_exception_fp_ieee_inexact 0
		.amdhsa_exception_int_div_zero 0
	.end_amdhsa_kernel
	.section	.text._ZN2at4cuda12_GLOBAL__N_121kernelPointwiseApply2IZNS_6native9templates4cuda28bernoulli_tensor_cuda_kernelIddEEvRKNS_10TensorBaseES9_NS_15PhiloxCudaStateEEUliRdSB_SB_SB_RKdSD_SD_SD_E_dSC_mLi1ELi1ELi4ELi512ELi2EEEvNS0_6detail10TensorInfoIT0_T2_EENSG_IT1_SI_EESI_T_,"axG",@progbits,_ZN2at4cuda12_GLOBAL__N_121kernelPointwiseApply2IZNS_6native9templates4cuda28bernoulli_tensor_cuda_kernelIddEEvRKNS_10TensorBaseES9_NS_15PhiloxCudaStateEEUliRdSB_SB_SB_RKdSD_SD_SD_E_dSC_mLi1ELi1ELi4ELi512ELi2EEEvNS0_6detail10TensorInfoIT0_T2_EENSG_IT1_SI_EESI_T_,comdat
.Lfunc_end9:
	.size	_ZN2at4cuda12_GLOBAL__N_121kernelPointwiseApply2IZNS_6native9templates4cuda28bernoulli_tensor_cuda_kernelIddEEvRKNS_10TensorBaseES9_NS_15PhiloxCudaStateEEUliRdSB_SB_SB_RKdSD_SD_SD_E_dSC_mLi1ELi1ELi4ELi512ELi2EEEvNS0_6detail10TensorInfoIT0_T2_EENSG_IT1_SI_EESI_T_, .Lfunc_end9-_ZN2at4cuda12_GLOBAL__N_121kernelPointwiseApply2IZNS_6native9templates4cuda28bernoulli_tensor_cuda_kernelIddEEvRKNS_10TensorBaseES9_NS_15PhiloxCudaStateEEUliRdSB_SB_SB_RKdSD_SD_SD_E_dSC_mLi1ELi1ELi4ELi512ELi2EEEvNS0_6detail10TensorInfoIT0_T2_EENSG_IT1_SI_EESI_T_
                                        ; -- End function
	.section	.AMDGPU.csdata,"",@progbits
; Kernel info:
; codeLenInByte = 2968
; NumSgprs: 68
; NumVgprs: 61
; NumAgprs: 0
; TotalNumVgprs: 61
; ScratchSize: 0
; MemoryBound: 0
; FloatMode: 240
; IeeeMode: 1
; LDSByteSize: 0 bytes/workgroup (compile time only)
; SGPRBlocks: 8
; VGPRBlocks: 7
; NumSGPRsForWavesPerEU: 68
; NumVGPRsForWavesPerEU: 61
; AccumOffset: 64
; Occupancy: 8
; WaveLimiterHint : 1
; COMPUTE_PGM_RSRC2:SCRATCH_EN: 0
; COMPUTE_PGM_RSRC2:USER_SGPR: 6
; COMPUTE_PGM_RSRC2:TRAP_HANDLER: 0
; COMPUTE_PGM_RSRC2:TGID_X_EN: 1
; COMPUTE_PGM_RSRC2:TGID_Y_EN: 0
; COMPUTE_PGM_RSRC2:TGID_Z_EN: 0
; COMPUTE_PGM_RSRC2:TIDIG_COMP_CNT: 0
; COMPUTE_PGM_RSRC3_GFX90A:ACCUM_OFFSET: 15
; COMPUTE_PGM_RSRC3_GFX90A:TG_SPLIT: 0
	.section	.text._ZN2at4cuda12_GLOBAL__N_121kernelPointwiseApply2IZNS_6native9templates4cuda28bernoulli_tensor_cuda_kernelIddEEvRKNS_10TensorBaseES9_NS_15PhiloxCudaStateEEUliRdSB_SB_SB_RKdSD_SD_SD_E_dSC_mLin1ELin1ELi4ELi512ELi2EEEvNS0_6detail10TensorInfoIT0_T2_EENSG_IT1_SI_EESI_T_,"axG",@progbits,_ZN2at4cuda12_GLOBAL__N_121kernelPointwiseApply2IZNS_6native9templates4cuda28bernoulli_tensor_cuda_kernelIddEEvRKNS_10TensorBaseES9_NS_15PhiloxCudaStateEEUliRdSB_SB_SB_RKdSD_SD_SD_E_dSC_mLin1ELin1ELi4ELi512ELi2EEEvNS0_6detail10TensorInfoIT0_T2_EENSG_IT1_SI_EESI_T_,comdat
	.globl	_ZN2at4cuda12_GLOBAL__N_121kernelPointwiseApply2IZNS_6native9templates4cuda28bernoulli_tensor_cuda_kernelIddEEvRKNS_10TensorBaseES9_NS_15PhiloxCudaStateEEUliRdSB_SB_SB_RKdSD_SD_SD_E_dSC_mLin1ELin1ELi4ELi512ELi2EEEvNS0_6detail10TensorInfoIT0_T2_EENSG_IT1_SI_EESI_T_ ; -- Begin function _ZN2at4cuda12_GLOBAL__N_121kernelPointwiseApply2IZNS_6native9templates4cuda28bernoulli_tensor_cuda_kernelIddEEvRKNS_10TensorBaseES9_NS_15PhiloxCudaStateEEUliRdSB_SB_SB_RKdSD_SD_SD_E_dSC_mLin1ELin1ELi4ELi512ELi2EEEvNS0_6detail10TensorInfoIT0_T2_EENSG_IT1_SI_EESI_T_
	.p2align	8
	.type	_ZN2at4cuda12_GLOBAL__N_121kernelPointwiseApply2IZNS_6native9templates4cuda28bernoulli_tensor_cuda_kernelIddEEvRKNS_10TensorBaseES9_NS_15PhiloxCudaStateEEUliRdSB_SB_SB_RKdSD_SD_SD_E_dSC_mLin1ELin1ELi4ELi512ELi2EEEvNS0_6detail10TensorInfoIT0_T2_EENSG_IT1_SI_EESI_T_,@function
_ZN2at4cuda12_GLOBAL__N_121kernelPointwiseApply2IZNS_6native9templates4cuda28bernoulli_tensor_cuda_kernelIddEEvRKNS_10TensorBaseES9_NS_15PhiloxCudaStateEEUliRdSB_SB_SB_RKdSD_SD_SD_E_dSC_mLin1ELin1ELi4ELi512ELi2EEEvNS0_6detail10TensorInfoIT0_T2_EENSG_IT1_SI_EESI_T_: ; @_ZN2at4cuda12_GLOBAL__N_121kernelPointwiseApply2IZNS_6native9templates4cuda28bernoulli_tensor_cuda_kernelIddEEvRKNS_10TensorBaseES9_NS_15PhiloxCudaStateEEUliRdSB_SB_SB_RKdSD_SD_SD_E_dSC_mLin1ELin1ELi4ELi512ELi2EEEvNS0_6detail10TensorInfoIT0_T2_EENSG_IT1_SI_EESI_T_
; %bb.0:
	s_load_dword s2, s[4:5], 0x374
	s_load_dwordx8 s[8:15], s[4:5], 0x340
	s_add_u32 s0, s4, 0x368
	s_addc_u32 s1, s5, 0
	v_mov_b32_e32 v2, 0
	s_waitcnt lgkmcnt(0)
	s_and_b32 s2, s2, 0xffff
	s_mul_i32 s6, s6, s2
	v_add_u32_e32 v7, s6, v0
	v_lshlrev_b32_e32 v0, 2, v7
	v_mov_b32_e32 v1, v2
	v_cmp_gt_u64_e32 vcc, s[8:9], v[0:1]
	s_and_saveexec_b64 s[6:7], vcc
	s_cbranch_execz .LBB10_114
; %bb.1:
	s_load_dword s0, s[0:1], 0x0
	s_add_u32 s6, s4, 0x1a0
	s_load_dword s7, s[4:5], 0x198
	s_load_dwordx2 s[20:21], s[4:5], 0x270
	s_addc_u32 s28, s5, 0
	s_waitcnt lgkmcnt(0)
	s_mul_i32 s29, s0, s2
	s_load_dword s2, s[4:5], 0x360
	s_load_dword s34, s[4:5], 0x338
	s_load_dwordx2 s[16:17], s[4:5], 0x1a0
	s_load_dwordx2 s[18:19], s[4:5], 0xd0
	;; [unrolled: 1-line block ×3, first 2 shown]
	s_cmp_gt_i32 s7, 1
	s_cselect_b64 s[0:1], -1, 0
	s_waitcnt lgkmcnt(0)
	s_cmp_gt_i32 s34, 1
	s_mov_b32 s33, 0xcd9e8d57
	s_cselect_b64 s[22:23], -1, 0
	s_bitcmp1_b32 s2, 0
	v_mad_u64_u32 v[4:5], s[2:3], v7, s33, 0
	s_mov_b32 s63, 0
	s_cselect_b64 s[26:27], -1, 0
	s_add_i32 s2, s7, -1
	s_mov_b32 s3, s63
	s_lshl_b32 s62, s29, 2
	s_add_i32 s64, s7, 1
	s_lshl_b64 s[2:3], s[2:3], 3
	s_add_u32 s2, s2, s4
	s_addc_u32 s3, s3, s5
	s_add_u32 s30, s2, 8
	s_addc_u32 s31, s3, 0
	s_add_i32 s2, s34, -1
	s_mov_b32 s3, s63
	s_add_i32 s65, s34, 1
	s_lshl_b64 s[2:3], s[2:3], 3
	s_add_u32 s2, s2, s6
	s_addc_u32 s3, s3, s28
	s_add_u32 s34, s2, 8
	v_mov_b32_e32 v6, v5
	s_addc_u32 s35, s3, 0
	s_mov_b64 s[36:37], 0
	v_cndmask_b32_e64 v5, 0, 1, s[0:1]
	s_mov_b32 s66, 0xd2511f53
	s_mov_b32 s67, 0xf1bbcdc8
	v_mov_b32_e32 v40, 0x3ff00000
                                        ; implicit-def: $sgpr38_sgpr39
                                        ; implicit-def: $sgpr40_sgpr41
                                        ; implicit-def: $sgpr42_sgpr43
                                        ; implicit-def: $sgpr28_sgpr29
                                        ; implicit-def: $sgpr44_sgpr45
                                        ; implicit-def: $sgpr46_sgpr47
                                        ; implicit-def: $sgpr48_sgpr49
                                        ; implicit-def: $sgpr50_sgpr51
	s_branch .LBB10_3
.LBB10_2:                               ;   in Loop: Header=BB10_3 Depth=1
	s_or_b64 exec, exec, s[2:3]
	s_and_b64 s[0:1], exec, s[0:1]
	s_or_b64 s[36:37], s[0:1], s[36:37]
	s_andn2_b64 s[0:1], s[28:29], exec
	s_and_b64 s[2:3], s[50:51], exec
	s_or_b64 s[28:29], s[0:1], s[2:3]
	s_andn2_b64 s[0:1], s[42:43], exec
	s_and_b64 s[2:3], s[48:49], exec
	;; [unrolled: 3-line block ×4, first 2 shown]
	s_or_b64 s[38:39], s[0:1], s[2:3]
	s_andn2_b64 exec, exec, s[36:37]
	s_cbranch_execz .LBB10_110
.LBB10_3:                               ; =>This Loop Header: Depth=1
                                        ;     Child Loop BB10_5 Depth 2
                                        ;     Child Loop BB10_14 Depth 2
	;; [unrolled: 1-line block ×8, first 2 shown]
	v_sub_u32_e32 v41, s8, v0
	v_cmp_lt_i32_e64 s[4:5], 0, v41
	v_pk_mov_b32 v[8:9], 0, 0
	v_cmp_ne_u32_e64 s[0:1], 1, v5
	s_and_saveexec_b64 s[6:7], s[4:5]
	s_cbranch_execz .LBB10_12
; %bb.4:                                ;   in Loop: Header=BB10_3 Depth=1
	s_and_b64 vcc, exec, s[0:1]
	v_pk_mov_b32 v[8:9], 0, 0
	s_mov_b64 s[52:53], s[30:31]
	s_mov_b32 s58, s64
	v_pk_mov_b32 v[10:11], v[0:1], v[0:1] op_sel:[0,1]
	v_pk_mov_b32 v[12:13], v[0:1], v[0:1] op_sel:[0,1]
	s_cbranch_vccnz .LBB10_11
.LBB10_5:                               ;   Parent Loop BB10_3 Depth=1
                                        ; =>  This Inner Loop Header: Depth=2
	s_load_dwordx2 s[54:55], s[52:53], 0x0
                                        ; implicit-def: $vgpr12_vgpr13
	s_waitcnt lgkmcnt(0)
	v_or_b32_e32 v3, s55, v11
	v_cmp_ne_u64_e32 vcc, 0, v[2:3]
	s_and_saveexec_b64 s[2:3], vcc
	s_xor_b64 s[56:57], exec, s[2:3]
	s_cbranch_execz .LBB10_7
; %bb.6:                                ;   in Loop: Header=BB10_5 Depth=2
	v_cvt_f32_u32_e32 v3, s54
	v_cvt_f32_u32_e32 v12, s55
	s_sub_u32 s2, 0, s54
	s_subb_u32 s3, 0, s55
	v_mac_f32_e32 v3, 0x4f800000, v12
	v_rcp_f32_e32 v3, v3
	v_mul_f32_e32 v3, 0x5f7ffffc, v3
	v_mul_f32_e32 v12, 0x2f800000, v3
	v_trunc_f32_e32 v12, v12
	v_mac_f32_e32 v3, 0xcf800000, v12
	v_cvt_u32_f32_e32 v12, v12
	v_cvt_u32_f32_e32 v3, v3
	v_mul_lo_u32 v13, s2, v12
	v_mul_hi_u32 v15, s2, v3
	v_mul_lo_u32 v14, s3, v3
	v_add_u32_e32 v13, v15, v13
	v_mul_lo_u32 v16, s2, v3
	v_add_u32_e32 v13, v13, v14
	v_mul_hi_u32 v15, v3, v16
	v_mul_lo_u32 v17, v3, v13
	v_mul_hi_u32 v14, v3, v13
	v_add_co_u32_e32 v15, vcc, v15, v17
	v_addc_co_u32_e32 v14, vcc, 0, v14, vcc
	v_mul_hi_u32 v18, v12, v16
	v_mul_lo_u32 v16, v12, v16
	v_add_co_u32_e32 v15, vcc, v15, v16
	v_mul_hi_u32 v17, v12, v13
	v_addc_co_u32_e32 v14, vcc, v14, v18, vcc
	v_addc_co_u32_e32 v15, vcc, 0, v17, vcc
	v_mul_lo_u32 v13, v12, v13
	v_add_co_u32_e32 v13, vcc, v14, v13
	v_addc_co_u32_e32 v14, vcc, 0, v15, vcc
	v_add_co_u32_e32 v3, vcc, v3, v13
	v_addc_co_u32_e32 v12, vcc, v12, v14, vcc
	v_mul_lo_u32 v13, s2, v12
	v_mul_hi_u32 v14, s2, v3
	v_add_u32_e32 v13, v14, v13
	v_mul_lo_u32 v14, s3, v3
	v_add_u32_e32 v13, v13, v14
	v_mul_lo_u32 v15, s2, v3
	v_mul_hi_u32 v16, v12, v15
	v_mul_lo_u32 v17, v12, v15
	v_mul_lo_u32 v19, v3, v13
	v_mul_hi_u32 v15, v3, v15
	v_mul_hi_u32 v18, v3, v13
	v_add_co_u32_e32 v15, vcc, v15, v19
	v_addc_co_u32_e32 v18, vcc, 0, v18, vcc
	v_add_co_u32_e32 v15, vcc, v15, v17
	v_mul_hi_u32 v14, v12, v13
	v_addc_co_u32_e32 v15, vcc, v18, v16, vcc
	v_addc_co_u32_e32 v14, vcc, 0, v14, vcc
	v_mul_lo_u32 v13, v12, v13
	v_add_co_u32_e32 v13, vcc, v15, v13
	v_addc_co_u32_e32 v14, vcc, 0, v14, vcc
	v_add_co_u32_e32 v3, vcc, v3, v13
	v_addc_co_u32_e32 v14, vcc, v12, v14, vcc
	v_mad_u64_u32 v[12:13], s[2:3], v10, v14, 0
	v_mul_hi_u32 v15, v10, v3
	v_add_co_u32_e32 v16, vcc, v15, v12
	v_addc_co_u32_e32 v17, vcc, 0, v13, vcc
	v_mad_u64_u32 v[12:13], s[2:3], v11, v14, 0
	v_mad_u64_u32 v[14:15], s[2:3], v11, v3, 0
	v_add_co_u32_e32 v3, vcc, v16, v14
	v_addc_co_u32_e32 v3, vcc, v17, v15, vcc
	v_addc_co_u32_e32 v13, vcc, 0, v13, vcc
	v_add_co_u32_e32 v3, vcc, v3, v12
	v_addc_co_u32_e32 v14, vcc, 0, v13, vcc
	v_mul_lo_u32 v15, s55, v3
	v_mul_lo_u32 v16, s54, v14
	v_mad_u64_u32 v[12:13], s[2:3], s54, v3, 0
	v_add3_u32 v13, v13, v16, v15
	v_sub_u32_e32 v15, v11, v13
	v_mov_b32_e32 v16, s55
	v_sub_co_u32_e32 v12, vcc, v10, v12
	v_subb_co_u32_e64 v15, s[2:3], v15, v16, vcc
	v_subrev_co_u32_e64 v16, s[2:3], s54, v12
	v_subbrev_co_u32_e64 v15, s[2:3], 0, v15, s[2:3]
	v_cmp_le_u32_e64 s[2:3], s55, v15
	v_cndmask_b32_e64 v17, 0, -1, s[2:3]
	v_cmp_le_u32_e64 s[2:3], s54, v16
	v_cndmask_b32_e64 v16, 0, -1, s[2:3]
	v_cmp_eq_u32_e64 s[2:3], s55, v15
	v_cndmask_b32_e64 v15, v17, v16, s[2:3]
	v_add_co_u32_e64 v16, s[2:3], 2, v3
	v_addc_co_u32_e64 v17, s[2:3], 0, v14, s[2:3]
	v_add_co_u32_e64 v18, s[2:3], 1, v3
	v_addc_co_u32_e64 v19, s[2:3], 0, v14, s[2:3]
	v_subb_co_u32_e32 v13, vcc, v11, v13, vcc
	v_cmp_ne_u32_e64 s[2:3], 0, v15
	v_cmp_le_u32_e32 vcc, s55, v13
	v_cndmask_b32_e64 v15, v19, v17, s[2:3]
	v_cndmask_b32_e64 v17, 0, -1, vcc
	v_cmp_le_u32_e32 vcc, s54, v12
	v_cndmask_b32_e64 v12, 0, -1, vcc
	v_cmp_eq_u32_e32 vcc, s55, v13
	v_cndmask_b32_e32 v12, v17, v12, vcc
	v_cmp_ne_u32_e32 vcc, 0, v12
	v_cndmask_b32_e64 v12, v18, v16, s[2:3]
	v_cndmask_b32_e32 v13, v14, v15, vcc
	v_cndmask_b32_e32 v12, v3, v12, vcc
.LBB10_7:                               ;   in Loop: Header=BB10_5 Depth=2
	s_andn2_saveexec_b64 s[2:3], s[56:57]
	s_cbranch_execz .LBB10_9
; %bb.8:                                ;   in Loop: Header=BB10_5 Depth=2
	v_cvt_f32_u32_e32 v3, s54
	s_sub_i32 s56, 0, s54
	v_rcp_iflag_f32_e32 v3, v3
	v_mul_f32_e32 v3, 0x4f7ffffe, v3
	v_cvt_u32_f32_e32 v3, v3
	v_mul_lo_u32 v12, s56, v3
	v_mul_hi_u32 v12, v3, v12
	v_add_u32_e32 v3, v3, v12
	v_mul_hi_u32 v3, v10, v3
	v_mul_lo_u32 v12, v3, s54
	v_sub_u32_e32 v12, v10, v12
	v_add_u32_e32 v13, 1, v3
	v_subrev_u32_e32 v14, s54, v12
	v_cmp_le_u32_e32 vcc, s54, v12
	v_cndmask_b32_e32 v12, v12, v14, vcc
	v_cndmask_b32_e32 v3, v3, v13, vcc
	v_add_u32_e32 v13, 1, v3
	v_cmp_le_u32_e32 vcc, s54, v12
	v_cndmask_b32_e32 v12, v3, v13, vcc
	v_mov_b32_e32 v13, v2
.LBB10_9:                               ;   in Loop: Header=BB10_5 Depth=2
	s_or_b64 exec, exec, s[2:3]
	v_mad_u64_u32 v[14:15], s[2:3], v12, s54, 0
	s_load_dwordx2 s[2:3], s[52:53], 0xc8
	v_mul_lo_u32 v3, v13, s54
	v_mul_lo_u32 v16, v12, s55
	v_add3_u32 v3, v15, v16, v3
	v_sub_co_u32_e32 v10, vcc, v10, v14
	s_add_i32 s58, s58, -1
	v_subb_co_u32_e32 v3, vcc, v11, v3, vcc
	s_add_u32 s52, s52, -8
	s_waitcnt lgkmcnt(0)
	v_mul_lo_u32 v3, s2, v3
	v_mul_lo_u32 v11, s3, v10
	v_mad_u64_u32 v[8:9], s[2:3], s2, v10, v[8:9]
	s_addc_u32 s53, s53, -1
	s_cmp_gt_u32 s58, 2
	v_add3_u32 v9, v11, v9, v3
	s_cbranch_scc0 .LBB10_11
; %bb.10:                               ;   in Loop: Header=BB10_5 Depth=2
	v_pk_mov_b32 v[10:11], v[12:13], v[12:13] op_sel:[0,1]
	s_branch .LBB10_5
.LBB10_11:                              ;   in Loop: Header=BB10_3 Depth=1
	v_mad_u64_u32 v[8:9], s[2:3], s18, v12, v[8:9]
	v_mul_lo_u32 v3, s18, v13
	v_mul_lo_u32 v10, s19, v12
	v_add3_u32 v9, v10, v9, v3
.LBB10_12:                              ;   in Loop: Header=BB10_3 Depth=1
	s_or_b64 exec, exec, s[6:7]
	v_cndmask_b32_e64 v3, 0, 1, s[22:23]
	v_pk_mov_b32 v[10:11], 0, 0
	v_cmp_ne_u32_e64 s[2:3], 1, v3
	s_and_saveexec_b64 s[6:7], s[4:5]
	s_cbranch_execz .LBB10_21
; %bb.13:                               ;   in Loop: Header=BB10_3 Depth=1
	s_and_b64 vcc, exec, s[2:3]
	v_pk_mov_b32 v[10:11], 0, 0
	s_mov_b64 s[52:53], s[34:35]
	s_mov_b32 s58, s65
	v_pk_mov_b32 v[12:13], v[0:1], v[0:1] op_sel:[0,1]
	v_pk_mov_b32 v[14:15], v[0:1], v[0:1] op_sel:[0,1]
	s_cbranch_vccnz .LBB10_20
.LBB10_14:                              ;   Parent Loop BB10_3 Depth=1
                                        ; =>  This Inner Loop Header: Depth=2
	s_load_dwordx2 s[54:55], s[52:53], 0x0
                                        ; implicit-def: $vgpr14_vgpr15
	s_waitcnt lgkmcnt(0)
	v_or_b32_e32 v3, s55, v13
	v_cmp_ne_u64_e32 vcc, 0, v[2:3]
	s_and_saveexec_b64 s[4:5], vcc
	s_xor_b64 s[56:57], exec, s[4:5]
	s_cbranch_execz .LBB10_16
; %bb.15:                               ;   in Loop: Header=BB10_14 Depth=2
	v_cvt_f32_u32_e32 v3, s54
	v_cvt_f32_u32_e32 v14, s55
	s_sub_u32 s4, 0, s54
	s_subb_u32 s5, 0, s55
	v_mac_f32_e32 v3, 0x4f800000, v14
	v_rcp_f32_e32 v3, v3
	v_mul_f32_e32 v3, 0x5f7ffffc, v3
	v_mul_f32_e32 v14, 0x2f800000, v3
	v_trunc_f32_e32 v14, v14
	v_mac_f32_e32 v3, 0xcf800000, v14
	v_cvt_u32_f32_e32 v14, v14
	v_cvt_u32_f32_e32 v3, v3
	v_mul_lo_u32 v15, s4, v14
	v_mul_hi_u32 v17, s4, v3
	v_mul_lo_u32 v16, s5, v3
	v_add_u32_e32 v15, v17, v15
	v_mul_lo_u32 v18, s4, v3
	v_add_u32_e32 v15, v15, v16
	v_mul_hi_u32 v17, v3, v18
	v_mul_lo_u32 v19, v3, v15
	v_mul_hi_u32 v16, v3, v15
	v_add_co_u32_e32 v17, vcc, v17, v19
	v_addc_co_u32_e32 v16, vcc, 0, v16, vcc
	v_mul_hi_u32 v20, v14, v18
	v_mul_lo_u32 v18, v14, v18
	v_add_co_u32_e32 v17, vcc, v17, v18
	v_mul_hi_u32 v19, v14, v15
	v_addc_co_u32_e32 v16, vcc, v16, v20, vcc
	v_addc_co_u32_e32 v17, vcc, 0, v19, vcc
	v_mul_lo_u32 v15, v14, v15
	v_add_co_u32_e32 v15, vcc, v16, v15
	v_addc_co_u32_e32 v16, vcc, 0, v17, vcc
	v_add_co_u32_e32 v3, vcc, v3, v15
	v_addc_co_u32_e32 v14, vcc, v14, v16, vcc
	v_mul_lo_u32 v15, s4, v14
	v_mul_hi_u32 v16, s4, v3
	v_add_u32_e32 v15, v16, v15
	v_mul_lo_u32 v16, s5, v3
	v_add_u32_e32 v15, v15, v16
	v_mul_lo_u32 v17, s4, v3
	v_mul_hi_u32 v18, v14, v17
	v_mul_lo_u32 v19, v14, v17
	v_mul_lo_u32 v21, v3, v15
	v_mul_hi_u32 v17, v3, v17
	v_mul_hi_u32 v20, v3, v15
	v_add_co_u32_e32 v17, vcc, v17, v21
	v_addc_co_u32_e32 v20, vcc, 0, v20, vcc
	v_add_co_u32_e32 v17, vcc, v17, v19
	v_mul_hi_u32 v16, v14, v15
	v_addc_co_u32_e32 v17, vcc, v20, v18, vcc
	v_addc_co_u32_e32 v16, vcc, 0, v16, vcc
	v_mul_lo_u32 v15, v14, v15
	v_add_co_u32_e32 v15, vcc, v17, v15
	v_addc_co_u32_e32 v16, vcc, 0, v16, vcc
	v_add_co_u32_e32 v3, vcc, v3, v15
	v_addc_co_u32_e32 v16, vcc, v14, v16, vcc
	v_mad_u64_u32 v[14:15], s[4:5], v12, v16, 0
	v_mul_hi_u32 v17, v12, v3
	v_add_co_u32_e32 v18, vcc, v17, v14
	v_addc_co_u32_e32 v19, vcc, 0, v15, vcc
	v_mad_u64_u32 v[14:15], s[4:5], v13, v16, 0
	v_mad_u64_u32 v[16:17], s[4:5], v13, v3, 0
	v_add_co_u32_e32 v3, vcc, v18, v16
	v_addc_co_u32_e32 v3, vcc, v19, v17, vcc
	v_addc_co_u32_e32 v15, vcc, 0, v15, vcc
	v_add_co_u32_e32 v3, vcc, v3, v14
	v_addc_co_u32_e32 v16, vcc, 0, v15, vcc
	v_mul_lo_u32 v17, s55, v3
	v_mul_lo_u32 v18, s54, v16
	v_mad_u64_u32 v[14:15], s[4:5], s54, v3, 0
	v_add3_u32 v15, v15, v18, v17
	v_sub_u32_e32 v17, v13, v15
	v_mov_b32_e32 v18, s55
	v_sub_co_u32_e32 v14, vcc, v12, v14
	v_subb_co_u32_e64 v17, s[4:5], v17, v18, vcc
	v_subrev_co_u32_e64 v18, s[4:5], s54, v14
	v_subbrev_co_u32_e64 v17, s[4:5], 0, v17, s[4:5]
	v_cmp_le_u32_e64 s[4:5], s55, v17
	v_cndmask_b32_e64 v19, 0, -1, s[4:5]
	v_cmp_le_u32_e64 s[4:5], s54, v18
	v_cndmask_b32_e64 v18, 0, -1, s[4:5]
	v_cmp_eq_u32_e64 s[4:5], s55, v17
	v_cndmask_b32_e64 v17, v19, v18, s[4:5]
	v_add_co_u32_e64 v18, s[4:5], 2, v3
	v_addc_co_u32_e64 v19, s[4:5], 0, v16, s[4:5]
	v_add_co_u32_e64 v20, s[4:5], 1, v3
	v_addc_co_u32_e64 v21, s[4:5], 0, v16, s[4:5]
	v_subb_co_u32_e32 v15, vcc, v13, v15, vcc
	v_cmp_ne_u32_e64 s[4:5], 0, v17
	v_cmp_le_u32_e32 vcc, s55, v15
	v_cndmask_b32_e64 v17, v21, v19, s[4:5]
	v_cndmask_b32_e64 v19, 0, -1, vcc
	v_cmp_le_u32_e32 vcc, s54, v14
	v_cndmask_b32_e64 v14, 0, -1, vcc
	v_cmp_eq_u32_e32 vcc, s55, v15
	v_cndmask_b32_e32 v14, v19, v14, vcc
	v_cmp_ne_u32_e32 vcc, 0, v14
	v_cndmask_b32_e64 v14, v20, v18, s[4:5]
	v_cndmask_b32_e32 v15, v16, v17, vcc
	v_cndmask_b32_e32 v14, v3, v14, vcc
.LBB10_16:                              ;   in Loop: Header=BB10_14 Depth=2
	s_andn2_saveexec_b64 s[4:5], s[56:57]
	s_cbranch_execz .LBB10_18
; %bb.17:                               ;   in Loop: Header=BB10_14 Depth=2
	v_cvt_f32_u32_e32 v3, s54
	s_sub_i32 s56, 0, s54
	v_rcp_iflag_f32_e32 v3, v3
	v_mul_f32_e32 v3, 0x4f7ffffe, v3
	v_cvt_u32_f32_e32 v3, v3
	v_mul_lo_u32 v14, s56, v3
	v_mul_hi_u32 v14, v3, v14
	v_add_u32_e32 v3, v3, v14
	v_mul_hi_u32 v3, v12, v3
	v_mul_lo_u32 v14, v3, s54
	v_sub_u32_e32 v14, v12, v14
	v_add_u32_e32 v15, 1, v3
	v_subrev_u32_e32 v16, s54, v14
	v_cmp_le_u32_e32 vcc, s54, v14
	v_cndmask_b32_e32 v14, v14, v16, vcc
	v_cndmask_b32_e32 v3, v3, v15, vcc
	v_add_u32_e32 v15, 1, v3
	v_cmp_le_u32_e32 vcc, s54, v14
	v_cndmask_b32_e32 v14, v3, v15, vcc
	v_mov_b32_e32 v15, v2
.LBB10_18:                              ;   in Loop: Header=BB10_14 Depth=2
	s_or_b64 exec, exec, s[4:5]
	v_mad_u64_u32 v[16:17], s[4:5], v14, s54, 0
	s_load_dwordx2 s[4:5], s[52:53], 0xc8
	v_mul_lo_u32 v3, v15, s54
	v_mul_lo_u32 v18, v14, s55
	v_add3_u32 v3, v17, v18, v3
	v_sub_co_u32_e32 v12, vcc, v12, v16
	s_add_i32 s58, s58, -1
	v_subb_co_u32_e32 v3, vcc, v13, v3, vcc
	s_add_u32 s52, s52, -8
	s_waitcnt lgkmcnt(0)
	v_mul_lo_u32 v3, s4, v3
	v_mul_lo_u32 v13, s5, v12
	v_mad_u64_u32 v[10:11], s[4:5], s4, v12, v[10:11]
	s_addc_u32 s53, s53, -1
	s_cmp_gt_u32 s58, 2
	v_add3_u32 v11, v13, v11, v3
	s_cbranch_scc0 .LBB10_20
; %bb.19:                               ;   in Loop: Header=BB10_14 Depth=2
	v_pk_mov_b32 v[12:13], v[14:15], v[14:15] op_sel:[0,1]
	s_branch .LBB10_14
.LBB10_20:                              ;   in Loop: Header=BB10_3 Depth=1
	v_mad_u64_u32 v[10:11], s[4:5], s20, v14, v[10:11]
	v_mul_lo_u32 v3, s20, v15
	v_mul_lo_u32 v12, s21, v14
	v_add3_u32 v11, v12, v11, v3
.LBB10_21:                              ;   in Loop: Header=BB10_3 Depth=1
	s_or_b64 exec, exec, s[6:7]
	v_or_b32_e32 v16, 1, v0
	v_mov_b32_e32 v17, v1
	v_cmp_lt_i32_e64 s[4:5], 1, v41
	v_pk_mov_b32 v[12:13], 0, 0
	s_and_saveexec_b64 s[52:53], s[4:5]
	s_cbranch_execz .LBB10_30
; %bb.22:                               ;   in Loop: Header=BB10_3 Depth=1
	s_and_b64 vcc, exec, s[0:1]
	v_pk_mov_b32 v[12:13], 0, 0
	s_mov_b64 s[54:55], s[30:31]
	s_mov_b32 s60, s64
	v_pk_mov_b32 v[14:15], v[16:17], v[16:17] op_sel:[0,1]
	v_pk_mov_b32 v[18:19], v[16:17], v[16:17] op_sel:[0,1]
	s_cbranch_vccnz .LBB10_29
.LBB10_23:                              ;   Parent Loop BB10_3 Depth=1
                                        ; =>  This Inner Loop Header: Depth=2
	s_load_dwordx2 s[56:57], s[54:55], 0x0
                                        ; implicit-def: $vgpr18_vgpr19
	s_waitcnt lgkmcnt(0)
	v_or_b32_e32 v3, s57, v15
	v_cmp_ne_u64_e32 vcc, 0, v[2:3]
	s_and_saveexec_b64 s[6:7], vcc
	s_xor_b64 s[58:59], exec, s[6:7]
	s_cbranch_execz .LBB10_25
; %bb.24:                               ;   in Loop: Header=BB10_23 Depth=2
	v_cvt_f32_u32_e32 v3, s56
	v_cvt_f32_u32_e32 v18, s57
	s_sub_u32 s6, 0, s56
	s_subb_u32 s7, 0, s57
	v_mac_f32_e32 v3, 0x4f800000, v18
	v_rcp_f32_e32 v3, v3
	v_mul_f32_e32 v3, 0x5f7ffffc, v3
	v_mul_f32_e32 v18, 0x2f800000, v3
	v_trunc_f32_e32 v18, v18
	v_mac_f32_e32 v3, 0xcf800000, v18
	v_cvt_u32_f32_e32 v18, v18
	v_cvt_u32_f32_e32 v3, v3
	v_mul_lo_u32 v19, s6, v18
	v_mul_hi_u32 v21, s6, v3
	v_mul_lo_u32 v20, s7, v3
	v_add_u32_e32 v19, v21, v19
	v_mul_lo_u32 v22, s6, v3
	v_add_u32_e32 v19, v19, v20
	v_mul_hi_u32 v21, v3, v22
	v_mul_lo_u32 v23, v3, v19
	v_mul_hi_u32 v20, v3, v19
	v_add_co_u32_e32 v21, vcc, v21, v23
	v_addc_co_u32_e32 v20, vcc, 0, v20, vcc
	s_waitcnt vmcnt(0)
	v_mul_hi_u32 v24, v18, v22
	v_mul_lo_u32 v22, v18, v22
	v_add_co_u32_e32 v21, vcc, v21, v22
	v_mul_hi_u32 v23, v18, v19
	v_addc_co_u32_e32 v20, vcc, v20, v24, vcc
	v_addc_co_u32_e32 v21, vcc, 0, v23, vcc
	v_mul_lo_u32 v19, v18, v19
	v_add_co_u32_e32 v19, vcc, v20, v19
	v_addc_co_u32_e32 v20, vcc, 0, v21, vcc
	v_add_co_u32_e32 v3, vcc, v3, v19
	v_addc_co_u32_e32 v18, vcc, v18, v20, vcc
	v_mul_lo_u32 v19, s6, v18
	v_mul_hi_u32 v20, s6, v3
	v_add_u32_e32 v19, v20, v19
	v_mul_lo_u32 v20, s7, v3
	v_add_u32_e32 v19, v19, v20
	v_mul_lo_u32 v21, s6, v3
	v_mul_hi_u32 v22, v18, v21
	v_mul_lo_u32 v23, v18, v21
	v_mul_lo_u32 v25, v3, v19
	v_mul_hi_u32 v21, v3, v21
	v_mul_hi_u32 v24, v3, v19
	v_add_co_u32_e32 v21, vcc, v21, v25
	v_addc_co_u32_e32 v24, vcc, 0, v24, vcc
	v_add_co_u32_e32 v21, vcc, v21, v23
	v_mul_hi_u32 v20, v18, v19
	v_addc_co_u32_e32 v21, vcc, v24, v22, vcc
	v_addc_co_u32_e32 v20, vcc, 0, v20, vcc
	v_mul_lo_u32 v19, v18, v19
	v_add_co_u32_e32 v19, vcc, v21, v19
	v_addc_co_u32_e32 v20, vcc, 0, v20, vcc
	v_add_co_u32_e32 v3, vcc, v3, v19
	v_addc_co_u32_e32 v20, vcc, v18, v20, vcc
	v_mad_u64_u32 v[18:19], s[6:7], v14, v20, 0
	v_mul_hi_u32 v21, v14, v3
	v_add_co_u32_e32 v22, vcc, v21, v18
	v_addc_co_u32_e32 v23, vcc, 0, v19, vcc
	v_mad_u64_u32 v[18:19], s[6:7], v15, v20, 0
	v_mad_u64_u32 v[20:21], s[6:7], v15, v3, 0
	v_add_co_u32_e32 v3, vcc, v22, v20
	v_addc_co_u32_e32 v3, vcc, v23, v21, vcc
	v_addc_co_u32_e32 v19, vcc, 0, v19, vcc
	v_add_co_u32_e32 v3, vcc, v3, v18
	v_addc_co_u32_e32 v20, vcc, 0, v19, vcc
	v_mul_lo_u32 v21, s57, v3
	v_mul_lo_u32 v22, s56, v20
	v_mad_u64_u32 v[18:19], s[6:7], s56, v3, 0
	v_add3_u32 v19, v19, v22, v21
	v_sub_u32_e32 v21, v15, v19
	v_mov_b32_e32 v22, s57
	v_sub_co_u32_e32 v18, vcc, v14, v18
	v_subb_co_u32_e64 v21, s[6:7], v21, v22, vcc
	v_subrev_co_u32_e64 v22, s[6:7], s56, v18
	v_subbrev_co_u32_e64 v21, s[6:7], 0, v21, s[6:7]
	v_cmp_le_u32_e64 s[6:7], s57, v21
	v_cndmask_b32_e64 v23, 0, -1, s[6:7]
	v_cmp_le_u32_e64 s[6:7], s56, v22
	v_cndmask_b32_e64 v22, 0, -1, s[6:7]
	v_cmp_eq_u32_e64 s[6:7], s57, v21
	v_cndmask_b32_e64 v21, v23, v22, s[6:7]
	v_add_co_u32_e64 v22, s[6:7], 2, v3
	v_addc_co_u32_e64 v23, s[6:7], 0, v20, s[6:7]
	v_add_co_u32_e64 v24, s[6:7], 1, v3
	v_addc_co_u32_e64 v25, s[6:7], 0, v20, s[6:7]
	v_subb_co_u32_e32 v19, vcc, v15, v19, vcc
	v_cmp_ne_u32_e64 s[6:7], 0, v21
	v_cmp_le_u32_e32 vcc, s57, v19
	v_cndmask_b32_e64 v21, v25, v23, s[6:7]
	v_cndmask_b32_e64 v23, 0, -1, vcc
	v_cmp_le_u32_e32 vcc, s56, v18
	v_cndmask_b32_e64 v18, 0, -1, vcc
	v_cmp_eq_u32_e32 vcc, s57, v19
	v_cndmask_b32_e32 v18, v23, v18, vcc
	v_cmp_ne_u32_e32 vcc, 0, v18
	v_cndmask_b32_e64 v18, v24, v22, s[6:7]
	v_cndmask_b32_e32 v19, v20, v21, vcc
	v_cndmask_b32_e32 v18, v3, v18, vcc
.LBB10_25:                              ;   in Loop: Header=BB10_23 Depth=2
	s_andn2_saveexec_b64 s[6:7], s[58:59]
	s_cbranch_execz .LBB10_27
; %bb.26:                               ;   in Loop: Header=BB10_23 Depth=2
	v_cvt_f32_u32_e32 v3, s56
	s_sub_i32 s58, 0, s56
	v_rcp_iflag_f32_e32 v3, v3
	v_mul_f32_e32 v3, 0x4f7ffffe, v3
	v_cvt_u32_f32_e32 v3, v3
	v_mul_lo_u32 v18, s58, v3
	v_mul_hi_u32 v18, v3, v18
	v_add_u32_e32 v3, v3, v18
	v_mul_hi_u32 v3, v14, v3
	v_mul_lo_u32 v18, v3, s56
	v_sub_u32_e32 v18, v14, v18
	v_add_u32_e32 v19, 1, v3
	v_subrev_u32_e32 v20, s56, v18
	v_cmp_le_u32_e32 vcc, s56, v18
	v_cndmask_b32_e32 v18, v18, v20, vcc
	v_cndmask_b32_e32 v3, v3, v19, vcc
	v_add_u32_e32 v19, 1, v3
	v_cmp_le_u32_e32 vcc, s56, v18
	v_cndmask_b32_e32 v18, v3, v19, vcc
	v_mov_b32_e32 v19, v2
.LBB10_27:                              ;   in Loop: Header=BB10_23 Depth=2
	s_or_b64 exec, exec, s[6:7]
	v_mad_u64_u32 v[20:21], s[6:7], v18, s56, 0
	s_load_dwordx2 s[6:7], s[54:55], 0xc8
	v_mul_lo_u32 v3, v19, s56
	v_mul_lo_u32 v22, v18, s57
	v_add3_u32 v3, v21, v22, v3
	v_sub_co_u32_e32 v14, vcc, v14, v20
	s_add_i32 s60, s60, -1
	v_subb_co_u32_e32 v3, vcc, v15, v3, vcc
	s_add_u32 s54, s54, -8
	s_waitcnt lgkmcnt(0)
	v_mul_lo_u32 v3, s6, v3
	v_mul_lo_u32 v15, s7, v14
	v_mad_u64_u32 v[12:13], s[6:7], s6, v14, v[12:13]
	s_addc_u32 s55, s55, -1
	s_cmp_gt_u32 s60, 2
	v_add3_u32 v13, v15, v13, v3
	s_cbranch_scc0 .LBB10_29
; %bb.28:                               ;   in Loop: Header=BB10_23 Depth=2
	v_pk_mov_b32 v[14:15], v[18:19], v[18:19] op_sel:[0,1]
	s_branch .LBB10_23
.LBB10_29:                              ;   in Loop: Header=BB10_3 Depth=1
	v_mad_u64_u32 v[12:13], s[6:7], s18, v18, v[12:13]
	v_mul_lo_u32 v3, s18, v19
	v_mul_lo_u32 v14, s19, v18
	v_add3_u32 v13, v14, v13, v3
.LBB10_30:                              ;   in Loop: Header=BB10_3 Depth=1
	s_or_b64 exec, exec, s[52:53]
	v_pk_mov_b32 v[14:15], 0, 0
	s_and_saveexec_b64 s[6:7], s[4:5]
	s_cbranch_execz .LBB10_33
; %bb.31:                               ;   in Loop: Header=BB10_3 Depth=1
	s_and_b64 vcc, exec, s[2:3]
	v_pk_mov_b32 v[14:15], 0, 0
	s_mov_b64 s[52:53], s[34:35]
	s_mov_b32 s58, s65
	s_cbranch_vccz .LBB10_42
.LBB10_32:                              ;   in Loop: Header=BB10_3 Depth=1
	v_mad_u64_u32 v[14:15], s[4:5], s20, v16, v[14:15]
	v_mul_lo_u32 v3, s20, v17
	v_mul_lo_u32 v16, s21, v16
	v_add3_u32 v15, v16, v15, v3
.LBB10_33:                              ;   in Loop: Header=BB10_3 Depth=1
	s_or_b64 exec, exec, s[6:7]
	v_or_b32_e32 v20, 2, v0
	v_mov_b32_e32 v21, v1
	v_cmp_lt_i32_e64 s[4:5], 2, v41
	v_pk_mov_b32 v[16:17], 0, 0
	s_and_saveexec_b64 s[52:53], s[4:5]
	s_cbranch_execz .LBB10_47
; %bb.34:                               ;   in Loop: Header=BB10_3 Depth=1
	s_and_b64 vcc, exec, s[0:1]
	v_pk_mov_b32 v[16:17], 0, 0
	s_mov_b64 s[54:55], s[30:31]
	s_mov_b32 s60, s64
	v_pk_mov_b32 v[18:19], v[20:21], v[20:21] op_sel:[0,1]
	v_pk_mov_b32 v[22:23], v[20:21], v[20:21] op_sel:[0,1]
	s_cbranch_vccnz .LBB10_46
.LBB10_35:                              ;   Parent Loop BB10_3 Depth=1
                                        ; =>  This Inner Loop Header: Depth=2
	s_load_dwordx2 s[56:57], s[54:55], 0x0
                                        ; implicit-def: $vgpr22_vgpr23
	s_waitcnt lgkmcnt(0)
	v_or_b32_e32 v3, s57, v19
	v_cmp_ne_u64_e32 vcc, 0, v[2:3]
	s_and_saveexec_b64 s[6:7], vcc
	s_xor_b64 s[58:59], exec, s[6:7]
	s_cbranch_execz .LBB10_37
; %bb.36:                               ;   in Loop: Header=BB10_35 Depth=2
	v_cvt_f32_u32_e32 v3, s56
	v_cvt_f32_u32_e32 v22, s57
	s_sub_u32 s6, 0, s56
	s_subb_u32 s7, 0, s57
	v_mac_f32_e32 v3, 0x4f800000, v22
	v_rcp_f32_e32 v3, v3
	v_mul_f32_e32 v3, 0x5f7ffffc, v3
	v_mul_f32_e32 v22, 0x2f800000, v3
	v_trunc_f32_e32 v22, v22
	v_mac_f32_e32 v3, 0xcf800000, v22
	v_cvt_u32_f32_e32 v22, v22
	v_cvt_u32_f32_e32 v3, v3
	v_mul_lo_u32 v23, s6, v22
	s_waitcnt vmcnt(0)
	v_mul_hi_u32 v25, s6, v3
	v_mul_lo_u32 v24, s7, v3
	v_add_u32_e32 v23, v25, v23
	v_mul_lo_u32 v26, s6, v3
	v_add_u32_e32 v23, v23, v24
	v_mul_hi_u32 v25, v3, v26
	v_mul_lo_u32 v27, v3, v23
	v_mul_hi_u32 v24, v3, v23
	v_add_co_u32_e32 v25, vcc, v25, v27
	v_addc_co_u32_e32 v24, vcc, 0, v24, vcc
	v_mul_hi_u32 v28, v22, v26
	v_mul_lo_u32 v26, v22, v26
	v_add_co_u32_e32 v25, vcc, v25, v26
	v_mul_hi_u32 v27, v22, v23
	v_addc_co_u32_e32 v24, vcc, v24, v28, vcc
	v_addc_co_u32_e32 v25, vcc, 0, v27, vcc
	v_mul_lo_u32 v23, v22, v23
	v_add_co_u32_e32 v23, vcc, v24, v23
	v_addc_co_u32_e32 v24, vcc, 0, v25, vcc
	v_add_co_u32_e32 v3, vcc, v3, v23
	v_addc_co_u32_e32 v22, vcc, v22, v24, vcc
	v_mul_lo_u32 v23, s6, v22
	v_mul_hi_u32 v24, s6, v3
	v_add_u32_e32 v23, v24, v23
	v_mul_lo_u32 v24, s7, v3
	v_add_u32_e32 v23, v23, v24
	v_mul_lo_u32 v25, s6, v3
	v_mul_hi_u32 v26, v22, v25
	v_mul_lo_u32 v27, v22, v25
	v_mul_lo_u32 v29, v3, v23
	v_mul_hi_u32 v25, v3, v25
	v_mul_hi_u32 v28, v3, v23
	v_add_co_u32_e32 v25, vcc, v25, v29
	v_addc_co_u32_e32 v28, vcc, 0, v28, vcc
	v_add_co_u32_e32 v25, vcc, v25, v27
	v_mul_hi_u32 v24, v22, v23
	v_addc_co_u32_e32 v25, vcc, v28, v26, vcc
	v_addc_co_u32_e32 v24, vcc, 0, v24, vcc
	v_mul_lo_u32 v23, v22, v23
	v_add_co_u32_e32 v23, vcc, v25, v23
	v_addc_co_u32_e32 v24, vcc, 0, v24, vcc
	v_add_co_u32_e32 v3, vcc, v3, v23
	v_addc_co_u32_e32 v24, vcc, v22, v24, vcc
	v_mad_u64_u32 v[22:23], s[6:7], v18, v24, 0
	v_mul_hi_u32 v25, v18, v3
	v_add_co_u32_e32 v26, vcc, v25, v22
	v_addc_co_u32_e32 v27, vcc, 0, v23, vcc
	v_mad_u64_u32 v[22:23], s[6:7], v19, v24, 0
	v_mad_u64_u32 v[24:25], s[6:7], v19, v3, 0
	v_add_co_u32_e32 v3, vcc, v26, v24
	v_addc_co_u32_e32 v3, vcc, v27, v25, vcc
	v_addc_co_u32_e32 v23, vcc, 0, v23, vcc
	v_add_co_u32_e32 v3, vcc, v3, v22
	v_addc_co_u32_e32 v24, vcc, 0, v23, vcc
	v_mul_lo_u32 v25, s57, v3
	v_mul_lo_u32 v26, s56, v24
	v_mad_u64_u32 v[22:23], s[6:7], s56, v3, 0
	v_add3_u32 v23, v23, v26, v25
	v_sub_u32_e32 v25, v19, v23
	v_mov_b32_e32 v26, s57
	v_sub_co_u32_e32 v22, vcc, v18, v22
	v_subb_co_u32_e64 v25, s[6:7], v25, v26, vcc
	v_subrev_co_u32_e64 v26, s[6:7], s56, v22
	v_subbrev_co_u32_e64 v25, s[6:7], 0, v25, s[6:7]
	v_cmp_le_u32_e64 s[6:7], s57, v25
	v_cndmask_b32_e64 v27, 0, -1, s[6:7]
	v_cmp_le_u32_e64 s[6:7], s56, v26
	v_cndmask_b32_e64 v26, 0, -1, s[6:7]
	v_cmp_eq_u32_e64 s[6:7], s57, v25
	v_cndmask_b32_e64 v25, v27, v26, s[6:7]
	v_add_co_u32_e64 v26, s[6:7], 2, v3
	v_addc_co_u32_e64 v27, s[6:7], 0, v24, s[6:7]
	v_add_co_u32_e64 v28, s[6:7], 1, v3
	v_addc_co_u32_e64 v29, s[6:7], 0, v24, s[6:7]
	v_subb_co_u32_e32 v23, vcc, v19, v23, vcc
	v_cmp_ne_u32_e64 s[6:7], 0, v25
	v_cmp_le_u32_e32 vcc, s57, v23
	v_cndmask_b32_e64 v25, v29, v27, s[6:7]
	v_cndmask_b32_e64 v27, 0, -1, vcc
	v_cmp_le_u32_e32 vcc, s56, v22
	v_cndmask_b32_e64 v22, 0, -1, vcc
	v_cmp_eq_u32_e32 vcc, s57, v23
	v_cndmask_b32_e32 v22, v27, v22, vcc
	v_cmp_ne_u32_e32 vcc, 0, v22
	v_cndmask_b32_e64 v22, v28, v26, s[6:7]
	v_cndmask_b32_e32 v23, v24, v25, vcc
	v_cndmask_b32_e32 v22, v3, v22, vcc
.LBB10_37:                              ;   in Loop: Header=BB10_35 Depth=2
	s_andn2_saveexec_b64 s[6:7], s[58:59]
	s_cbranch_execz .LBB10_39
; %bb.38:                               ;   in Loop: Header=BB10_35 Depth=2
	v_cvt_f32_u32_e32 v3, s56
	s_sub_i32 s58, 0, s56
	v_rcp_iflag_f32_e32 v3, v3
	v_mul_f32_e32 v3, 0x4f7ffffe, v3
	v_cvt_u32_f32_e32 v3, v3
	v_mul_lo_u32 v22, s58, v3
	v_mul_hi_u32 v22, v3, v22
	v_add_u32_e32 v3, v3, v22
	v_mul_hi_u32 v3, v18, v3
	v_mul_lo_u32 v22, v3, s56
	v_sub_u32_e32 v22, v18, v22
	v_add_u32_e32 v23, 1, v3
	s_waitcnt vmcnt(0)
	v_subrev_u32_e32 v24, s56, v22
	v_cmp_le_u32_e32 vcc, s56, v22
	v_cndmask_b32_e32 v22, v22, v24, vcc
	v_cndmask_b32_e32 v3, v3, v23, vcc
	v_add_u32_e32 v23, 1, v3
	v_cmp_le_u32_e32 vcc, s56, v22
	v_cndmask_b32_e32 v22, v3, v23, vcc
	v_mov_b32_e32 v23, v2
.LBB10_39:                              ;   in Loop: Header=BB10_35 Depth=2
	s_or_b64 exec, exec, s[6:7]
	s_waitcnt vmcnt(0)
	v_mad_u64_u32 v[24:25], s[6:7], v22, s56, 0
	s_load_dwordx2 s[6:7], s[54:55], 0xc8
	v_mul_lo_u32 v3, v23, s56
	v_mul_lo_u32 v26, v22, s57
	v_add3_u32 v3, v25, v26, v3
	v_sub_co_u32_e32 v18, vcc, v18, v24
	s_add_i32 s60, s60, -1
	v_subb_co_u32_e32 v3, vcc, v19, v3, vcc
	s_add_u32 s54, s54, -8
	s_waitcnt lgkmcnt(0)
	v_mul_lo_u32 v3, s6, v3
	v_mul_lo_u32 v19, s7, v18
	v_mad_u64_u32 v[16:17], s[6:7], s6, v18, v[16:17]
	s_addc_u32 s55, s55, -1
	s_cmp_gt_u32 s60, 2
	v_add3_u32 v17, v19, v17, v3
	s_cbranch_scc0 .LBB10_46
; %bb.40:                               ;   in Loop: Header=BB10_35 Depth=2
	v_pk_mov_b32 v[18:19], v[22:23], v[22:23] op_sel:[0,1]
	s_branch .LBB10_35
.LBB10_41:                              ;   in Loop: Header=BB10_42 Depth=2
	s_or_b64 exec, exec, s[4:5]
	v_mad_u64_u32 v[20:21], s[4:5], v18, s54, 0
	s_load_dwordx2 s[4:5], s[52:53], 0xc8
	v_mul_lo_u32 v3, v19, s54
	v_mul_lo_u32 v22, v18, s55
	v_add3_u32 v3, v21, v22, v3
	v_sub_co_u32_e32 v16, vcc, v16, v20
	s_add_i32 s58, s58, -1
	v_subb_co_u32_e32 v3, vcc, v17, v3, vcc
	s_add_u32 s52, s52, -8
	s_waitcnt lgkmcnt(0)
	v_mul_lo_u32 v3, s4, v3
	v_mul_lo_u32 v17, s5, v16
	v_mad_u64_u32 v[14:15], s[4:5], s4, v16, v[14:15]
	s_addc_u32 s53, s53, -1
	s_cmp_gt_u32 s58, 2
	v_add3_u32 v15, v17, v15, v3
	v_pk_mov_b32 v[16:17], v[18:19], v[18:19] op_sel:[0,1]
	s_cbranch_scc0 .LBB10_32
.LBB10_42:                              ;   Parent Loop BB10_3 Depth=1
                                        ; =>  This Inner Loop Header: Depth=2
	s_load_dwordx2 s[54:55], s[52:53], 0x0
                                        ; implicit-def: $vgpr18_vgpr19
	s_waitcnt lgkmcnt(0)
	v_or_b32_e32 v3, s55, v17
	v_cmp_ne_u64_e32 vcc, 0, v[2:3]
	s_and_saveexec_b64 s[4:5], vcc
	s_xor_b64 s[56:57], exec, s[4:5]
	s_cbranch_execz .LBB10_44
; %bb.43:                               ;   in Loop: Header=BB10_42 Depth=2
	v_cvt_f32_u32_e32 v3, s54
	v_cvt_f32_u32_e32 v18, s55
	s_sub_u32 s4, 0, s54
	s_subb_u32 s5, 0, s55
	v_mac_f32_e32 v3, 0x4f800000, v18
	v_rcp_f32_e32 v3, v3
	v_mul_f32_e32 v3, 0x5f7ffffc, v3
	v_mul_f32_e32 v18, 0x2f800000, v3
	v_trunc_f32_e32 v18, v18
	v_mac_f32_e32 v3, 0xcf800000, v18
	v_cvt_u32_f32_e32 v18, v18
	v_cvt_u32_f32_e32 v3, v3
	v_mul_lo_u32 v19, s4, v18
	v_mul_hi_u32 v21, s4, v3
	v_mul_lo_u32 v20, s5, v3
	v_add_u32_e32 v19, v21, v19
	v_mul_lo_u32 v22, s4, v3
	v_add_u32_e32 v19, v19, v20
	v_mul_hi_u32 v21, v3, v22
	v_mul_lo_u32 v23, v3, v19
	v_mul_hi_u32 v20, v3, v19
	v_add_co_u32_e32 v21, vcc, v21, v23
	v_addc_co_u32_e32 v20, vcc, 0, v20, vcc
	s_waitcnt vmcnt(0)
	v_mul_hi_u32 v24, v18, v22
	v_mul_lo_u32 v22, v18, v22
	v_add_co_u32_e32 v21, vcc, v21, v22
	v_mul_hi_u32 v23, v18, v19
	v_addc_co_u32_e32 v20, vcc, v20, v24, vcc
	v_addc_co_u32_e32 v21, vcc, 0, v23, vcc
	v_mul_lo_u32 v19, v18, v19
	v_add_co_u32_e32 v19, vcc, v20, v19
	v_addc_co_u32_e32 v20, vcc, 0, v21, vcc
	v_add_co_u32_e32 v3, vcc, v3, v19
	v_addc_co_u32_e32 v18, vcc, v18, v20, vcc
	v_mul_lo_u32 v19, s4, v18
	v_mul_hi_u32 v20, s4, v3
	v_add_u32_e32 v19, v20, v19
	v_mul_lo_u32 v20, s5, v3
	v_add_u32_e32 v19, v19, v20
	v_mul_lo_u32 v21, s4, v3
	v_mul_hi_u32 v22, v18, v21
	v_mul_lo_u32 v23, v18, v21
	v_mul_lo_u32 v25, v3, v19
	v_mul_hi_u32 v21, v3, v21
	v_mul_hi_u32 v24, v3, v19
	v_add_co_u32_e32 v21, vcc, v21, v25
	v_addc_co_u32_e32 v24, vcc, 0, v24, vcc
	v_add_co_u32_e32 v21, vcc, v21, v23
	v_mul_hi_u32 v20, v18, v19
	v_addc_co_u32_e32 v21, vcc, v24, v22, vcc
	v_addc_co_u32_e32 v20, vcc, 0, v20, vcc
	v_mul_lo_u32 v19, v18, v19
	v_add_co_u32_e32 v19, vcc, v21, v19
	v_addc_co_u32_e32 v20, vcc, 0, v20, vcc
	v_add_co_u32_e32 v3, vcc, v3, v19
	v_addc_co_u32_e32 v20, vcc, v18, v20, vcc
	v_mad_u64_u32 v[18:19], s[4:5], v16, v20, 0
	v_mul_hi_u32 v21, v16, v3
	v_add_co_u32_e32 v22, vcc, v21, v18
	v_addc_co_u32_e32 v23, vcc, 0, v19, vcc
	v_mad_u64_u32 v[18:19], s[4:5], v17, v20, 0
	v_mad_u64_u32 v[20:21], s[4:5], v17, v3, 0
	v_add_co_u32_e32 v3, vcc, v22, v20
	v_addc_co_u32_e32 v3, vcc, v23, v21, vcc
	v_addc_co_u32_e32 v19, vcc, 0, v19, vcc
	v_add_co_u32_e32 v3, vcc, v3, v18
	v_addc_co_u32_e32 v20, vcc, 0, v19, vcc
	v_mul_lo_u32 v21, s55, v3
	v_mul_lo_u32 v22, s54, v20
	v_mad_u64_u32 v[18:19], s[4:5], s54, v3, 0
	v_add3_u32 v19, v19, v22, v21
	v_sub_u32_e32 v21, v17, v19
	v_mov_b32_e32 v22, s55
	v_sub_co_u32_e32 v18, vcc, v16, v18
	v_subb_co_u32_e64 v21, s[4:5], v21, v22, vcc
	v_subrev_co_u32_e64 v22, s[4:5], s54, v18
	v_subbrev_co_u32_e64 v21, s[4:5], 0, v21, s[4:5]
	v_cmp_le_u32_e64 s[4:5], s55, v21
	v_cndmask_b32_e64 v23, 0, -1, s[4:5]
	v_cmp_le_u32_e64 s[4:5], s54, v22
	v_cndmask_b32_e64 v22, 0, -1, s[4:5]
	v_cmp_eq_u32_e64 s[4:5], s55, v21
	v_cndmask_b32_e64 v21, v23, v22, s[4:5]
	v_add_co_u32_e64 v22, s[4:5], 2, v3
	v_addc_co_u32_e64 v23, s[4:5], 0, v20, s[4:5]
	v_add_co_u32_e64 v24, s[4:5], 1, v3
	v_addc_co_u32_e64 v25, s[4:5], 0, v20, s[4:5]
	v_subb_co_u32_e32 v19, vcc, v17, v19, vcc
	v_cmp_ne_u32_e64 s[4:5], 0, v21
	v_cmp_le_u32_e32 vcc, s55, v19
	v_cndmask_b32_e64 v21, v25, v23, s[4:5]
	v_cndmask_b32_e64 v23, 0, -1, vcc
	v_cmp_le_u32_e32 vcc, s54, v18
	v_cndmask_b32_e64 v18, 0, -1, vcc
	v_cmp_eq_u32_e32 vcc, s55, v19
	v_cndmask_b32_e32 v18, v23, v18, vcc
	v_cmp_ne_u32_e32 vcc, 0, v18
	v_cndmask_b32_e64 v18, v24, v22, s[4:5]
	v_cndmask_b32_e32 v19, v20, v21, vcc
	v_cndmask_b32_e32 v18, v3, v18, vcc
.LBB10_44:                              ;   in Loop: Header=BB10_42 Depth=2
	s_andn2_saveexec_b64 s[4:5], s[56:57]
	s_cbranch_execz .LBB10_41
; %bb.45:                               ;   in Loop: Header=BB10_42 Depth=2
	v_cvt_f32_u32_e32 v3, s54
	s_sub_i32 s56, 0, s54
	v_rcp_iflag_f32_e32 v3, v3
	v_mul_f32_e32 v3, 0x4f7ffffe, v3
	v_cvt_u32_f32_e32 v3, v3
	v_mul_lo_u32 v18, s56, v3
	v_mul_hi_u32 v18, v3, v18
	v_add_u32_e32 v3, v3, v18
	v_mul_hi_u32 v3, v16, v3
	v_mul_lo_u32 v18, v3, s54
	v_sub_u32_e32 v18, v16, v18
	v_add_u32_e32 v19, 1, v3
	v_subrev_u32_e32 v20, s54, v18
	v_cmp_le_u32_e32 vcc, s54, v18
	v_cndmask_b32_e32 v18, v18, v20, vcc
	v_cndmask_b32_e32 v3, v3, v19, vcc
	v_add_u32_e32 v19, 1, v3
	v_cmp_le_u32_e32 vcc, s54, v18
	v_cndmask_b32_e32 v18, v3, v19, vcc
	v_mov_b32_e32 v19, v2
	s_branch .LBB10_41
.LBB10_46:                              ;   in Loop: Header=BB10_3 Depth=1
	v_mad_u64_u32 v[16:17], s[6:7], s18, v22, v[16:17]
	v_mul_lo_u32 v3, s18, v23
	v_mul_lo_u32 v18, s19, v22
	v_add3_u32 v17, v18, v17, v3
.LBB10_47:                              ;   in Loop: Header=BB10_3 Depth=1
	s_or_b64 exec, exec, s[52:53]
	v_pk_mov_b32 v[18:19], 0, 0
	s_and_saveexec_b64 s[6:7], s[4:5]
	s_cbranch_execz .LBB10_50
; %bb.48:                               ;   in Loop: Header=BB10_3 Depth=1
	s_and_b64 vcc, exec, s[2:3]
	v_pk_mov_b32 v[18:19], 0, 0
	s_mov_b64 s[52:53], s[34:35]
	s_mov_b32 s58, s65
	s_cbranch_vccz .LBB10_59
.LBB10_49:                              ;   in Loop: Header=BB10_3 Depth=1
	v_mad_u64_u32 v[18:19], s[4:5], s20, v20, v[18:19]
	v_mul_lo_u32 v3, s20, v21
	v_mul_lo_u32 v20, s21, v20
	v_add3_u32 v19, v20, v19, v3
.LBB10_50:                              ;   in Loop: Header=BB10_3 Depth=1
	s_or_b64 exec, exec, s[6:7]
	v_or_b32_e32 v22, 3, v0
	v_mov_b32_e32 v23, v1
	v_cmp_lt_i32_e64 s[4:5], 3, v41
	v_pk_mov_b32 v[20:21], 0, 0
	s_and_saveexec_b64 s[6:7], s[4:5]
	s_cbranch_execz .LBB10_64
; %bb.51:                               ;   in Loop: Header=BB10_3 Depth=1
	s_and_b64 vcc, exec, s[0:1]
	v_pk_mov_b32 v[20:21], 0, 0
	s_mov_b64 s[52:53], s[30:31]
	s_mov_b32 s58, s64
	s_waitcnt vmcnt(0)
	v_pk_mov_b32 v[24:25], v[22:23], v[22:23] op_sel:[0,1]
	v_pk_mov_b32 v[26:27], v[22:23], v[22:23] op_sel:[0,1]
	s_cbranch_vccnz .LBB10_63
.LBB10_52:                              ;   Parent Loop BB10_3 Depth=1
                                        ; =>  This Inner Loop Header: Depth=2
	s_load_dwordx2 s[54:55], s[52:53], 0x0
                                        ; implicit-def: $vgpr26_vgpr27
	s_waitcnt lgkmcnt(0)
	v_or_b32_e32 v3, s55, v25
	v_cmp_ne_u64_e32 vcc, 0, v[2:3]
	s_and_saveexec_b64 s[0:1], vcc
	s_xor_b64 s[56:57], exec, s[0:1]
	s_cbranch_execz .LBB10_54
; %bb.53:                               ;   in Loop: Header=BB10_52 Depth=2
	v_cvt_f32_u32_e32 v3, s54
	v_cvt_f32_u32_e32 v26, s55
	s_sub_u32 s0, 0, s54
	s_subb_u32 s1, 0, s55
	v_mac_f32_e32 v3, 0x4f800000, v26
	v_rcp_f32_e32 v3, v3
	v_mul_f32_e32 v3, 0x5f7ffffc, v3
	v_mul_f32_e32 v26, 0x2f800000, v3
	v_trunc_f32_e32 v26, v26
	v_mac_f32_e32 v3, 0xcf800000, v26
	v_cvt_u32_f32_e32 v26, v26
	v_cvt_u32_f32_e32 v3, v3
	v_mul_lo_u32 v27, s0, v26
	v_mul_hi_u32 v29, s0, v3
	v_mul_lo_u32 v28, s1, v3
	v_add_u32_e32 v27, v29, v27
	v_mul_lo_u32 v30, s0, v3
	v_add_u32_e32 v27, v27, v28
	v_mul_hi_u32 v29, v3, v30
	v_mul_lo_u32 v31, v3, v27
	v_mul_hi_u32 v28, v3, v27
	v_add_co_u32_e32 v29, vcc, v29, v31
	v_addc_co_u32_e32 v28, vcc, 0, v28, vcc
	v_mul_hi_u32 v32, v26, v30
	v_mul_lo_u32 v30, v26, v30
	v_add_co_u32_e32 v29, vcc, v29, v30
	v_mul_hi_u32 v31, v26, v27
	v_addc_co_u32_e32 v28, vcc, v28, v32, vcc
	v_addc_co_u32_e32 v29, vcc, 0, v31, vcc
	v_mul_lo_u32 v27, v26, v27
	v_add_co_u32_e32 v27, vcc, v28, v27
	v_addc_co_u32_e32 v28, vcc, 0, v29, vcc
	v_add_co_u32_e32 v3, vcc, v3, v27
	v_addc_co_u32_e32 v26, vcc, v26, v28, vcc
	v_mul_lo_u32 v27, s0, v26
	v_mul_hi_u32 v28, s0, v3
	v_add_u32_e32 v27, v28, v27
	v_mul_lo_u32 v28, s1, v3
	v_add_u32_e32 v27, v27, v28
	v_mul_lo_u32 v29, s0, v3
	v_mul_hi_u32 v30, v26, v29
	v_mul_lo_u32 v31, v26, v29
	v_mul_lo_u32 v33, v3, v27
	v_mul_hi_u32 v29, v3, v29
	v_mul_hi_u32 v32, v3, v27
	v_add_co_u32_e32 v29, vcc, v29, v33
	v_addc_co_u32_e32 v32, vcc, 0, v32, vcc
	v_add_co_u32_e32 v29, vcc, v29, v31
	v_mul_hi_u32 v28, v26, v27
	v_addc_co_u32_e32 v29, vcc, v32, v30, vcc
	v_addc_co_u32_e32 v28, vcc, 0, v28, vcc
	v_mul_lo_u32 v27, v26, v27
	v_add_co_u32_e32 v27, vcc, v29, v27
	v_addc_co_u32_e32 v28, vcc, 0, v28, vcc
	v_add_co_u32_e32 v3, vcc, v3, v27
	v_addc_co_u32_e32 v28, vcc, v26, v28, vcc
	v_mad_u64_u32 v[26:27], s[0:1], v24, v28, 0
	v_mul_hi_u32 v29, v24, v3
	v_add_co_u32_e32 v30, vcc, v29, v26
	v_addc_co_u32_e32 v31, vcc, 0, v27, vcc
	v_mad_u64_u32 v[26:27], s[0:1], v25, v28, 0
	v_mad_u64_u32 v[28:29], s[0:1], v25, v3, 0
	v_add_co_u32_e32 v3, vcc, v30, v28
	v_addc_co_u32_e32 v3, vcc, v31, v29, vcc
	v_addc_co_u32_e32 v27, vcc, 0, v27, vcc
	v_add_co_u32_e32 v3, vcc, v3, v26
	v_addc_co_u32_e32 v28, vcc, 0, v27, vcc
	v_mul_lo_u32 v29, s55, v3
	v_mul_lo_u32 v30, s54, v28
	v_mad_u64_u32 v[26:27], s[0:1], s54, v3, 0
	v_add3_u32 v27, v27, v30, v29
	v_sub_u32_e32 v29, v25, v27
	v_mov_b32_e32 v30, s55
	v_sub_co_u32_e32 v26, vcc, v24, v26
	v_subb_co_u32_e64 v29, s[0:1], v29, v30, vcc
	v_subrev_co_u32_e64 v30, s[0:1], s54, v26
	v_subbrev_co_u32_e64 v29, s[0:1], 0, v29, s[0:1]
	v_cmp_le_u32_e64 s[0:1], s55, v29
	v_cndmask_b32_e64 v31, 0, -1, s[0:1]
	v_cmp_le_u32_e64 s[0:1], s54, v30
	v_cndmask_b32_e64 v30, 0, -1, s[0:1]
	v_cmp_eq_u32_e64 s[0:1], s55, v29
	v_cndmask_b32_e64 v29, v31, v30, s[0:1]
	v_add_co_u32_e64 v30, s[0:1], 2, v3
	v_addc_co_u32_e64 v31, s[0:1], 0, v28, s[0:1]
	v_add_co_u32_e64 v32, s[0:1], 1, v3
	v_addc_co_u32_e64 v33, s[0:1], 0, v28, s[0:1]
	v_subb_co_u32_e32 v27, vcc, v25, v27, vcc
	v_cmp_ne_u32_e64 s[0:1], 0, v29
	v_cmp_le_u32_e32 vcc, s55, v27
	v_cndmask_b32_e64 v29, v33, v31, s[0:1]
	v_cndmask_b32_e64 v31, 0, -1, vcc
	v_cmp_le_u32_e32 vcc, s54, v26
	v_cndmask_b32_e64 v26, 0, -1, vcc
	v_cmp_eq_u32_e32 vcc, s55, v27
	v_cndmask_b32_e32 v26, v31, v26, vcc
	v_cmp_ne_u32_e32 vcc, 0, v26
	v_cndmask_b32_e64 v26, v32, v30, s[0:1]
	v_cndmask_b32_e32 v27, v28, v29, vcc
	v_cndmask_b32_e32 v26, v3, v26, vcc
.LBB10_54:                              ;   in Loop: Header=BB10_52 Depth=2
	s_andn2_saveexec_b64 s[0:1], s[56:57]
	s_cbranch_execz .LBB10_56
; %bb.55:                               ;   in Loop: Header=BB10_52 Depth=2
	v_cvt_f32_u32_e32 v3, s54
	s_sub_i32 s56, 0, s54
	v_rcp_iflag_f32_e32 v3, v3
	v_mul_f32_e32 v3, 0x4f7ffffe, v3
	v_cvt_u32_f32_e32 v3, v3
	v_mul_lo_u32 v26, s56, v3
	v_mul_hi_u32 v26, v3, v26
	v_add_u32_e32 v3, v3, v26
	v_mul_hi_u32 v3, v24, v3
	v_mul_lo_u32 v26, v3, s54
	v_sub_u32_e32 v26, v24, v26
	v_add_u32_e32 v27, 1, v3
	v_subrev_u32_e32 v28, s54, v26
	v_cmp_le_u32_e32 vcc, s54, v26
	v_cndmask_b32_e32 v26, v26, v28, vcc
	v_cndmask_b32_e32 v3, v3, v27, vcc
	v_add_u32_e32 v27, 1, v3
	v_cmp_le_u32_e32 vcc, s54, v26
	v_cndmask_b32_e32 v26, v3, v27, vcc
	v_mov_b32_e32 v27, v2
.LBB10_56:                              ;   in Loop: Header=BB10_52 Depth=2
	s_or_b64 exec, exec, s[0:1]
	v_mad_u64_u32 v[28:29], s[0:1], v26, s54, 0
	s_load_dwordx2 s[0:1], s[52:53], 0xc8
	v_mul_lo_u32 v3, v27, s54
	v_mul_lo_u32 v30, v26, s55
	v_add3_u32 v3, v29, v30, v3
	v_sub_co_u32_e32 v24, vcc, v24, v28
	s_add_i32 s58, s58, -1
	v_subb_co_u32_e32 v3, vcc, v25, v3, vcc
	s_add_u32 s52, s52, -8
	s_waitcnt lgkmcnt(0)
	v_mul_lo_u32 v3, s0, v3
	v_mul_lo_u32 v25, s1, v24
	v_mad_u64_u32 v[20:21], s[0:1], s0, v24, v[20:21]
	s_addc_u32 s53, s53, -1
	s_cmp_gt_u32 s58, 2
	v_add3_u32 v21, v25, v21, v3
	s_cbranch_scc0 .LBB10_63
; %bb.57:                               ;   in Loop: Header=BB10_52 Depth=2
	v_pk_mov_b32 v[24:25], v[26:27], v[26:27] op_sel:[0,1]
	s_branch .LBB10_52
.LBB10_58:                              ;   in Loop: Header=BB10_59 Depth=2
	s_or_b64 exec, exec, s[4:5]
	s_waitcnt vmcnt(0)
	v_mad_u64_u32 v[24:25], s[4:5], v22, s54, 0
	s_load_dwordx2 s[4:5], s[52:53], 0xc8
	v_mul_lo_u32 v3, v23, s54
	v_mul_lo_u32 v26, v22, s55
	v_add3_u32 v3, v25, v26, v3
	v_sub_co_u32_e32 v20, vcc, v20, v24
	s_add_i32 s58, s58, -1
	v_subb_co_u32_e32 v3, vcc, v21, v3, vcc
	s_add_u32 s52, s52, -8
	s_waitcnt lgkmcnt(0)
	v_mul_lo_u32 v3, s4, v3
	v_mul_lo_u32 v21, s5, v20
	v_mad_u64_u32 v[18:19], s[4:5], s4, v20, v[18:19]
	s_addc_u32 s53, s53, -1
	s_cmp_gt_u32 s58, 2
	v_add3_u32 v19, v21, v19, v3
	v_pk_mov_b32 v[20:21], v[22:23], v[22:23] op_sel:[0,1]
	s_cbranch_scc0 .LBB10_49
.LBB10_59:                              ;   Parent Loop BB10_3 Depth=1
                                        ; =>  This Inner Loop Header: Depth=2
	s_load_dwordx2 s[54:55], s[52:53], 0x0
                                        ; implicit-def: $vgpr22_vgpr23
	s_waitcnt lgkmcnt(0)
	v_or_b32_e32 v3, s55, v21
	v_cmp_ne_u64_e32 vcc, 0, v[2:3]
	s_and_saveexec_b64 s[4:5], vcc
	s_xor_b64 s[56:57], exec, s[4:5]
	s_cbranch_execz .LBB10_61
; %bb.60:                               ;   in Loop: Header=BB10_59 Depth=2
	v_cvt_f32_u32_e32 v3, s54
	v_cvt_f32_u32_e32 v22, s55
	s_sub_u32 s4, 0, s54
	s_subb_u32 s5, 0, s55
	v_mac_f32_e32 v3, 0x4f800000, v22
	v_rcp_f32_e32 v3, v3
	v_mul_f32_e32 v3, 0x5f7ffffc, v3
	v_mul_f32_e32 v22, 0x2f800000, v3
	v_trunc_f32_e32 v22, v22
	v_mac_f32_e32 v3, 0xcf800000, v22
	v_cvt_u32_f32_e32 v22, v22
	v_cvt_u32_f32_e32 v3, v3
	v_mul_lo_u32 v23, s4, v22
	s_waitcnt vmcnt(0)
	v_mul_hi_u32 v25, s4, v3
	v_mul_lo_u32 v24, s5, v3
	v_add_u32_e32 v23, v25, v23
	v_mul_lo_u32 v26, s4, v3
	v_add_u32_e32 v23, v23, v24
	v_mul_hi_u32 v25, v3, v26
	v_mul_lo_u32 v27, v3, v23
	v_mul_hi_u32 v24, v3, v23
	v_add_co_u32_e32 v25, vcc, v25, v27
	v_addc_co_u32_e32 v24, vcc, 0, v24, vcc
	v_mul_hi_u32 v28, v22, v26
	v_mul_lo_u32 v26, v22, v26
	v_add_co_u32_e32 v25, vcc, v25, v26
	v_mul_hi_u32 v27, v22, v23
	v_addc_co_u32_e32 v24, vcc, v24, v28, vcc
	v_addc_co_u32_e32 v25, vcc, 0, v27, vcc
	v_mul_lo_u32 v23, v22, v23
	v_add_co_u32_e32 v23, vcc, v24, v23
	v_addc_co_u32_e32 v24, vcc, 0, v25, vcc
	v_add_co_u32_e32 v3, vcc, v3, v23
	v_addc_co_u32_e32 v22, vcc, v22, v24, vcc
	v_mul_lo_u32 v23, s4, v22
	v_mul_hi_u32 v24, s4, v3
	v_add_u32_e32 v23, v24, v23
	v_mul_lo_u32 v24, s5, v3
	v_add_u32_e32 v23, v23, v24
	v_mul_lo_u32 v25, s4, v3
	v_mul_hi_u32 v26, v22, v25
	v_mul_lo_u32 v27, v22, v25
	v_mul_lo_u32 v29, v3, v23
	v_mul_hi_u32 v25, v3, v25
	v_mul_hi_u32 v28, v3, v23
	v_add_co_u32_e32 v25, vcc, v25, v29
	v_addc_co_u32_e32 v28, vcc, 0, v28, vcc
	v_add_co_u32_e32 v25, vcc, v25, v27
	v_mul_hi_u32 v24, v22, v23
	v_addc_co_u32_e32 v25, vcc, v28, v26, vcc
	v_addc_co_u32_e32 v24, vcc, 0, v24, vcc
	v_mul_lo_u32 v23, v22, v23
	v_add_co_u32_e32 v23, vcc, v25, v23
	v_addc_co_u32_e32 v24, vcc, 0, v24, vcc
	v_add_co_u32_e32 v3, vcc, v3, v23
	v_addc_co_u32_e32 v24, vcc, v22, v24, vcc
	v_mad_u64_u32 v[22:23], s[4:5], v20, v24, 0
	v_mul_hi_u32 v25, v20, v3
	v_add_co_u32_e32 v26, vcc, v25, v22
	v_addc_co_u32_e32 v27, vcc, 0, v23, vcc
	v_mad_u64_u32 v[22:23], s[4:5], v21, v24, 0
	v_mad_u64_u32 v[24:25], s[4:5], v21, v3, 0
	v_add_co_u32_e32 v3, vcc, v26, v24
	v_addc_co_u32_e32 v3, vcc, v27, v25, vcc
	v_addc_co_u32_e32 v23, vcc, 0, v23, vcc
	v_add_co_u32_e32 v3, vcc, v3, v22
	v_addc_co_u32_e32 v24, vcc, 0, v23, vcc
	v_mul_lo_u32 v25, s55, v3
	v_mul_lo_u32 v26, s54, v24
	v_mad_u64_u32 v[22:23], s[4:5], s54, v3, 0
	v_add3_u32 v23, v23, v26, v25
	v_sub_u32_e32 v25, v21, v23
	v_mov_b32_e32 v26, s55
	v_sub_co_u32_e32 v22, vcc, v20, v22
	v_subb_co_u32_e64 v25, s[4:5], v25, v26, vcc
	v_subrev_co_u32_e64 v26, s[4:5], s54, v22
	v_subbrev_co_u32_e64 v25, s[4:5], 0, v25, s[4:5]
	v_cmp_le_u32_e64 s[4:5], s55, v25
	v_cndmask_b32_e64 v27, 0, -1, s[4:5]
	v_cmp_le_u32_e64 s[4:5], s54, v26
	v_cndmask_b32_e64 v26, 0, -1, s[4:5]
	v_cmp_eq_u32_e64 s[4:5], s55, v25
	v_cndmask_b32_e64 v25, v27, v26, s[4:5]
	v_add_co_u32_e64 v26, s[4:5], 2, v3
	v_addc_co_u32_e64 v27, s[4:5], 0, v24, s[4:5]
	v_add_co_u32_e64 v28, s[4:5], 1, v3
	v_addc_co_u32_e64 v29, s[4:5], 0, v24, s[4:5]
	v_subb_co_u32_e32 v23, vcc, v21, v23, vcc
	v_cmp_ne_u32_e64 s[4:5], 0, v25
	v_cmp_le_u32_e32 vcc, s55, v23
	v_cndmask_b32_e64 v25, v29, v27, s[4:5]
	v_cndmask_b32_e64 v27, 0, -1, vcc
	v_cmp_le_u32_e32 vcc, s54, v22
	v_cndmask_b32_e64 v22, 0, -1, vcc
	v_cmp_eq_u32_e32 vcc, s55, v23
	v_cndmask_b32_e32 v22, v27, v22, vcc
	v_cmp_ne_u32_e32 vcc, 0, v22
	v_cndmask_b32_e64 v22, v28, v26, s[4:5]
	v_cndmask_b32_e32 v23, v24, v25, vcc
	v_cndmask_b32_e32 v22, v3, v22, vcc
.LBB10_61:                              ;   in Loop: Header=BB10_59 Depth=2
	s_andn2_saveexec_b64 s[4:5], s[56:57]
	s_cbranch_execz .LBB10_58
; %bb.62:                               ;   in Loop: Header=BB10_59 Depth=2
	v_cvt_f32_u32_e32 v3, s54
	s_sub_i32 s56, 0, s54
	v_rcp_iflag_f32_e32 v3, v3
	v_mul_f32_e32 v3, 0x4f7ffffe, v3
	v_cvt_u32_f32_e32 v3, v3
	v_mul_lo_u32 v22, s56, v3
	v_mul_hi_u32 v22, v3, v22
	v_add_u32_e32 v3, v3, v22
	v_mul_hi_u32 v3, v20, v3
	v_mul_lo_u32 v22, v3, s54
	v_sub_u32_e32 v22, v20, v22
	v_add_u32_e32 v23, 1, v3
	s_waitcnt vmcnt(0)
	v_subrev_u32_e32 v24, s54, v22
	v_cmp_le_u32_e32 vcc, s54, v22
	v_cndmask_b32_e32 v22, v22, v24, vcc
	v_cndmask_b32_e32 v3, v3, v23, vcc
	v_add_u32_e32 v23, 1, v3
	v_cmp_le_u32_e32 vcc, s54, v22
	v_cndmask_b32_e32 v22, v3, v23, vcc
	v_mov_b32_e32 v23, v2
	s_branch .LBB10_58
.LBB10_63:                              ;   in Loop: Header=BB10_3 Depth=1
	v_mad_u64_u32 v[20:21], s[0:1], s18, v26, v[20:21]
	v_mul_lo_u32 v3, s18, v27
	v_mul_lo_u32 v24, s19, v26
	v_add3_u32 v21, v24, v21, v3
.LBB10_64:                              ;   in Loop: Header=BB10_3 Depth=1
	s_or_b64 exec, exec, s[6:7]
	s_waitcnt vmcnt(0)
	v_pk_mov_b32 v[24:25], 0, 0
	s_and_saveexec_b64 s[6:7], s[4:5]
	s_cbranch_execz .LBB10_67
; %bb.65:                               ;   in Loop: Header=BB10_3 Depth=1
	s_and_b64 vcc, exec, s[2:3]
	v_pk_mov_b32 v[24:25], 0, 0
	s_mov_b64 s[2:3], s[34:35]
	s_mov_b32 s54, s65
	s_cbranch_vccz .LBB10_97
.LBB10_66:                              ;   in Loop: Header=BB10_3 Depth=1
	v_mad_u64_u32 v[24:25], s[0:1], s20, v22, v[24:25]
	v_mul_lo_u32 v3, s20, v23
	v_mul_lo_u32 v22, s21, v22
	v_add3_u32 v25, v22, v25, v3
.LBB10_67:                              ;   in Loop: Header=BB10_3 Depth=1
	s_or_b64 exec, exec, s[6:7]
	v_lshlrev_b64 v[22:23], 3, v[24:25]
	v_mov_b32_e32 v3, s17
	v_add_co_u32_e32 v22, vcc, s16, v22
	v_addc_co_u32_e32 v23, vcc, v3, v23, vcc
	global_load_dwordx2 v[24:25], v[22:23], off
	s_andn2_b64 vcc, exec, s[26:27]
	v_pk_mov_b32 v[22:23], s[12:13], s[12:13] op_sel:[0,1]
	v_pk_mov_b32 v[26:27], s[10:11], s[10:11] op_sel:[0,1]
	s_cbranch_vccnz .LBB10_69
; %bb.68:                               ;   in Loop: Header=BB10_3 Depth=1
	v_pk_mov_b32 v[22:23], s[12:13], s[12:13] op_sel:[0,1]
	flat_load_dwordx2 v[22:23], v[22:23]
	v_pk_mov_b32 v[26:27], s[10:11], s[10:11] op_sel:[0,1]
	flat_load_dwordx2 v[26:27], v[26:27]
	v_mov_b32_e32 v3, s15
	s_waitcnt vmcnt(0) lgkmcnt(0)
	v_add_co_u32_e32 v22, vcc, s14, v22
	v_addc_co_u32_e32 v23, vcc, v23, v3, vcc
.LBB10_69:                              ;   in Loop: Header=BB10_3 Depth=1
	v_alignbit_b32 v36, v23, v22, 2
	v_lshrrev_b32_e32 v37, 2, v23
	v_xor_b32_e32 v28, v6, v26
	v_and_b32_e32 v3, 3, v22
	v_mad_u64_u32 v[22:23], s[0:1], v36, s66, 0
	v_xor_b32_e32 v28, v28, v37
	v_xor_b32_e32 v23, v23, v27
	v_add_u32_e32 v46, 0xbb67ae85, v27
	v_mad_u64_u32 v[28:29], s[0:1], v28, s66, 0
	v_mad_u64_u32 v[30:31], s[0:1], v23, s33, 0
	v_xor_b32_e32 v29, v46, v29
	v_add_u32_e32 v45, 0x9e3779b9, v26
	v_xor_b32_e32 v23, v4, v31
	v_xor_b32_e32 v29, v29, v22
	v_xor_b32_e32 v23, v23, v45
	v_add_u32_e32 v47, 0x3c6ef372, v26
	v_mad_u64_u32 v[32:33], s[0:1], v29, s33, 0
	v_add_u32_e32 v48, 0x76cf5d0a, v27
	v_mad_u64_u32 v[22:23], s[0:1], v23, s66, 0
	v_xor_b32_e32 v29, v47, v33
	v_xor_b32_e32 v29, v29, v30
	v_xor_b32_e32 v23, v48, v23
	v_xor_b32_e32 v23, v23, v28
	v_add_u32_e32 v50, 0x32370b8f, v27
	v_mad_u64_u32 v[28:29], s[0:1], v29, s66, 0
	v_add_u32_e32 v49, 0xdaa66d2b, v26
	v_mad_u64_u32 v[30:31], s[0:1], v23, s33, 0
	v_xor_b32_e32 v29, v50, v29
	;; [unrolled: 8-line block ×5, first 2 shown]
	v_xor_b32_e32 v29, v29, v30
	v_xor_b32_e32 v23, v56, v23
	;; [unrolled: 1-line block ×3, first 2 shown]
	v_add_u32_e32 v58, 0x1fd5c5a3, v27
	v_mad_u64_u32 v[28:29], s[0:1], v29, s66, 0
	v_xor_b32_e32 v29, v58, v29
	v_xor_b32_e32 v22, v29, v22
	v_add_u32_e32 v57, 0x5384540f, v26
	v_mad_u64_u32 v[34:35], s[0:1], v23, s33, 0
	v_add_co_u32_e32 v43, vcc, s67, v26
	v_mad_u64_u32 v[30:31], s[0:1], v22, s33, 0
	v_xor_b32_e32 v23, v57, v35
	v_xor_b32_e32 v22, v43, v31
	v_xor_b32_e32 v23, v23, v32
	v_xor_b32_e32 v22, v22, v34
	v_mad_u64_u32 v[32:33], s[0:1], v23, s66, 0
	v_mad_u64_u32 v[22:23], s[0:1], v22, s66, 0
	v_add_u32_e32 v44, 0x96a522ad, v27
	v_xor_b32_e32 v23, v23, v32
	v_xor_b32_e32 v42, v44, v23
	v_add_co_u32_e32 v23, vcc, 1, v36
	v_cndmask_b32_e64 v32, 0, 1, vcc
	v_addc_co_u32_e32 v38, vcc, 0, v37, vcc
	v_cmp_eq_u32_e32 vcc, 0, v38
	v_cndmask_b32_e32 v32, 0, v32, vcc
	v_add_u32_e32 v36, v32, v7
	v_cmp_eq_u32_e32 vcc, 0, v36
	v_mad_u64_u32 v[34:35], s[0:1], v23, s66, 0
	v_mad_u64_u32 v[36:37], s[0:1], v36, s33, 0
	v_add_u32_e32 v31, 0x8ff34781, v26
	v_cndmask_b32_e32 v32, 0, v32, vcc
	v_xor_b32_e32 v23, v37, v26
	v_xor_b32_e32 v26, v35, v27
	;; [unrolled: 1-line block ×4, first 2 shown]
	v_mad_u64_u32 v[38:39], s[0:1], v32, s33, 0
	v_add_u32_e32 v29, 0xdb3d7428, v27
	v_mad_u64_u32 v[26:27], s[0:1], v23, s66, 0
	v_xor_b32_e32 v23, v45, v39
	v_xor_b32_e32 v23, v23, v36
	v_xor_b32_e32 v27, v46, v27
	v_xor_b32_e32 v27, v27, v34
	v_mad_u64_u32 v[34:35], s[0:1], v23, s66, 0
	v_mad_u64_u32 v[36:37], s[0:1], v27, s33, 0
	v_xor_b32_e32 v27, v48, v35
	v_xor_b32_e32 v23, v47, v37
	v_xor_b32_e32 v32, v27, v26
	v_xor_b32_e32 v23, v23, v38
	v_mad_u64_u32 v[38:39], s[0:1], v32, s33, 0
	;; [unrolled: 6-line block ×7, first 2 shown]
	v_xor_b32_e32 v23, v29, v37
	v_xor_b32_e32 v23, v23, v26
	v_mad_u64_u32 v[38:39], s[0:1], v27, s33, 0
	v_mad_u64_u32 v[26:27], s[0:1], v23, s33, 0
	v_xor_b32_e32 v23, v27, v38
	v_xor_b32_e32 v23, v31, v23
	v_cmp_lt_i32_e32 vcc, 1, v3
                                        ; implicit-def: $vgpr35
	s_and_saveexec_b64 s[0:1], vcc
	s_xor_b64 s[0:1], exec, s[0:1]
	s_cbranch_execz .LBB10_75
; %bb.70:                               ;   in Loop: Header=BB10_3 Depth=1
	v_cmp_lt_i32_e32 vcc, 2, v3
                                        ; implicit-def: $vgpr35
	s_and_saveexec_b64 s[2:3], vcc
	s_xor_b64 s[2:3], exec, s[2:3]
; %bb.71:                               ;   in Loop: Header=BB10_3 Depth=1
	v_xor_b32_e32 v3, v43, v39
	v_xor_b32_e32 v3, v3, v34
	v_mul_hi_u32 v3, v3, s66
	v_xor_b32_e32 v3, v3, v36
	v_xor_b32_e32 v35, v44, v3
                                        ; implicit-def: $vgpr42
; %bb.72:                               ;   in Loop: Header=BB10_3 Depth=1
	s_andn2_saveexec_b64 s[2:3], s[2:3]
; %bb.73:                               ;   in Loop: Header=BB10_3 Depth=1
	v_mov_b32_e32 v35, v26
	v_mov_b32_e32 v26, v23
	;; [unrolled: 1-line block ×4, first 2 shown]
; %bb.74:                               ;   in Loop: Header=BB10_3 Depth=1
	s_or_b64 exec, exec, s[2:3]
                                        ; implicit-def: $vgpr28_vgpr29
                                        ; implicit-def: $vgpr30_vgpr31
                                        ; implicit-def: $vgpr3
                                        ; implicit-def: $vgpr42
                                        ; implicit-def: $vgpr32_vgpr33
                                        ; implicit-def: $vgpr29
                                        ; implicit-def: $vgpr31
.LBB10_75:                              ;   in Loop: Header=BB10_3 Depth=1
	s_andn2_saveexec_b64 s[0:1], s[0:1]
	s_cbranch_execz .LBB10_79
; %bb.76:                               ;   in Loop: Header=BB10_3 Depth=1
	v_xor_b32_e32 v26, v29, v33
	v_xor_b32_e32 v26, v26, v28
	v_mad_u64_u32 v[28:29], s[2:3], v26, s33, 0
	v_xor_b32_e32 v26, v29, v30
	v_xor_b32_e32 v27, v31, v26
	v_cmp_eq_u32_e32 vcc, 1, v3
	v_mov_b32_e32 v35, v22
	v_mov_b32_e32 v26, v42
	;; [unrolled: 1-line block ×3, first 2 shown]
	s_and_saveexec_b64 s[2:3], vcc
; %bb.77:                               ;   in Loop: Header=BB10_3 Depth=1
	v_mov_b32_e32 v35, v23
	v_mov_b32_e32 v26, v22
	;; [unrolled: 1-line block ×4, first 2 shown]
; %bb.78:                               ;   in Loop: Header=BB10_3 Depth=1
	s_or_b64 exec, exec, s[2:3]
	v_mov_b32_e32 v22, v27
	v_mov_b32_e32 v23, v3
.LBB10_79:                              ;   in Loop: Header=BB10_3 Depth=1
	s_or_b64 exec, exec, s[0:1]
	v_min_i32_e32 v27, 4, v41
	v_cmp_lt_i32_e32 vcc, 2, v27
	s_mov_b64 s[2:3], 0
	s_mov_b64 s[60:61], 0
	;; [unrolled: 1-line block ×3, first 2 shown]
                                        ; implicit-def: $sgpr6_sgpr7
                                        ; implicit-def: $sgpr52_sgpr53
                                        ; implicit-def: $sgpr54_sgpr55
	s_and_saveexec_b64 s[0:1], vcc
	s_xor_b64 s[56:57], exec, s[0:1]
	s_cbranch_execz .LBB10_91
; %bb.80:                               ;   in Loop: Header=BB10_3 Depth=1
	v_cmp_lt_i32_e32 vcc, 3, v27
	s_mov_b64 s[0:1], -1
	s_mov_b64 s[58:59], 0
                                        ; implicit-def: $sgpr4_sgpr5
                                        ; implicit-def: $sgpr6_sgpr7
	s_and_saveexec_b64 s[52:53], vcc
	s_cbranch_execz .LBB10_86
; %bb.81:                               ;   in Loop: Header=BB10_3 Depth=1
	v_cmp_eq_u32_e32 vcc, 4, v27
	s_mov_b64 s[0:1], 0
	s_mov_b64 s[60:61], -1
                                        ; implicit-def: $sgpr4_sgpr5
                                        ; implicit-def: $sgpr6_sgpr7
	s_and_saveexec_b64 s[54:55], vcc
	s_cbranch_execz .LBB10_85
; %bb.82:                               ;   in Loop: Header=BB10_3 Depth=1
	s_waitcnt vmcnt(0)
	v_cmp_le_f64_e32 vcc, 0, v[24:25]
	v_cmp_ge_f64_e64 s[0:1], 1.0, v[24:25]
	s_and_b64 s[60:61], vcc, s[0:1]
	s_mov_b64 s[4:5], 0
	s_mov_b64 s[0:1], 0
	s_and_saveexec_b64 s[6:7], s[60:61]
	s_cbranch_execz .LBB10_84
; %bb.83:                               ;   in Loop: Header=BB10_3 Depth=1
	v_cvt_f32_u32_e32 v3, v35
	v_mov_b32_e32 v28, 0x2f800000
	v_lshlrev_b64 v[20:21], 3, v[20:21]
	v_add_co_u32_e32 v20, vcc, s24, v20
	v_fmac_f32_e32 v28, 0x2f800000, v3
	v_mov_b32_e32 v3, s25
	v_addc_co_u32_e32 v21, vcc, v3, v21, vcc
	v_cvt_f64_f32_e32 v[28:29], v28
	v_cmp_ge_f64_e32 vcc, v[24:25], v[28:29]
	s_mov_b64 s[0:1], exec
	v_cndmask_b32_e32 v3, 0, v40, vcc
	global_store_dwordx2 v[20:21], v[2:3], off
.LBB10_84:                              ;   in Loop: Header=BB10_3 Depth=1
	s_or_b64 exec, exec, s[6:7]
	s_mov_b64 s[6:7], -1
	s_xor_b64 s[60:61], exec, -1
	s_and_b64 s[0:1], s[0:1], exec
.LBB10_85:                              ;   in Loop: Header=BB10_3 Depth=1
	s_or_b64 exec, exec, s[54:55]
	s_and_b64 s[60:61], s[60:61], exec
	s_orn2_b64 s[0:1], s[0:1], exec
.LBB10_86:                              ;   in Loop: Header=BB10_3 Depth=1
	s_or_b64 exec, exec, s[52:53]
	s_mov_b64 s[54:55], s[4:5]
	s_and_saveexec_b64 s[52:53], s[0:1]
	s_cbranch_execz .LBB10_90
; %bb.87:                               ;   in Loop: Header=BB10_3 Depth=1
	v_lshlrev_b64 v[18:19], 3, v[18:19]
	v_mov_b32_e32 v3, s17
	v_add_co_u32_e32 v18, vcc, s16, v18
	v_addc_co_u32_e32 v19, vcc, v3, v19, vcc
	global_load_dwordx2 v[18:19], v[18:19], off
	s_waitcnt vmcnt(0)
	v_cmp_le_f64_e32 vcc, 0, v[18:19]
	v_cmp_ge_f64_e64 s[0:1], 1.0, v[18:19]
	s_and_b64 s[54:55], vcc, s[0:1]
	s_mov_b64 s[0:1], 0
	s_and_saveexec_b64 s[58:59], s[54:55]
	s_xor_b64 s[54:55], exec, s[58:59]
	s_cbranch_execz .LBB10_89
; %bb.88:                               ;   in Loop: Header=BB10_3 Depth=1
	v_cvt_f32_u32_e32 v3, v26
	v_mov_b32_e32 v20, 0x2f800000
	v_lshlrev_b64 v[16:17], 3, v[16:17]
	v_add_co_u32_e32 v16, vcc, s24, v16
	v_fmac_f32_e32 v20, 0x2f800000, v3
	v_mov_b32_e32 v3, s25
	v_addc_co_u32_e32 v17, vcc, v3, v17, vcc
	v_cvt_f64_f32_e32 v[20:21], v20
	v_cmp_ge_f64_e32 vcc, v[18:19], v[20:21]
	v_cndmask_b32_e32 v3, 0, v40, vcc
	s_mov_b64 s[0:1], exec
	global_store_dwordx2 v[16:17], v[2:3], off
.LBB10_89:                              ;   in Loop: Header=BB10_3 Depth=1
	s_or_b64 exec, exec, s[54:55]
	s_andn2_b64 s[54:55], s[4:5], exec
	s_or_b64 s[4:5], s[4:5], exec
	s_andn2_b64 s[6:7], s[6:7], exec
	s_and_b64 s[58:59], s[0:1], exec
.LBB10_90:                              ;   in Loop: Header=BB10_3 Depth=1
	s_or_b64 exec, exec, s[52:53]
	s_and_b64 s[54:55], s[54:55], exec
	s_and_b64 s[52:53], s[4:5], exec
	;; [unrolled: 1-line block ×5, first 2 shown]
.LBB10_91:                              ;   in Loop: Header=BB10_3 Depth=1
	s_andn2_saveexec_b64 s[0:1], s[56:57]
; %bb.92:                               ;   in Loop: Header=BB10_3 Depth=1
	v_cmp_lt_i32_e32 vcc, 1, v27
	s_andn2_b64 s[56:57], s[60:61], exec
	s_and_b64 s[58:59], vcc, exec
	s_mov_b64 s[2:3], exec
	s_andn2_b64 s[54:55], s[54:55], exec
	s_andn2_b64 s[52:53], s[52:53], exec
	;; [unrolled: 1-line block ×3, first 2 shown]
	s_or_b64 s[60:61], s[56:57], s[58:59]
; %bb.93:                               ;   in Loop: Header=BB10_3 Depth=1
	s_or_b64 exec, exec, s[0:1]
	s_mov_b64 s[0:1], 0
	s_mov_b64 s[56:57], s[54:55]
	s_and_saveexec_b64 s[58:59], s[60:61]
	s_cbranch_execnz .LBB10_101
; %bb.94:                               ;   in Loop: Header=BB10_3 Depth=1
	s_or_b64 exec, exec, s[58:59]
	s_and_saveexec_b64 s[58:59], s[2:3]
	s_cbranch_execnz .LBB10_104
.LBB10_95:                              ;   in Loop: Header=BB10_3 Depth=1
	s_or_b64 exec, exec, s[58:59]
	s_and_saveexec_b64 s[2:3], s[0:1]
	s_cbranch_execnz .LBB10_105
	s_branch .LBB10_108
.LBB10_96:                              ;   in Loop: Header=BB10_97 Depth=2
	s_or_b64 exec, exec, s[0:1]
	v_mad_u64_u32 v[28:29], s[0:1], v26, s4, 0
	s_load_dwordx2 s[0:1], s[2:3], 0xc8
	v_mul_lo_u32 v3, v27, s4
	v_mul_lo_u32 v30, v26, s5
	v_add3_u32 v3, v29, v30, v3
	v_sub_co_u32_e32 v22, vcc, v22, v28
	s_add_i32 s54, s54, -1
	v_subb_co_u32_e32 v3, vcc, v23, v3, vcc
	s_add_u32 s2, s2, -8
	s_waitcnt lgkmcnt(0)
	v_mul_lo_u32 v3, s0, v3
	v_mul_lo_u32 v23, s1, v22
	v_mad_u64_u32 v[24:25], s[0:1], s0, v22, v[24:25]
	s_addc_u32 s3, s3, -1
	s_cmp_gt_u32 s54, 2
	v_add3_u32 v25, v23, v25, v3
	v_pk_mov_b32 v[22:23], v[26:27], v[26:27] op_sel:[0,1]
	s_cbranch_scc0 .LBB10_66
.LBB10_97:                              ;   Parent Loop BB10_3 Depth=1
                                        ; =>  This Inner Loop Header: Depth=2
	s_load_dwordx2 s[4:5], s[2:3], 0x0
                                        ; implicit-def: $vgpr26_vgpr27
	s_waitcnt lgkmcnt(0)
	v_or_b32_e32 v3, s5, v23
	v_cmp_ne_u64_e32 vcc, 0, v[2:3]
	s_and_saveexec_b64 s[0:1], vcc
	s_xor_b64 s[52:53], exec, s[0:1]
	s_cbranch_execz .LBB10_99
; %bb.98:                               ;   in Loop: Header=BB10_97 Depth=2
	v_cvt_f32_u32_e32 v3, s4
	v_cvt_f32_u32_e32 v26, s5
	s_sub_u32 s0, 0, s4
	s_subb_u32 s1, 0, s5
	v_mac_f32_e32 v3, 0x4f800000, v26
	v_rcp_f32_e32 v3, v3
	v_mul_f32_e32 v3, 0x5f7ffffc, v3
	v_mul_f32_e32 v26, 0x2f800000, v3
	v_trunc_f32_e32 v26, v26
	v_mac_f32_e32 v3, 0xcf800000, v26
	v_cvt_u32_f32_e32 v26, v26
	v_cvt_u32_f32_e32 v3, v3
	v_mul_lo_u32 v27, s0, v26
	v_mul_hi_u32 v29, s0, v3
	v_mul_lo_u32 v28, s1, v3
	v_add_u32_e32 v27, v29, v27
	v_mul_lo_u32 v30, s0, v3
	v_add_u32_e32 v27, v27, v28
	v_mul_hi_u32 v29, v3, v30
	v_mul_lo_u32 v31, v3, v27
	v_mul_hi_u32 v28, v3, v27
	v_add_co_u32_e32 v29, vcc, v29, v31
	v_addc_co_u32_e32 v28, vcc, 0, v28, vcc
	v_mul_hi_u32 v32, v26, v30
	v_mul_lo_u32 v30, v26, v30
	v_add_co_u32_e32 v29, vcc, v29, v30
	v_mul_hi_u32 v31, v26, v27
	v_addc_co_u32_e32 v28, vcc, v28, v32, vcc
	v_addc_co_u32_e32 v29, vcc, 0, v31, vcc
	v_mul_lo_u32 v27, v26, v27
	v_add_co_u32_e32 v27, vcc, v28, v27
	v_addc_co_u32_e32 v28, vcc, 0, v29, vcc
	v_add_co_u32_e32 v3, vcc, v3, v27
	v_addc_co_u32_e32 v26, vcc, v26, v28, vcc
	v_mul_lo_u32 v27, s0, v26
	v_mul_hi_u32 v28, s0, v3
	v_add_u32_e32 v27, v28, v27
	v_mul_lo_u32 v28, s1, v3
	v_add_u32_e32 v27, v27, v28
	v_mul_lo_u32 v29, s0, v3
	v_mul_hi_u32 v30, v26, v29
	v_mul_lo_u32 v31, v26, v29
	v_mul_lo_u32 v33, v3, v27
	v_mul_hi_u32 v29, v3, v29
	v_mul_hi_u32 v32, v3, v27
	v_add_co_u32_e32 v29, vcc, v29, v33
	v_addc_co_u32_e32 v32, vcc, 0, v32, vcc
	v_add_co_u32_e32 v29, vcc, v29, v31
	v_mul_hi_u32 v28, v26, v27
	v_addc_co_u32_e32 v29, vcc, v32, v30, vcc
	v_addc_co_u32_e32 v28, vcc, 0, v28, vcc
	v_mul_lo_u32 v27, v26, v27
	v_add_co_u32_e32 v27, vcc, v29, v27
	v_addc_co_u32_e32 v28, vcc, 0, v28, vcc
	v_add_co_u32_e32 v3, vcc, v3, v27
	v_addc_co_u32_e32 v28, vcc, v26, v28, vcc
	v_mad_u64_u32 v[26:27], s[0:1], v22, v28, 0
	v_mul_hi_u32 v29, v22, v3
	v_add_co_u32_e32 v30, vcc, v29, v26
	v_addc_co_u32_e32 v31, vcc, 0, v27, vcc
	v_mad_u64_u32 v[26:27], s[0:1], v23, v28, 0
	v_mad_u64_u32 v[28:29], s[0:1], v23, v3, 0
	v_add_co_u32_e32 v3, vcc, v30, v28
	v_addc_co_u32_e32 v3, vcc, v31, v29, vcc
	v_addc_co_u32_e32 v27, vcc, 0, v27, vcc
	v_add_co_u32_e32 v3, vcc, v3, v26
	v_addc_co_u32_e32 v28, vcc, 0, v27, vcc
	v_mul_lo_u32 v29, s5, v3
	v_mul_lo_u32 v30, s4, v28
	v_mad_u64_u32 v[26:27], s[0:1], s4, v3, 0
	v_add3_u32 v27, v27, v30, v29
	v_sub_u32_e32 v29, v23, v27
	v_mov_b32_e32 v30, s5
	v_sub_co_u32_e32 v26, vcc, v22, v26
	v_subb_co_u32_e64 v29, s[0:1], v29, v30, vcc
	v_subrev_co_u32_e64 v30, s[0:1], s4, v26
	v_subbrev_co_u32_e64 v29, s[0:1], 0, v29, s[0:1]
	v_cmp_le_u32_e64 s[0:1], s5, v29
	v_cndmask_b32_e64 v31, 0, -1, s[0:1]
	v_cmp_le_u32_e64 s[0:1], s4, v30
	v_cndmask_b32_e64 v30, 0, -1, s[0:1]
	v_cmp_eq_u32_e64 s[0:1], s5, v29
	v_cndmask_b32_e64 v29, v31, v30, s[0:1]
	v_add_co_u32_e64 v30, s[0:1], 2, v3
	v_addc_co_u32_e64 v31, s[0:1], 0, v28, s[0:1]
	v_add_co_u32_e64 v32, s[0:1], 1, v3
	v_addc_co_u32_e64 v33, s[0:1], 0, v28, s[0:1]
	v_subb_co_u32_e32 v27, vcc, v23, v27, vcc
	v_cmp_ne_u32_e64 s[0:1], 0, v29
	v_cmp_le_u32_e32 vcc, s5, v27
	v_cndmask_b32_e64 v29, v33, v31, s[0:1]
	v_cndmask_b32_e64 v31, 0, -1, vcc
	v_cmp_le_u32_e32 vcc, s4, v26
	v_cndmask_b32_e64 v26, 0, -1, vcc
	v_cmp_eq_u32_e32 vcc, s5, v27
	v_cndmask_b32_e32 v26, v31, v26, vcc
	v_cmp_ne_u32_e32 vcc, 0, v26
	v_cndmask_b32_e64 v26, v32, v30, s[0:1]
	v_cndmask_b32_e32 v27, v28, v29, vcc
	v_cndmask_b32_e32 v26, v3, v26, vcc
.LBB10_99:                              ;   in Loop: Header=BB10_97 Depth=2
	s_andn2_saveexec_b64 s[0:1], s[52:53]
	s_cbranch_execz .LBB10_96
; %bb.100:                              ;   in Loop: Header=BB10_97 Depth=2
	v_cvt_f32_u32_e32 v3, s4
	s_sub_i32 s52, 0, s4
	v_rcp_iflag_f32_e32 v3, v3
	v_mul_f32_e32 v3, 0x4f7ffffe, v3
	v_cvt_u32_f32_e32 v3, v3
	v_mul_lo_u32 v26, s52, v3
	v_mul_hi_u32 v26, v3, v26
	v_add_u32_e32 v3, v3, v26
	v_mul_hi_u32 v3, v22, v3
	v_mul_lo_u32 v26, v3, s4
	v_sub_u32_e32 v26, v22, v26
	v_add_u32_e32 v27, 1, v3
	v_subrev_u32_e32 v28, s4, v26
	v_cmp_le_u32_e32 vcc, s4, v26
	v_cndmask_b32_e32 v26, v26, v28, vcc
	v_cndmask_b32_e32 v3, v3, v27, vcc
	v_add_u32_e32 v27, 1, v3
	v_cmp_le_u32_e32 vcc, s4, v26
	v_cndmask_b32_e32 v26, v3, v27, vcc
	v_mov_b32_e32 v27, v2
	s_branch .LBB10_96
.LBB10_101:                             ;   in Loop: Header=BB10_3 Depth=1
	v_lshlrev_b64 v[14:15], 3, v[14:15]
	v_mov_b32_e32 v3, s17
	v_add_co_u32_e32 v14, vcc, s16, v14
	v_addc_co_u32_e32 v15, vcc, v3, v15, vcc
	global_load_dwordx2 v[14:15], v[14:15], off
	s_waitcnt vmcnt(0)
	v_cmp_le_f64_e32 vcc, 0, v[14:15]
	v_cmp_ge_f64_e64 s[0:1], 1.0, v[14:15]
	s_and_b64 s[56:57], vcc, s[0:1]
	s_mov_b64 s[0:1], 0
	s_and_saveexec_b64 s[60:61], s[56:57]
	s_xor_b64 s[56:57], exec, s[60:61]
	s_cbranch_execz .LBB10_103
; %bb.102:                              ;   in Loop: Header=BB10_3 Depth=1
	v_cvt_f32_u32_e32 v3, v23
	v_mov_b32_e32 v16, 0x2f800000
	v_lshlrev_b64 v[12:13], 3, v[12:13]
	v_add_co_u32_e32 v12, vcc, s24, v12
	v_fmac_f32_e32 v16, 0x2f800000, v3
	v_mov_b32_e32 v3, s25
	v_addc_co_u32_e32 v13, vcc, v3, v13, vcc
	v_cvt_f64_f32_e32 v[16:17], v16
	v_cmp_ge_f64_e32 vcc, v[14:15], v[16:17]
	v_cndmask_b32_e32 v3, 0, v40, vcc
	s_mov_b64 s[0:1], exec
	global_store_dwordx2 v[12:13], v[2:3], off
.LBB10_103:                             ;   in Loop: Header=BB10_3 Depth=1
	s_or_b64 exec, exec, s[56:57]
	s_andn2_b64 s[56:57], s[54:55], exec
	s_or_b64 s[54:55], s[54:55], exec
	s_andn2_b64 s[52:53], s[52:53], exec
	s_andn2_b64 s[6:7], s[6:7], exec
	s_and_b64 s[0:1], s[0:1], exec
	s_andn2_b64 s[2:3], s[2:3], exec
	s_or_b64 exec, exec, s[58:59]
	s_and_saveexec_b64 s[58:59], s[2:3]
	s_cbranch_execz .LBB10_95
.LBB10_104:                             ;   in Loop: Header=BB10_3 Depth=1
	v_cmp_eq_u32_e32 vcc, 1, v27
	s_andn2_b64 s[0:1], s[0:1], exec
	s_and_b64 s[2:3], vcc, exec
	s_andn2_b64 s[56:57], s[56:57], exec
	s_andn2_b64 s[54:55], s[54:55], exec
	;; [unrolled: 1-line block ×4, first 2 shown]
	s_or_b64 s[4:5], s[4:5], exec
	s_or_b64 s[0:1], s[0:1], s[2:3]
	s_or_b64 exec, exec, s[58:59]
	s_and_saveexec_b64 s[2:3], s[0:1]
	s_cbranch_execz .LBB10_108
.LBB10_105:                             ;   in Loop: Header=BB10_3 Depth=1
	v_lshlrev_b64 v[10:11], 3, v[10:11]
	v_mov_b32_e32 v3, s17
	v_add_co_u32_e32 v10, vcc, s16, v10
	v_addc_co_u32_e32 v11, vcc, v3, v11, vcc
	global_load_dwordx2 v[10:11], v[10:11], off
	s_waitcnt vmcnt(0)
	v_cmp_le_f64_e32 vcc, 0, v[10:11]
	v_cmp_ge_f64_e64 s[0:1], 1.0, v[10:11]
	s_and_b64 s[60:61], vcc, s[0:1]
	s_mov_b64 s[0:1], 0
	s_and_saveexec_b64 s[58:59], s[60:61]
	s_cbranch_execz .LBB10_107
; %bb.106:                              ;   in Loop: Header=BB10_3 Depth=1
	v_cvt_f32_u32_e32 v3, v22
	v_mov_b32_e32 v12, 0x2f800000
	v_lshlrev_b64 v[8:9], 3, v[8:9]
	v_add_co_u32_e32 v8, vcc, s24, v8
	v_fmac_f32_e32 v12, 0x2f800000, v3
	v_mov_b32_e32 v3, s25
	v_addc_co_u32_e32 v9, vcc, v3, v9, vcc
	v_cvt_f64_f32_e32 v[12:13], v12
	v_cmp_ge_f64_e32 vcc, v[10:11], v[12:13]
	s_mov_b64 s[0:1], exec
	v_cndmask_b32_e32 v3, 0, v40, vcc
	global_store_dwordx2 v[8:9], v[2:3], off
.LBB10_107:                             ;   in Loop: Header=BB10_3 Depth=1
	s_or_b64 exec, exec, s[58:59]
	s_andn2_b64 s[4:5], s[4:5], exec
	s_and_b64 s[0:1], s[0:1], exec
	s_or_b64 s[56:57], s[56:57], exec
	s_andn2_b64 s[54:55], s[54:55], exec
	s_andn2_b64 s[52:53], s[52:53], exec
	;; [unrolled: 1-line block ×3, first 2 shown]
	s_or_b64 s[4:5], s[4:5], s[0:1]
.LBB10_108:                             ;   in Loop: Header=BB10_3 Depth=1
	s_or_b64 exec, exec, s[2:3]
	s_andn2_b64 s[2:3], s[50:51], exec
	s_and_b64 s[50:51], s[56:57], exec
	s_or_b64 s[50:51], s[2:3], s[50:51]
	s_andn2_b64 s[2:3], s[48:49], exec
	s_and_b64 s[48:49], s[54:55], exec
	s_or_b64 s[48:49], s[2:3], s[48:49]
	;; [unrolled: 3-line block ×3, first 2 shown]
	s_andn2_b64 s[2:3], s[44:45], exec
	s_and_b64 s[6:7], s[6:7], exec
	s_mov_b64 s[0:1], -1
	s_or_b64 s[44:45], s[2:3], s[6:7]
	s_and_saveexec_b64 s[2:3], s[4:5]
	s_cbranch_execz .LBB10_2
; %bb.109:                              ;   in Loop: Header=BB10_3 Depth=1
	v_mov_b32_e32 v3, s63
	v_add_co_u32_e32 v0, vcc, s62, v0
	v_addc_co_u32_e32 v1, vcc, v1, v3, vcc
	v_cmp_le_u64_e32 vcc, s[8:9], v[0:1]
	s_andn2_b64 s[50:51], s[50:51], exec
	s_andn2_b64 s[48:49], s[48:49], exec
	;; [unrolled: 1-line block ×4, first 2 shown]
	s_orn2_b64 s[0:1], vcc, exec
	s_branch .LBB10_2
.LBB10_110:
	s_or_b64 exec, exec, s[36:37]
	s_xor_b64 s[6:7], s[42:43], -1
	s_xor_b64 s[8:9], s[40:41], -1
	;; [unrolled: 1-line block ×3, first 2 shown]
	s_mov_b64 s[2:3], 0
	s_and_saveexec_b64 s[4:5], s[0:1]
	s_xor_b64 s[0:1], exec, s[4:5]
	s_cbranch_execnz .LBB10_115
; %bb.111:
	s_andn2_saveexec_b64 s[0:1], s[0:1]
	s_cbranch_execnz .LBB10_123
.LBB10_112:
	s_or_b64 exec, exec, s[0:1]
	s_and_b64 exec, exec, s[2:3]
.LBB10_113:
	; divergent unreachable
.LBB10_114:
	s_endpgm
.LBB10_115:
	s_mov_b64 s[4:5], 0
	s_and_saveexec_b64 s[2:3], s[8:9]
	s_xor_b64 s[2:3], exec, s[2:3]
	s_cbranch_execz .LBB10_121
; %bb.116:
	s_and_saveexec_b64 s[8:9], s[6:7]
	s_xor_b64 s[6:7], exec, s[8:9]
	s_cbranch_execz .LBB10_119
; %bb.117:
	s_and_saveexec_b64 s[8:9], s[28:29]
	s_xor_b64 s[8:9], exec, s[8:9]
	s_cbranch_execnz .LBB10_126
.LBB10_118:
	s_or_b64 exec, exec, s[8:9]
	s_and_b64 s[4:5], s[4:5], exec
.LBB10_119:
	s_andn2_saveexec_b64 s[6:7], s[6:7]
	s_cbranch_execnz .LBB10_125
.LBB10_120:
	s_or_b64 exec, exec, s[6:7]
	s_and_b64 s[4:5], s[4:5], exec
.LBB10_121:
	s_andn2_saveexec_b64 s[2:3], s[2:3]
	s_cbranch_execnz .LBB10_124
.LBB10_122:
	s_or_b64 exec, exec, s[2:3]
	s_and_b64 s[2:3], s[4:5], exec
	s_andn2_saveexec_b64 s[0:1], s[0:1]
	s_cbranch_execz .LBB10_112
.LBB10_123:
	s_or_b64 s[2:3], s[2:3], exec
	s_trap 2
	s_or_b64 exec, exec, s[0:1]
	s_and_b64 exec, exec, s[2:3]
	s_cbranch_execnz .LBB10_113
	s_branch .LBB10_114
.LBB10_124:
	s_or_b64 s[4:5], s[4:5], exec
	s_trap 2
	s_branch .LBB10_122
.LBB10_125:
	s_trap 2
	s_or_b64 s[4:5], s[4:5], exec
	s_branch .LBB10_120
.LBB10_126:
	s_mov_b64 s[4:5], exec
	s_trap 2
	s_branch .LBB10_118
	.section	.rodata,"a",@progbits
	.p2align	6, 0x0
	.amdhsa_kernel _ZN2at4cuda12_GLOBAL__N_121kernelPointwiseApply2IZNS_6native9templates4cuda28bernoulli_tensor_cuda_kernelIddEEvRKNS_10TensorBaseES9_NS_15PhiloxCudaStateEEUliRdSB_SB_SB_RKdSD_SD_SD_E_dSC_mLin1ELin1ELi4ELi512ELi2EEEvNS0_6detail10TensorInfoIT0_T2_EENSG_IT1_SI_EESI_T_
		.amdhsa_group_segment_fixed_size 0
		.amdhsa_private_segment_fixed_size 0
		.amdhsa_kernarg_size 1128
		.amdhsa_user_sgpr_count 6
		.amdhsa_user_sgpr_private_segment_buffer 1
		.amdhsa_user_sgpr_dispatch_ptr 0
		.amdhsa_user_sgpr_queue_ptr 0
		.amdhsa_user_sgpr_kernarg_segment_ptr 1
		.amdhsa_user_sgpr_dispatch_id 0
		.amdhsa_user_sgpr_flat_scratch_init 0
		.amdhsa_user_sgpr_kernarg_preload_length 0
		.amdhsa_user_sgpr_kernarg_preload_offset 0
		.amdhsa_user_sgpr_private_segment_size 0
		.amdhsa_uses_dynamic_stack 0
		.amdhsa_system_sgpr_private_segment_wavefront_offset 0
		.amdhsa_system_sgpr_workgroup_id_x 1
		.amdhsa_system_sgpr_workgroup_id_y 0
		.amdhsa_system_sgpr_workgroup_id_z 0
		.amdhsa_system_sgpr_workgroup_info 0
		.amdhsa_system_vgpr_workitem_id 0
		.amdhsa_next_free_vgpr 59
		.amdhsa_next_free_sgpr 68
		.amdhsa_accum_offset 60
		.amdhsa_reserve_vcc 1
		.amdhsa_reserve_flat_scratch 0
		.amdhsa_float_round_mode_32 0
		.amdhsa_float_round_mode_16_64 0
		.amdhsa_float_denorm_mode_32 3
		.amdhsa_float_denorm_mode_16_64 3
		.amdhsa_dx10_clamp 1
		.amdhsa_ieee_mode 1
		.amdhsa_fp16_overflow 0
		.amdhsa_tg_split 0
		.amdhsa_exception_fp_ieee_invalid_op 0
		.amdhsa_exception_fp_denorm_src 0
		.amdhsa_exception_fp_ieee_div_zero 0
		.amdhsa_exception_fp_ieee_overflow 0
		.amdhsa_exception_fp_ieee_underflow 0
		.amdhsa_exception_fp_ieee_inexact 0
		.amdhsa_exception_int_div_zero 0
	.end_amdhsa_kernel
	.section	.text._ZN2at4cuda12_GLOBAL__N_121kernelPointwiseApply2IZNS_6native9templates4cuda28bernoulli_tensor_cuda_kernelIddEEvRKNS_10TensorBaseES9_NS_15PhiloxCudaStateEEUliRdSB_SB_SB_RKdSD_SD_SD_E_dSC_mLin1ELin1ELi4ELi512ELi2EEEvNS0_6detail10TensorInfoIT0_T2_EENSG_IT1_SI_EESI_T_,"axG",@progbits,_ZN2at4cuda12_GLOBAL__N_121kernelPointwiseApply2IZNS_6native9templates4cuda28bernoulli_tensor_cuda_kernelIddEEvRKNS_10TensorBaseES9_NS_15PhiloxCudaStateEEUliRdSB_SB_SB_RKdSD_SD_SD_E_dSC_mLin1ELin1ELi4ELi512ELi2EEEvNS0_6detail10TensorInfoIT0_T2_EENSG_IT1_SI_EESI_T_,comdat
.Lfunc_end10:
	.size	_ZN2at4cuda12_GLOBAL__N_121kernelPointwiseApply2IZNS_6native9templates4cuda28bernoulli_tensor_cuda_kernelIddEEvRKNS_10TensorBaseES9_NS_15PhiloxCudaStateEEUliRdSB_SB_SB_RKdSD_SD_SD_E_dSC_mLin1ELin1ELi4ELi512ELi2EEEvNS0_6detail10TensorInfoIT0_T2_EENSG_IT1_SI_EESI_T_, .Lfunc_end10-_ZN2at4cuda12_GLOBAL__N_121kernelPointwiseApply2IZNS_6native9templates4cuda28bernoulli_tensor_cuda_kernelIddEEvRKNS_10TensorBaseES9_NS_15PhiloxCudaStateEEUliRdSB_SB_SB_RKdSD_SD_SD_E_dSC_mLin1ELin1ELi4ELi512ELi2EEEvNS0_6detail10TensorInfoIT0_T2_EENSG_IT1_SI_EESI_T_
                                        ; -- End function
	.section	.AMDGPU.csdata,"",@progbits
; Kernel info:
; codeLenInByte = 10320
; NumSgprs: 72
; NumVgprs: 59
; NumAgprs: 0
; TotalNumVgprs: 59
; ScratchSize: 0
; MemoryBound: 0
; FloatMode: 240
; IeeeMode: 1
; LDSByteSize: 0 bytes/workgroup (compile time only)
; SGPRBlocks: 8
; VGPRBlocks: 7
; NumSGPRsForWavesPerEU: 72
; NumVGPRsForWavesPerEU: 59
; AccumOffset: 60
; Occupancy: 8
; WaveLimiterHint : 1
; COMPUTE_PGM_RSRC2:SCRATCH_EN: 0
; COMPUTE_PGM_RSRC2:USER_SGPR: 6
; COMPUTE_PGM_RSRC2:TRAP_HANDLER: 0
; COMPUTE_PGM_RSRC2:TGID_X_EN: 1
; COMPUTE_PGM_RSRC2:TGID_Y_EN: 0
; COMPUTE_PGM_RSRC2:TGID_Z_EN: 0
; COMPUTE_PGM_RSRC2:TIDIG_COMP_CNT: 0
; COMPUTE_PGM_RSRC3_GFX90A:ACCUM_OFFSET: 14
; COMPUTE_PGM_RSRC3_GFX90A:TG_SPLIT: 0
	.section	.text._ZN2at4cuda12_GLOBAL__N_121kernelPointwiseApply2IZNS_6native9templates4cuda28bernoulli_tensor_cuda_kernelIhfEEvRKNS_10TensorBaseES9_NS_15PhiloxCudaStateEEUliRhSB_SB_SB_RKfSD_SD_SD_E_hSC_jLi1ELi1ELi4ELi512ELi2EEEvNS0_6detail10TensorInfoIT0_T2_EENSG_IT1_SI_EESI_T_,"axG",@progbits,_ZN2at4cuda12_GLOBAL__N_121kernelPointwiseApply2IZNS_6native9templates4cuda28bernoulli_tensor_cuda_kernelIhfEEvRKNS_10TensorBaseES9_NS_15PhiloxCudaStateEEUliRhSB_SB_SB_RKfSD_SD_SD_E_hSC_jLi1ELi1ELi4ELi512ELi2EEEvNS0_6detail10TensorInfoIT0_T2_EENSG_IT1_SI_EESI_T_,comdat
	.globl	_ZN2at4cuda12_GLOBAL__N_121kernelPointwiseApply2IZNS_6native9templates4cuda28bernoulli_tensor_cuda_kernelIhfEEvRKNS_10TensorBaseES9_NS_15PhiloxCudaStateEEUliRhSB_SB_SB_RKfSD_SD_SD_E_hSC_jLi1ELi1ELi4ELi512ELi2EEEvNS0_6detail10TensorInfoIT0_T2_EENSG_IT1_SI_EESI_T_ ; -- Begin function _ZN2at4cuda12_GLOBAL__N_121kernelPointwiseApply2IZNS_6native9templates4cuda28bernoulli_tensor_cuda_kernelIhfEEvRKNS_10TensorBaseES9_NS_15PhiloxCudaStateEEUliRhSB_SB_SB_RKfSD_SD_SD_E_hSC_jLi1ELi1ELi4ELi512ELi2EEEvNS0_6detail10TensorInfoIT0_T2_EENSG_IT1_SI_EESI_T_
	.p2align	8
	.type	_ZN2at4cuda12_GLOBAL__N_121kernelPointwiseApply2IZNS_6native9templates4cuda28bernoulli_tensor_cuda_kernelIhfEEvRKNS_10TensorBaseES9_NS_15PhiloxCudaStateEEUliRhSB_SB_SB_RKfSD_SD_SD_E_hSC_jLi1ELi1ELi4ELi512ELi2EEEvNS0_6detail10TensorInfoIT0_T2_EENSG_IT1_SI_EESI_T_,@function
_ZN2at4cuda12_GLOBAL__N_121kernelPointwiseApply2IZNS_6native9templates4cuda28bernoulli_tensor_cuda_kernelIhfEEvRKNS_10TensorBaseES9_NS_15PhiloxCudaStateEEUliRhSB_SB_SB_RKfSD_SD_SD_E_hSC_jLi1ELi1ELi4ELi512ELi2EEEvNS0_6detail10TensorInfoIT0_T2_EENSG_IT1_SI_EESI_T_: ; @_ZN2at4cuda12_GLOBAL__N_121kernelPointwiseApply2IZNS_6native9templates4cuda28bernoulli_tensor_cuda_kernelIhfEEvRKNS_10TensorBaseES9_NS_15PhiloxCudaStateEEUliRhSB_SB_SB_RKfSD_SD_SD_E_hSC_jLi1ELi1ELi4ELi512ELi2EEEvNS0_6detail10TensorInfoIT0_T2_EENSG_IT1_SI_EESI_T_
; %bb.0:
	s_load_dword s2, s[4:5], 0x1e4
	s_load_dword s33, s[4:5], 0x1b0
	s_add_u32 s0, s4, 0x1d8
	s_addc_u32 s1, s5, 0
	s_waitcnt lgkmcnt(0)
	s_and_b32 s2, s2, 0xffff
	s_mul_i32 s6, s6, s2
	v_add_u32_e32 v5, s6, v0
	v_lshlrev_b32_e32 v22, 2, v5
	v_cmp_gt_u32_e32 vcc, s33, v22
	s_and_saveexec_b64 s[6:7], vcc
	s_cbranch_execz .LBB11_43
; %bb.1:
	s_load_dword s3, s[0:1], 0x0
	s_load_dword s16, s[4:5], 0x1d0
	s_load_dwordx2 s[6:7], s[4:5], 0x0
	s_load_dword s17, s[4:5], 0x6c
	s_load_dwordx2 s[12:13], s[4:5], 0xd8
	s_load_dword s18, s[4:5], 0x144
	s_load_dwordx2 s[14:15], s[4:5], 0x1c8
	s_load_dwordx4 s[8:11], s[4:5], 0x1b8
	s_mov_b32 s50, 0xcd9e8d57
	s_waitcnt lgkmcnt(0)
	v_mul_lo_u32 v2, s17, v22
	s_bitcmp1_b32 s16, 0
	v_mad_u64_u32 v[0:1], s[0:1], v5, s50, 0
	v_add_u32_e32 v23, s17, v2
	v_add_u32_e32 v2, 2, v22
	s_mul_i32 s2, s3, s2
	s_cselect_b64 s[0:1], -1, 0
	v_mul_lo_u32 v24, s17, v2
	v_mul_lo_u32 v7, s17, v5
	;; [unrolled: 1-line block ×4, first 2 shown]
	s_lshl_b32 s52, s2, 2
	s_mul_i32 s3, s2, s17
	v_add_u32_e32 v6, 3, v22
	v_lshlrev_b32_e32 v26, 2, v7
	v_mul_lo_u32 v7, s18, v22
	s_mul_i32 s2, s2, s18
	v_lshlrev_b32_e32 v30, 2, v2
	v_cndmask_b32_e64 v2, 0, 1, s[0:1]
	s_mov_b32 s51, 0
	v_mov_b32_e32 v3, 0
	v_mov_b32_e32 v4, v1
	v_sub_u32_e32 v1, s33, v22
	s_lshl_b32 s53, s3, 2
	v_mul_lo_u32 v25, s17, v6
	v_add_u32_e32 v27, s18, v7
	s_lshl_b32 s54, s2, 2
	v_mul_lo_u32 v29, s18, v6
	s_mov_b64 s[18:19], 0
	v_mov_b32_e32 v31, s13
	v_cmp_ne_u32_e64 s[0:1], 1, v2
	s_mov_b32 s55, 0xd2511f53
	s_mov_b32 s56, 0xf1bbcdc8
	;; [unrolled: 1-line block ×3, first 2 shown]
                                        ; implicit-def: $sgpr20_sgpr21
                                        ; implicit-def: $sgpr22_sgpr23
                                        ; implicit-def: $sgpr24_sgpr25
                                        ; implicit-def: $sgpr16_sgpr17
                                        ; implicit-def: $sgpr26_sgpr27
                                        ; implicit-def: $sgpr28_sgpr29
                                        ; implicit-def: $sgpr30_sgpr31
                                        ; implicit-def: $sgpr34_sgpr35
	s_branch .LBB11_3
.LBB11_2:                               ;   in Loop: Header=BB11_3 Depth=1
	s_or_b64 exec, exec, s[4:5]
	s_and_b64 s[2:3], exec, s[2:3]
	s_or_b64 s[18:19], s[2:3], s[18:19]
	s_andn2_b64 s[2:3], s[16:17], exec
	s_and_b64 s[4:5], s[34:35], exec
	s_or_b64 s[16:17], s[2:3], s[4:5]
	s_andn2_b64 s[2:3], s[24:25], exec
	s_and_b64 s[4:5], s[30:31], exec
	;; [unrolled: 3-line block ×4, first 2 shown]
	s_or_b64 s[20:21], s[2:3], s[4:5]
	s_andn2_b64 exec, exec, s[18:19]
	s_cbranch_execz .LBB11_39
.LBB11_3:                               ; =>This Inner Loop Header: Depth=1
	s_waitcnt vmcnt(0)
	v_add_u32_e32 v2, s51, v29
	v_cmp_lt_i32_e64 s[2:3], 3, v1
	v_cndmask_b32_e64 v2, 0, v2, s[2:3]
	v_lshlrev_b64 v[6:7], 2, v[2:3]
	v_add_co_u32_e32 v6, vcc, s12, v6
	v_addc_co_u32_e32 v7, vcc, v31, v7, vcc
	global_load_dword v2, v[6:7], off
	s_and_b64 vcc, exec, s[0:1]
	v_pk_mov_b32 v[6:7], s[10:11], s[10:11] op_sel:[0,1]
	v_pk_mov_b32 v[8:9], s[8:9], s[8:9] op_sel:[0,1]
	s_cbranch_vccnz .LBB11_5
; %bb.4:                                ;   in Loop: Header=BB11_3 Depth=1
	v_pk_mov_b32 v[6:7], s[10:11], s[10:11] op_sel:[0,1]
	flat_load_dwordx2 v[6:7], v[6:7]
	v_pk_mov_b32 v[8:9], s[8:9], s[8:9] op_sel:[0,1]
	flat_load_dwordx2 v[8:9], v[8:9]
	v_mov_b32_e32 v10, s15
	s_waitcnt vmcnt(0) lgkmcnt(0)
	v_add_co_u32_e32 v6, vcc, s14, v6
	v_addc_co_u32_e32 v7, vcc, v7, v10, vcc
.LBB11_5:                               ;   in Loop: Header=BB11_3 Depth=1
	v_alignbit_b32 v18, v7, v6, 2
	v_lshrrev_b32_e32 v19, 2, v7
	v_xor_b32_e32 v10, v4, v8
	v_and_b32_e32 v32, 3, v6
	v_mad_u64_u32 v[6:7], s[4:5], v18, s55, 0
	v_xor_b32_e32 v10, v10, v19
	v_xor_b32_e32 v7, v7, v9
	v_add_u32_e32 v37, 0xbb67ae85, v9
	v_mad_u64_u32 v[10:11], s[4:5], v10, s55, 0
	v_mad_u64_u32 v[12:13], s[4:5], v7, s50, 0
	v_xor_b32_e32 v11, v37, v11
	v_add_u32_e32 v36, 0x9e3779b9, v8
	v_xor_b32_e32 v7, v0, v13
	v_xor_b32_e32 v11, v11, v6
	v_xor_b32_e32 v7, v7, v36
	v_add_u32_e32 v38, 0x3c6ef372, v8
	v_mad_u64_u32 v[14:15], s[4:5], v11, s50, 0
	v_add_u32_e32 v39, 0x76cf5d0a, v9
	v_mad_u64_u32 v[6:7], s[4:5], v7, s55, 0
	v_xor_b32_e32 v11, v38, v15
	v_xor_b32_e32 v11, v11, v12
	v_xor_b32_e32 v7, v39, v7
	v_xor_b32_e32 v7, v7, v10
	v_add_u32_e32 v41, 0x32370b8f, v9
	v_mad_u64_u32 v[10:11], s[4:5], v11, s55, 0
	v_add_u32_e32 v40, 0xdaa66d2b, v8
	v_mad_u64_u32 v[12:13], s[4:5], v7, s50, 0
	v_xor_b32_e32 v11, v41, v11
	;; [unrolled: 8-line block ×5, first 2 shown]
	v_xor_b32_e32 v11, v11, v12
	v_xor_b32_e32 v7, v47, v7
	;; [unrolled: 1-line block ×3, first 2 shown]
	v_add_u32_e32 v49, 0x1fd5c5a3, v9
	v_mad_u64_u32 v[10:11], s[4:5], v11, s55, 0
	v_xor_b32_e32 v11, v49, v11
	v_xor_b32_e32 v6, v11, v6
	v_add_u32_e32 v48, 0x5384540f, v8
	v_mad_u64_u32 v[16:17], s[4:5], v7, s50, 0
	v_add_co_u32_e32 v34, vcc, s56, v8
	v_mad_u64_u32 v[12:13], s[4:5], v6, s50, 0
	v_xor_b32_e32 v7, v48, v17
	v_xor_b32_e32 v6, v34, v13
	;; [unrolled: 1-line block ×4, first 2 shown]
	v_mad_u64_u32 v[14:15], s[4:5], v7, s55, 0
	v_mad_u64_u32 v[6:7], s[4:5], v6, s55, 0
	v_add_u32_e32 v35, 0x96a522ad, v9
	v_xor_b32_e32 v7, v7, v14
	v_xor_b32_e32 v33, v35, v7
	v_add_co_u32_e32 v7, vcc, 1, v18
	v_cndmask_b32_e64 v14, 0, 1, vcc
	v_addc_co_u32_e32 v20, vcc, 0, v19, vcc
	v_cmp_eq_u32_e32 vcc, 0, v20
	v_cndmask_b32_e32 v14, 0, v14, vcc
	v_add_u32_e32 v18, v14, v5
	v_cmp_eq_u32_e32 vcc, 0, v18
	v_mad_u64_u32 v[16:17], s[4:5], v7, s55, 0
	v_mad_u64_u32 v[18:19], s[4:5], v18, s50, 0
	v_add_u32_e32 v13, 0x8ff34781, v8
	v_cndmask_b32_e32 v14, 0, v14, vcc
	v_xor_b32_e32 v7, v19, v8
	v_xor_b32_e32 v8, v17, v9
	;; [unrolled: 1-line block ×4, first 2 shown]
	v_mad_u64_u32 v[20:21], s[4:5], v14, s50, 0
	v_add_u32_e32 v11, 0xdb3d7428, v9
	v_mad_u64_u32 v[8:9], s[4:5], v7, s55, 0
	v_xor_b32_e32 v7, v36, v21
	v_xor_b32_e32 v7, v7, v18
	v_xor_b32_e32 v9, v37, v9
	v_xor_b32_e32 v9, v9, v16
	v_mad_u64_u32 v[16:17], s[4:5], v7, s55, 0
	v_mad_u64_u32 v[18:19], s[4:5], v9, s50, 0
	v_xor_b32_e32 v9, v39, v17
	v_xor_b32_e32 v7, v38, v19
	v_xor_b32_e32 v14, v9, v8
	v_xor_b32_e32 v7, v7, v20
	v_mad_u64_u32 v[20:21], s[4:5], v14, s50, 0
	v_mad_u64_u32 v[8:9], s[4:5], v7, s55, 0
	v_xor_b32_e32 v7, v40, v21
	v_xor_b32_e32 v7, v7, v18
	v_xor_b32_e32 v9, v41, v9
	v_xor_b32_e32 v9, v9, v16
	v_mad_u64_u32 v[16:17], s[4:5], v7, s55, 0
	v_mad_u64_u32 v[18:19], s[4:5], v9, s50, 0
	v_xor_b32_e32 v9, v43, v17
	v_xor_b32_e32 v7, v42, v19
	v_xor_b32_e32 v14, v9, v8
	v_xor_b32_e32 v7, v7, v20
	v_mad_u64_u32 v[20:21], s[4:5], v14, s50, 0
	v_mad_u64_u32 v[8:9], s[4:5], v7, s55, 0
	v_xor_b32_e32 v7, v44, v21
	v_xor_b32_e32 v7, v7, v18
	v_xor_b32_e32 v9, v45, v9
	v_xor_b32_e32 v9, v9, v16
	v_mad_u64_u32 v[18:19], s[4:5], v7, s55, 0
	v_mad_u64_u32 v[36:37], s[4:5], v9, s50, 0
	v_xor_b32_e32 v9, v47, v19
	v_xor_b32_e32 v7, v46, v37
	v_xor_b32_e32 v14, v9, v8
	v_xor_b32_e32 v7, v7, v20
	v_mad_u64_u32 v[16:17], s[4:5], v14, s50, 0
	v_mad_u64_u32 v[8:9], s[4:5], v7, s55, 0
	v_xor_b32_e32 v7, v48, v17
	v_xor_b32_e32 v7, v7, v36
	v_xor_b32_e32 v9, v49, v9
	v_xor_b32_e32 v9, v9, v18
	v_mad_u64_u32 v[18:19], s[4:5], v7, s55, 0
	v_xor_b32_e32 v7, v11, v19
	v_xor_b32_e32 v7, v7, v8
	v_mad_u64_u32 v[20:21], s[4:5], v9, s50, 0
	v_mad_u64_u32 v[8:9], s[4:5], v7, s50, 0
	v_xor_b32_e32 v7, v9, v20
	v_xor_b32_e32 v7, v13, v7
	v_cmp_lt_i32_e32 vcc, 1, v32
                                        ; implicit-def: $vgpr17
	s_and_saveexec_b64 s[4:5], vcc
	s_xor_b64 s[4:5], exec, s[4:5]
	s_cbranch_execz .LBB11_11
; %bb.6:                                ;   in Loop: Header=BB11_3 Depth=1
	v_cmp_lt_i32_e32 vcc, 2, v32
                                        ; implicit-def: $vgpr17
	s_and_saveexec_b64 s[36:37], vcc
	s_xor_b64 s[36:37], exec, s[36:37]
; %bb.7:                                ;   in Loop: Header=BB11_3 Depth=1
	v_xor_b32_e32 v9, v34, v21
	v_xor_b32_e32 v9, v9, v16
	v_mul_hi_u32 v9, v9, s55
	v_xor_b32_e32 v9, v9, v18
	v_xor_b32_e32 v17, v35, v9
                                        ; implicit-def: $vgpr33
; %bb.8:                                ;   in Loop: Header=BB11_3 Depth=1
	s_andn2_saveexec_b64 s[36:37], s[36:37]
; %bb.9:                                ;   in Loop: Header=BB11_3 Depth=1
	v_mov_b32_e32 v17, v8
	v_mov_b32_e32 v8, v7
	;; [unrolled: 1-line block ×4, first 2 shown]
; %bb.10:                               ;   in Loop: Header=BB11_3 Depth=1
	s_or_b64 exec, exec, s[36:37]
                                        ; implicit-def: $vgpr10_vgpr11
                                        ; implicit-def: $vgpr12_vgpr13
                                        ; implicit-def: $vgpr32
                                        ; implicit-def: $vgpr33
                                        ; implicit-def: $vgpr14_vgpr15
                                        ; implicit-def: $vgpr11
                                        ; implicit-def: $vgpr13
.LBB11_11:                              ;   in Loop: Header=BB11_3 Depth=1
	s_andn2_saveexec_b64 s[4:5], s[4:5]
	s_cbranch_execz .LBB11_15
; %bb.12:                               ;   in Loop: Header=BB11_3 Depth=1
	v_xor_b32_e32 v8, v11, v15
	v_xor_b32_e32 v8, v8, v10
	v_mad_u64_u32 v[10:11], s[36:37], v8, s50, 0
	v_xor_b32_e32 v8, v11, v12
	v_xor_b32_e32 v9, v13, v8
	v_cmp_eq_u32_e32 vcc, 1, v32
	v_mov_b32_e32 v17, v6
	v_mov_b32_e32 v8, v33
	;; [unrolled: 1-line block ×3, first 2 shown]
	s_and_saveexec_b64 s[36:37], vcc
; %bb.13:                               ;   in Loop: Header=BB11_3 Depth=1
	v_mov_b32_e32 v17, v7
	v_mov_b32_e32 v8, v6
	v_mov_b32_e32 v11, v33
	v_mov_b32_e32 v9, v10
; %bb.14:                               ;   in Loop: Header=BB11_3 Depth=1
	s_or_b64 exec, exec, s[36:37]
	v_mov_b32_e32 v6, v9
	v_mov_b32_e32 v7, v11
.LBB11_15:                              ;   in Loop: Header=BB11_3 Depth=1
	s_or_b64 exec, exec, s[4:5]
	v_min_i32_e32 v9, 4, v1
	v_cmp_lt_i32_e32 vcc, 2, v9
	s_mov_b64 s[36:37], 0
	s_mov_b64 s[4:5], 0
                                        ; implicit-def: $sgpr38_sgpr39
                                        ; implicit-def: $sgpr40_sgpr41
                                        ; implicit-def: $sgpr42_sgpr43
	s_and_saveexec_b64 s[44:45], vcc
	s_xor_b64 s[44:45], exec, s[44:45]
	s_cbranch_execz .LBB11_25
; %bb.16:                               ;   in Loop: Header=BB11_3 Depth=1
	v_cmp_lt_i32_e32 vcc, 3, v9
	s_mov_b64 s[4:5], -1
                                        ; implicit-def: $sgpr38_sgpr39
                                        ; implicit-def: $sgpr46_sgpr47
	s_and_saveexec_b64 s[40:41], vcc
	s_cbranch_execz .LBB11_20
; %bb.17:                               ;   in Loop: Header=BB11_3 Depth=1
	s_waitcnt vmcnt(0)
	v_cmp_le_f32_e32 vcc, 0, v2
	v_cmp_ge_f32_e64 s[4:5], 1.0, v2
	s_and_b64 s[46:47], vcc, s[4:5]
	s_mov_b64 s[38:39], 0
	s_mov_b64 s[4:5], 0
	s_and_saveexec_b64 s[42:43], s[46:47]
	s_cbranch_execz .LBB11_19
; %bb.18:                               ;   in Loop: Header=BB11_3 Depth=1
	v_cvt_f32_u32_e32 v10, v17
	v_mov_b32_e32 v11, 0x2f800000
	v_add_u32_e32 v12, s57, v25
	s_mov_b64 s[4:5], exec
	v_fmac_f32_e32 v11, 0x2f800000, v10
	v_cmp_le_f32_e32 vcc, v11, v2
	v_cndmask_b32_e64 v10, 0, v12, s[2:3]
	v_cndmask_b32_e64 v2, 0, 1, vcc
	global_store_byte v10, v2, s[6:7]
.LBB11_19:                              ;   in Loop: Header=BB11_3 Depth=1
	s_or_b64 exec, exec, s[42:43]
	s_mov_b64 s[46:47], -1
	s_orn2_b64 s[4:5], s[4:5], exec
.LBB11_20:                              ;   in Loop: Header=BB11_3 Depth=1
	s_or_b64 exec, exec, s[40:41]
	s_mov_b64 s[2:3], 0
	s_mov_b64 s[42:43], s[38:39]
	s_and_saveexec_b64 s[40:41], s[4:5]
	s_cbranch_execz .LBB11_24
; %bb.21:                               ;   in Loop: Header=BB11_3 Depth=1
	s_waitcnt vmcnt(0)
	v_add_u32_e32 v2, s51, v28
	v_cmp_lt_i32_e32 vcc, 2, v1
	v_cndmask_b32_e32 v2, 0, v2, vcc
	v_lshlrev_b64 v[10:11], 2, v[2:3]
	v_mov_b32_e32 v2, s13
	v_add_co_u32_e64 v10, s[2:3], s12, v10
	v_addc_co_u32_e64 v11, s[2:3], v2, v11, s[2:3]
	global_load_dword v2, v[10:11], off
	s_waitcnt vmcnt(0)
	v_cmp_le_f32_e64 s[2:3], 0, v2
	v_cmp_ge_f32_e64 s[4:5], 1.0, v2
	s_and_b64 s[4:5], s[2:3], s[4:5]
	s_mov_b64 s[2:3], 0
	s_and_saveexec_b64 s[42:43], s[4:5]
	s_xor_b64 s[4:5], exec, s[42:43]
	s_cbranch_execz .LBB11_23
; %bb.22:                               ;   in Loop: Header=BB11_3 Depth=1
	v_cvt_f32_u32_e32 v8, v8
	v_mov_b32_e32 v10, 0x2f800000
	v_add_u32_e32 v11, s57, v24
	s_mov_b64 s[2:3], exec
	v_fmac_f32_e32 v10, 0x2f800000, v8
	v_cndmask_b32_e32 v8, 0, v11, vcc
	v_cmp_le_f32_e32 vcc, v10, v2
	v_cndmask_b32_e64 v2, 0, 1, vcc
	global_store_byte v8, v2, s[6:7]
.LBB11_23:                              ;   in Loop: Header=BB11_3 Depth=1
	s_or_b64 exec, exec, s[4:5]
	s_andn2_b64 s[42:43], s[38:39], exec
	s_or_b64 s[38:39], s[38:39], exec
	s_andn2_b64 s[46:47], s[46:47], exec
	s_and_b64 s[2:3], s[2:3], exec
.LBB11_24:                              ;   in Loop: Header=BB11_3 Depth=1
	s_or_b64 exec, exec, s[40:41]
	s_and_b64 s[42:43], s[42:43], exec
	s_and_b64 s[40:41], s[38:39], exec
	;; [unrolled: 1-line block ×4, first 2 shown]
.LBB11_25:                              ;   in Loop: Header=BB11_3 Depth=1
	s_andn2_saveexec_b64 s[2:3], s[44:45]
; %bb.26:                               ;   in Loop: Header=BB11_3 Depth=1
	v_cmp_lt_i32_e32 vcc, 1, v9
	s_andn2_b64 s[4:5], s[4:5], exec
	s_and_b64 s[44:45], vcc, exec
	s_mov_b64 s[36:37], exec
	s_andn2_b64 s[42:43], s[42:43], exec
	s_andn2_b64 s[40:41], s[40:41], exec
	;; [unrolled: 1-line block ×3, first 2 shown]
	s_or_b64 s[4:5], s[4:5], s[44:45]
; %bb.27:                               ;   in Loop: Header=BB11_3 Depth=1
	s_or_b64 exec, exec, s[2:3]
	s_mov_b64 s[44:45], 0
	s_mov_b64 s[2:3], 0
	;; [unrolled: 1-line block ×3, first 2 shown]
	s_and_saveexec_b64 s[48:49], s[4:5]
	s_cbranch_execnz .LBB11_30
; %bb.28:                               ;   in Loop: Header=BB11_3 Depth=1
	s_or_b64 exec, exec, s[48:49]
	s_and_saveexec_b64 s[4:5], s[36:37]
	s_cbranch_execnz .LBB11_33
.LBB11_29:                              ;   in Loop: Header=BB11_3 Depth=1
	s_or_b64 exec, exec, s[4:5]
	s_and_saveexec_b64 s[36:37], s[2:3]
	s_cbranch_execnz .LBB11_34
	s_branch .LBB11_37
.LBB11_30:                              ;   in Loop: Header=BB11_3 Depth=1
	s_waitcnt vmcnt(0)
	v_add_u32_e32 v2, s51, v27
	v_cmp_lt_i32_e32 vcc, 1, v1
	v_cndmask_b32_e32 v2, 0, v2, vcc
	v_lshlrev_b64 v[10:11], 2, v[2:3]
	v_mov_b32_e32 v2, s13
	v_add_co_u32_e64 v10, s[2:3], s12, v10
	v_addc_co_u32_e64 v11, s[2:3], v2, v11, s[2:3]
	global_load_dword v2, v[10:11], off
	s_waitcnt vmcnt(0)
	v_cmp_le_f32_e64 s[2:3], 0, v2
	v_cmp_ge_f32_e64 s[4:5], 1.0, v2
	s_and_b64 s[4:5], s[2:3], s[4:5]
	s_mov_b64 s[2:3], 0
	s_and_saveexec_b64 s[46:47], s[4:5]
	s_xor_b64 s[4:5], exec, s[46:47]
	s_cbranch_execz .LBB11_32
; %bb.31:                               ;   in Loop: Header=BB11_3 Depth=1
	v_cvt_f32_u32_e32 v7, v7
	v_mov_b32_e32 v8, 0x2f800000
	v_add_u32_e32 v10, s57, v23
	s_mov_b64 s[2:3], exec
	v_fmac_f32_e32 v8, 0x2f800000, v7
	v_cndmask_b32_e32 v7, 0, v10, vcc
	v_cmp_le_f32_e32 vcc, v8, v2
	v_cndmask_b32_e64 v2, 0, 1, vcc
	global_store_byte v7, v2, s[6:7]
.LBB11_32:                              ;   in Loop: Header=BB11_3 Depth=1
	s_or_b64 exec, exec, s[4:5]
	s_andn2_b64 s[46:47], s[42:43], exec
	s_or_b64 s[42:43], s[42:43], exec
	s_andn2_b64 s[40:41], s[40:41], exec
	s_andn2_b64 s[38:39], s[38:39], exec
	s_and_b64 s[2:3], s[2:3], exec
	s_andn2_b64 s[36:37], s[36:37], exec
	s_or_b64 exec, exec, s[48:49]
	s_and_saveexec_b64 s[4:5], s[36:37]
	s_cbranch_execz .LBB11_29
.LBB11_33:                              ;   in Loop: Header=BB11_3 Depth=1
	v_cmp_eq_u32_e32 vcc, 1, v9
	s_andn2_b64 s[2:3], s[2:3], exec
	s_and_b64 s[36:37], vcc, exec
	s_mov_b64 s[44:45], exec
	s_andn2_b64 s[46:47], s[46:47], exec
	s_andn2_b64 s[42:43], s[42:43], exec
	;; [unrolled: 1-line block ×4, first 2 shown]
	s_or_b64 s[2:3], s[2:3], s[36:37]
	s_or_b64 exec, exec, s[4:5]
	s_and_saveexec_b64 s[36:37], s[2:3]
	s_cbranch_execz .LBB11_37
.LBB11_34:                              ;   in Loop: Header=BB11_3 Depth=1
	s_waitcnt vmcnt(0)
	v_add_u32_e32 v2, s51, v30
	v_cmp_lt_i32_e32 vcc, 0, v1
	v_cndmask_b32_e32 v2, 0, v2, vcc
	v_lshlrev_b64 v[8:9], 2, v[2:3]
	v_mov_b32_e32 v2, s13
	v_add_co_u32_e64 v8, s[2:3], s12, v8
	v_addc_co_u32_e64 v9, s[2:3], v2, v9, s[2:3]
	global_load_dword v2, v[8:9], off
	s_waitcnt vmcnt(0)
	v_cmp_le_f32_e64 s[2:3], 0, v2
	v_cmp_ge_f32_e64 s[4:5], 1.0, v2
	s_and_b64 s[48:49], s[2:3], s[4:5]
	s_mov_b64 s[2:3], 0
	s_and_saveexec_b64 s[4:5], s[48:49]
	s_cbranch_execz .LBB11_36
; %bb.35:                               ;   in Loop: Header=BB11_3 Depth=1
	v_cvt_f32_u32_e32 v6, v6
	v_mov_b32_e32 v7, 0x2f800000
	v_add_u32_e32 v8, s57, v26
	s_mov_b64 s[2:3], exec
	v_fmac_f32_e32 v7, 0x2f800000, v6
	v_cndmask_b32_e32 v6, 0, v8, vcc
	v_cmp_le_f32_e32 vcc, v7, v2
	v_cndmask_b32_e64 v2, 0, 1, vcc
	global_store_byte v6, v2, s[6:7]
.LBB11_36:                              ;   in Loop: Header=BB11_3 Depth=1
	s_or_b64 exec, exec, s[4:5]
	s_andn2_b64 s[4:5], s[44:45], exec
	s_and_b64 s[2:3], s[2:3], exec
	s_or_b64 s[46:47], s[46:47], exec
	s_andn2_b64 s[42:43], s[42:43], exec
	s_andn2_b64 s[40:41], s[40:41], exec
	s_andn2_b64 s[38:39], s[38:39], exec
	s_or_b64 s[44:45], s[4:5], s[2:3]
.LBB11_37:                              ;   in Loop: Header=BB11_3 Depth=1
	s_or_b64 exec, exec, s[36:37]
	s_andn2_b64 s[4:5], s[34:35], exec
	s_and_b64 s[34:35], s[46:47], exec
	s_or_b64 s[34:35], s[4:5], s[34:35]
	s_andn2_b64 s[4:5], s[30:31], exec
	s_and_b64 s[30:31], s[42:43], exec
	s_or_b64 s[30:31], s[4:5], s[30:31]
	;; [unrolled: 3-line block ×3, first 2 shown]
	s_andn2_b64 s[4:5], s[26:27], exec
	s_and_b64 s[26:27], s[38:39], exec
	s_mov_b64 s[2:3], -1
	s_or_b64 s[26:27], s[4:5], s[26:27]
	s_and_saveexec_b64 s[4:5], s[44:45]
	s_cbranch_execz .LBB11_2
; %bb.38:                               ;   in Loop: Header=BB11_3 Depth=1
	v_add_u32_e32 v22, s52, v22
	v_cmp_le_u32_e32 vcc, s33, v22
	v_subrev_u32_e32 v1, s52, v1
	s_add_i32 s57, s57, s53
	s_add_i32 s51, s51, s54
	s_andn2_b64 s[34:35], s[34:35], exec
	s_andn2_b64 s[30:31], s[30:31], exec
	;; [unrolled: 1-line block ×4, first 2 shown]
	s_orn2_b64 s[2:3], vcc, exec
	s_branch .LBB11_2
.LBB11_39:
	s_or_b64 exec, exec, s[18:19]
	s_xor_b64 s[6:7], s[24:25], -1
	s_xor_b64 s[8:9], s[22:23], -1
	s_xor_b64 s[0:1], s[20:21], -1
	s_mov_b64 s[2:3], 0
	s_and_saveexec_b64 s[4:5], s[0:1]
	s_xor_b64 s[0:1], exec, s[4:5]
	s_cbranch_execnz .LBB11_44
; %bb.40:
	s_andn2_saveexec_b64 s[0:1], s[0:1]
	s_cbranch_execnz .LBB11_52
.LBB11_41:
	s_or_b64 exec, exec, s[0:1]
	s_and_b64 exec, exec, s[2:3]
.LBB11_42:
	; divergent unreachable
.LBB11_43:
	s_endpgm
.LBB11_44:
	s_mov_b64 s[4:5], 0
	s_and_saveexec_b64 s[2:3], s[8:9]
	s_xor_b64 s[2:3], exec, s[2:3]
	s_cbranch_execz .LBB11_50
; %bb.45:
	s_and_saveexec_b64 s[8:9], s[6:7]
	s_xor_b64 s[6:7], exec, s[8:9]
	s_cbranch_execz .LBB11_48
; %bb.46:
	s_and_saveexec_b64 s[8:9], s[16:17]
	s_xor_b64 s[8:9], exec, s[8:9]
	s_cbranch_execnz .LBB11_55
.LBB11_47:
	s_or_b64 exec, exec, s[8:9]
	s_and_b64 s[4:5], s[4:5], exec
.LBB11_48:
	s_andn2_saveexec_b64 s[6:7], s[6:7]
	s_cbranch_execnz .LBB11_54
.LBB11_49:
	s_or_b64 exec, exec, s[6:7]
	s_and_b64 s[4:5], s[4:5], exec
.LBB11_50:
	s_andn2_saveexec_b64 s[2:3], s[2:3]
	s_cbranch_execnz .LBB11_53
.LBB11_51:
	s_or_b64 exec, exec, s[2:3]
	s_and_b64 s[2:3], s[4:5], exec
	s_andn2_saveexec_b64 s[0:1], s[0:1]
	s_cbranch_execz .LBB11_41
.LBB11_52:
	s_or_b64 s[2:3], s[2:3], exec
	s_trap 2
	s_or_b64 exec, exec, s[0:1]
	s_and_b64 exec, exec, s[2:3]
	s_cbranch_execnz .LBB11_42
	s_branch .LBB11_43
.LBB11_53:
	s_or_b64 s[4:5], s[4:5], exec
	s_trap 2
	s_branch .LBB11_51
.LBB11_54:
	s_trap 2
	s_or_b64 s[4:5], s[4:5], exec
	s_branch .LBB11_49
.LBB11_55:
	s_mov_b64 s[4:5], exec
	s_trap 2
	s_branch .LBB11_47
	.section	.rodata,"a",@progbits
	.p2align	6, 0x0
	.amdhsa_kernel _ZN2at4cuda12_GLOBAL__N_121kernelPointwiseApply2IZNS_6native9templates4cuda28bernoulli_tensor_cuda_kernelIhfEEvRKNS_10TensorBaseES9_NS_15PhiloxCudaStateEEUliRhSB_SB_SB_RKfSD_SD_SD_E_hSC_jLi1ELi1ELi4ELi512ELi2EEEvNS0_6detail10TensorInfoIT0_T2_EENSG_IT1_SI_EESI_T_
		.amdhsa_group_segment_fixed_size 0
		.amdhsa_private_segment_fixed_size 0
		.amdhsa_kernarg_size 728
		.amdhsa_user_sgpr_count 6
		.amdhsa_user_sgpr_private_segment_buffer 1
		.amdhsa_user_sgpr_dispatch_ptr 0
		.amdhsa_user_sgpr_queue_ptr 0
		.amdhsa_user_sgpr_kernarg_segment_ptr 1
		.amdhsa_user_sgpr_dispatch_id 0
		.amdhsa_user_sgpr_flat_scratch_init 0
		.amdhsa_user_sgpr_kernarg_preload_length 0
		.amdhsa_user_sgpr_kernarg_preload_offset 0
		.amdhsa_user_sgpr_private_segment_size 0
		.amdhsa_uses_dynamic_stack 0
		.amdhsa_system_sgpr_private_segment_wavefront_offset 0
		.amdhsa_system_sgpr_workgroup_id_x 1
		.amdhsa_system_sgpr_workgroup_id_y 0
		.amdhsa_system_sgpr_workgroup_id_z 0
		.amdhsa_system_sgpr_workgroup_info 0
		.amdhsa_system_vgpr_workitem_id 0
		.amdhsa_next_free_vgpr 50
		.amdhsa_next_free_sgpr 58
		.amdhsa_accum_offset 52
		.amdhsa_reserve_vcc 1
		.amdhsa_reserve_flat_scratch 0
		.amdhsa_float_round_mode_32 0
		.amdhsa_float_round_mode_16_64 0
		.amdhsa_float_denorm_mode_32 3
		.amdhsa_float_denorm_mode_16_64 3
		.amdhsa_dx10_clamp 1
		.amdhsa_ieee_mode 1
		.amdhsa_fp16_overflow 0
		.amdhsa_tg_split 0
		.amdhsa_exception_fp_ieee_invalid_op 0
		.amdhsa_exception_fp_denorm_src 0
		.amdhsa_exception_fp_ieee_div_zero 0
		.amdhsa_exception_fp_ieee_overflow 0
		.amdhsa_exception_fp_ieee_underflow 0
		.amdhsa_exception_fp_ieee_inexact 0
		.amdhsa_exception_int_div_zero 0
	.end_amdhsa_kernel
	.section	.text._ZN2at4cuda12_GLOBAL__N_121kernelPointwiseApply2IZNS_6native9templates4cuda28bernoulli_tensor_cuda_kernelIhfEEvRKNS_10TensorBaseES9_NS_15PhiloxCudaStateEEUliRhSB_SB_SB_RKfSD_SD_SD_E_hSC_jLi1ELi1ELi4ELi512ELi2EEEvNS0_6detail10TensorInfoIT0_T2_EENSG_IT1_SI_EESI_T_,"axG",@progbits,_ZN2at4cuda12_GLOBAL__N_121kernelPointwiseApply2IZNS_6native9templates4cuda28bernoulli_tensor_cuda_kernelIhfEEvRKNS_10TensorBaseES9_NS_15PhiloxCudaStateEEUliRhSB_SB_SB_RKfSD_SD_SD_E_hSC_jLi1ELi1ELi4ELi512ELi2EEEvNS0_6detail10TensorInfoIT0_T2_EENSG_IT1_SI_EESI_T_,comdat
.Lfunc_end11:
	.size	_ZN2at4cuda12_GLOBAL__N_121kernelPointwiseApply2IZNS_6native9templates4cuda28bernoulli_tensor_cuda_kernelIhfEEvRKNS_10TensorBaseES9_NS_15PhiloxCudaStateEEUliRhSB_SB_SB_RKfSD_SD_SD_E_hSC_jLi1ELi1ELi4ELi512ELi2EEEvNS0_6detail10TensorInfoIT0_T2_EENSG_IT1_SI_EESI_T_, .Lfunc_end11-_ZN2at4cuda12_GLOBAL__N_121kernelPointwiseApply2IZNS_6native9templates4cuda28bernoulli_tensor_cuda_kernelIhfEEvRKNS_10TensorBaseES9_NS_15PhiloxCudaStateEEUliRhSB_SB_SB_RKfSD_SD_SD_E_hSC_jLi1ELi1ELi4ELi512ELi2EEEvNS0_6detail10TensorInfoIT0_T2_EENSG_IT1_SI_EESI_T_
                                        ; -- End function
	.section	.AMDGPU.csdata,"",@progbits
; Kernel info:
; codeLenInByte = 2604
; NumSgprs: 62
; NumVgprs: 50
; NumAgprs: 0
; TotalNumVgprs: 50
; ScratchSize: 0
; MemoryBound: 0
; FloatMode: 240
; IeeeMode: 1
; LDSByteSize: 0 bytes/workgroup (compile time only)
; SGPRBlocks: 7
; VGPRBlocks: 6
; NumSGPRsForWavesPerEU: 62
; NumVGPRsForWavesPerEU: 50
; AccumOffset: 52
; Occupancy: 8
; WaveLimiterHint : 1
; COMPUTE_PGM_RSRC2:SCRATCH_EN: 0
; COMPUTE_PGM_RSRC2:USER_SGPR: 6
; COMPUTE_PGM_RSRC2:TRAP_HANDLER: 0
; COMPUTE_PGM_RSRC2:TGID_X_EN: 1
; COMPUTE_PGM_RSRC2:TGID_Y_EN: 0
; COMPUTE_PGM_RSRC2:TGID_Z_EN: 0
; COMPUTE_PGM_RSRC2:TIDIG_COMP_CNT: 0
; COMPUTE_PGM_RSRC3_GFX90A:ACCUM_OFFSET: 12
; COMPUTE_PGM_RSRC3_GFX90A:TG_SPLIT: 0
	.section	.text._ZN2at4cuda12_GLOBAL__N_121kernelPointwiseApply2IZNS_6native9templates4cuda28bernoulli_tensor_cuda_kernelIhfEEvRKNS_10TensorBaseES9_NS_15PhiloxCudaStateEEUliRhSB_SB_SB_RKfSD_SD_SD_E_hSC_jLi1ELi2ELi4ELi512ELi2EEEvNS0_6detail10TensorInfoIT0_T2_EENSG_IT1_SI_EESI_T_,"axG",@progbits,_ZN2at4cuda12_GLOBAL__N_121kernelPointwiseApply2IZNS_6native9templates4cuda28bernoulli_tensor_cuda_kernelIhfEEvRKNS_10TensorBaseES9_NS_15PhiloxCudaStateEEUliRhSB_SB_SB_RKfSD_SD_SD_E_hSC_jLi1ELi2ELi4ELi512ELi2EEEvNS0_6detail10TensorInfoIT0_T2_EENSG_IT1_SI_EESI_T_,comdat
	.globl	_ZN2at4cuda12_GLOBAL__N_121kernelPointwiseApply2IZNS_6native9templates4cuda28bernoulli_tensor_cuda_kernelIhfEEvRKNS_10TensorBaseES9_NS_15PhiloxCudaStateEEUliRhSB_SB_SB_RKfSD_SD_SD_E_hSC_jLi1ELi2ELi4ELi512ELi2EEEvNS0_6detail10TensorInfoIT0_T2_EENSG_IT1_SI_EESI_T_ ; -- Begin function _ZN2at4cuda12_GLOBAL__N_121kernelPointwiseApply2IZNS_6native9templates4cuda28bernoulli_tensor_cuda_kernelIhfEEvRKNS_10TensorBaseES9_NS_15PhiloxCudaStateEEUliRhSB_SB_SB_RKfSD_SD_SD_E_hSC_jLi1ELi2ELi4ELi512ELi2EEEvNS0_6detail10TensorInfoIT0_T2_EENSG_IT1_SI_EESI_T_
	.p2align	8
	.type	_ZN2at4cuda12_GLOBAL__N_121kernelPointwiseApply2IZNS_6native9templates4cuda28bernoulli_tensor_cuda_kernelIhfEEvRKNS_10TensorBaseES9_NS_15PhiloxCudaStateEEUliRhSB_SB_SB_RKfSD_SD_SD_E_hSC_jLi1ELi2ELi4ELi512ELi2EEEvNS0_6detail10TensorInfoIT0_T2_EENSG_IT1_SI_EESI_T_,@function
_ZN2at4cuda12_GLOBAL__N_121kernelPointwiseApply2IZNS_6native9templates4cuda28bernoulli_tensor_cuda_kernelIhfEEvRKNS_10TensorBaseES9_NS_15PhiloxCudaStateEEUliRhSB_SB_SB_RKfSD_SD_SD_E_hSC_jLi1ELi2ELi4ELi512ELi2EEEvNS0_6detail10TensorInfoIT0_T2_EENSG_IT1_SI_EESI_T_: ; @_ZN2at4cuda12_GLOBAL__N_121kernelPointwiseApply2IZNS_6native9templates4cuda28bernoulli_tensor_cuda_kernelIhfEEvRKNS_10TensorBaseES9_NS_15PhiloxCudaStateEEUliRhSB_SB_SB_RKfSD_SD_SD_E_hSC_jLi1ELi2ELi4ELi512ELi2EEEvNS0_6detail10TensorInfoIT0_T2_EENSG_IT1_SI_EESI_T_
; %bb.0:
	s_load_dword s2, s[4:5], 0x1e4
	s_load_dword s33, s[4:5], 0x1b0
	s_add_u32 s0, s4, 0x1d8
	s_addc_u32 s1, s5, 0
	s_waitcnt lgkmcnt(0)
	s_and_b32 s2, s2, 0xffff
	s_mul_i32 s6, s6, s2
	v_add_u32_e32 v1, s6, v0
	v_lshlrev_b32_e32 v0, 2, v1
	v_cmp_gt_u32_e32 vcc, s33, v0
	s_and_saveexec_b64 s[6:7], vcc
	s_cbranch_execz .LBB12_51
; %bb.1:
	s_load_dwordx2 s[12:13], s[4:5], 0x0
	s_load_dword s3, s[4:5], 0x6c
	s_load_dwordx2 s[14:15], s[4:5], 0xd8
	s_load_dword s56, s[4:5], 0xe4
	s_load_dword s6, s[0:1], 0x0
	s_load_dwordx2 s[16:17], s[4:5], 0x1c8
	s_load_dword s7, s[4:5], 0x1d0
	s_load_dwordx2 s[18:19], s[4:5], 0x144
	s_load_dwordx4 s[8:11], s[4:5], 0x1b8
	s_waitcnt lgkmcnt(0)
	v_cvt_f32_u32_e32 v2, s56
	s_mov_b32 s57, 0xcd9e8d57
	s_bitcmp1_b32 s7, 0
	s_cselect_b64 s[22:23], -1, 0
	v_rcp_iflag_f32_e32 v4, v2
	v_mad_u64_u32 v[2:3], s[0:1], v1, s57, 0
	s_sub_i32 s60, 0, s56
	v_mul_f32_e32 v4, 0x4f7ffffe, v4
	v_cvt_u32_f32_e32 v4, v4
	v_mov_b32_e32 v6, v3
	s_mul_i32 s6, s6, s2
	s_lshl_b32 s59, s6, 2
	v_mul_lo_u32 v3, s60, v4
	v_mul_hi_u32 v3, v4, v3
	v_add_u32_e32 v3, v4, v3
	v_add_u32_e32 v4, 2, v0
	v_mul_lo_u32 v32, v0, s3
	v_mul_lo_u32 v34, s3, v4
	v_add_u32_e32 v4, 3, v0
	s_mov_b32 s58, 0
	v_mov_b32_e32 v5, 0
	v_sub_u32_e32 v7, s33, v0
	v_add_u32_e32 v33, s3, v32
	s_mul_i32 s61, s59, s3
	v_mul_lo_u32 v35, s3, v4
	s_mov_b64 s[24:25], 0
	s_mov_b32 s62, 0xd2511f53
	s_mov_b32 s63, 0xf1bbcdc8
                                        ; implicit-def: $sgpr26_sgpr27
                                        ; implicit-def: $sgpr28_sgpr29
                                        ; implicit-def: $sgpr30_sgpr31
                                        ; implicit-def: $sgpr20_sgpr21
                                        ; implicit-def: $sgpr34_sgpr35
                                        ; implicit-def: $sgpr36_sgpr37
                                        ; implicit-def: $sgpr38_sgpr39
                                        ; implicit-def: $sgpr40_sgpr41
	s_branch .LBB12_3
.LBB12_2:                               ;   in Loop: Header=BB12_3 Depth=1
	s_or_b64 exec, exec, s[2:3]
	s_and_b64 s[0:1], exec, s[0:1]
	s_or_b64 s[24:25], s[0:1], s[24:25]
	s_andn2_b64 s[0:1], s[20:21], exec
	s_and_b64 s[2:3], s[40:41], exec
	s_or_b64 s[20:21], s[0:1], s[2:3]
	s_andn2_b64 s[0:1], s[30:31], exec
	s_and_b64 s[2:3], s[38:39], exec
	;; [unrolled: 3-line block ×4, first 2 shown]
	s_or_b64 s[26:27], s[0:1], s[2:3]
	s_andn2_b64 exec, exec, s[24:25]
	s_cbranch_execz .LBB12_47
.LBB12_3:                               ; =>This Inner Loop Header: Depth=1
	v_pk_mov_b32 v[10:11], 0, 0
	v_cmp_lt_i32_e64 s[0:1], 0, v7
	v_pk_mov_b32 v[8:9], v[10:11], v[10:11] op_sel:[0,1]
	s_and_saveexec_b64 s[2:3], s[0:1]
	s_cbranch_execz .LBB12_5
; %bb.4:                                ;   in Loop: Header=BB12_3 Depth=1
	s_waitcnt vmcnt(0)
	v_mul_hi_u32 v4, v3, v0
	v_not_b32_e32 v12, v4
	v_mad_u64_u32 v[8:9], s[4:5], s60, v4, v[0:1]
	v_add_u32_e32 v9, 1, v4
	v_cmp_le_u32_e32 vcc, s56, v8
	v_mad_u64_u32 v[12:13], s[4:5], s56, v12, v[0:1]
	v_cndmask_b32_e32 v4, v4, v9, vcc
	v_cndmask_b32_e32 v8, v8, v12, vcc
	v_add_u32_e32 v9, 1, v4
	v_cmp_le_u32_e32 vcc, s56, v8
	v_cndmask_b32_e32 v12, v4, v9, vcc
	v_mad_u64_u32 v[8:9], s[4:5], s60, v12, v[0:1]
	v_mul_lo_u32 v4, v8, s19
	v_mad_u64_u32 v[8:9], s[4:5], v12, s18, v[4:5]
	v_mov_b32_e32 v9, v5
.LBB12_5:                               ;   in Loop: Header=BB12_3 Depth=1
	s_or_b64 exec, exec, s[2:3]
	v_cmp_lt_i32_e64 s[2:3], 1, v7
	s_and_saveexec_b64 s[4:5], s[2:3]
	s_cbranch_execz .LBB12_7
; %bb.6:                                ;   in Loop: Header=BB12_3 Depth=1
	s_waitcnt vmcnt(0)
	v_add_u32_e32 v4, 1, v0
	v_mul_hi_u32 v10, v4, v3
	v_mul_lo_u32 v11, v10, s56
	v_sub_u32_e32 v11, v4, v11
	v_add_u32_e32 v12, 1, v10
	v_cmp_le_u32_e32 vcc, s56, v11
	v_cndmask_b32_e32 v10, v10, v12, vcc
	v_subrev_u32_e32 v12, s56, v11
	v_cndmask_b32_e32 v11, v11, v12, vcc
	v_add_u32_e32 v12, 1, v10
	v_cmp_le_u32_e32 vcc, s56, v11
	v_cndmask_b32_e32 v10, v10, v12, vcc
	v_mul_lo_u32 v11, v10, s56
	v_sub_u32_e32 v4, v4, v11
	v_mul_lo_u32 v4, v4, s19
	v_mad_u64_u32 v[10:11], s[6:7], v10, s18, v[4:5]
	v_mov_b32_e32 v11, v5
.LBB12_7:                               ;   in Loop: Header=BB12_3 Depth=1
	s_or_b64 exec, exec, s[4:5]
	v_pk_mov_b32 v[16:17], 0, 0
	v_cmp_lt_i32_e64 s[4:5], 2, v7
	v_pk_mov_b32 v[14:15], v[16:17], v[16:17] op_sel:[0,1]
	s_and_saveexec_b64 s[6:7], s[4:5]
	s_cbranch_execz .LBB12_9
; %bb.8:                                ;   in Loop: Header=BB12_3 Depth=1
	s_waitcnt vmcnt(0)
	v_add_u32_e32 v4, 2, v0
	v_mul_hi_u32 v12, v4, v3
	v_mul_lo_u32 v13, v12, s56
	v_sub_u32_e32 v13, v4, v13
	v_add_u32_e32 v14, 1, v12
	v_cmp_le_u32_e32 vcc, s56, v13
	v_cndmask_b32_e32 v12, v12, v14, vcc
	v_subrev_u32_e32 v14, s56, v13
	v_cndmask_b32_e32 v13, v13, v14, vcc
	v_add_u32_e32 v14, 1, v12
	v_cmp_le_u32_e32 vcc, s56, v13
	v_cndmask_b32_e32 v12, v12, v14, vcc
	v_mul_lo_u32 v13, v12, s56
	v_sub_u32_e32 v4, v4, v13
	v_mul_lo_u32 v4, v4, s19
	v_mad_u64_u32 v[14:15], s[42:43], v12, s18, v[4:5]
	v_mov_b32_e32 v15, v5
.LBB12_9:                               ;   in Loop: Header=BB12_3 Depth=1
	s_or_b64 exec, exec, s[6:7]
	v_cmp_lt_i32_e32 vcc, 3, v7
	v_pk_mov_b32 v[12:13], v[16:17], v[16:17] op_sel:[0,1]
	s_and_saveexec_b64 s[6:7], vcc
	s_cbranch_execz .LBB12_11
; %bb.10:                               ;   in Loop: Header=BB12_3 Depth=1
	v_add_u32_e32 v12, 3, v0
	v_mul_hi_u32 v13, v12, v3
	v_mul_lo_u32 v16, v13, s56
	v_sub_u32_e32 v16, v12, v16
	v_add_u32_e32 v17, 1, v13
	v_cmp_le_u32_e32 vcc, s56, v16
	v_cndmask_b32_e32 v13, v13, v17, vcc
	v_subrev_u32_e32 v17, s56, v16
	v_cndmask_b32_e32 v16, v16, v17, vcc
	v_add_u32_e32 v17, 1, v13
	v_cmp_le_u32_e32 vcc, s56, v16
	v_cndmask_b32_e32 v13, v13, v17, vcc
	v_mul_lo_u32 v16, v13, s56
	v_sub_u32_e32 v12, v12, v16
	v_mul_lo_u32 v12, v12, s19
	s_waitcnt vmcnt(0)
	v_add_u32_e32 v4, s58, v35
	v_mad_u64_u32 v[12:13], s[42:43], v13, s18, v[12:13]
	v_mov_b32_e32 v13, v5
	v_pk_mov_b32 v[16:17], v[4:5], v[4:5] op_sel:[0,1]
.LBB12_11:                              ;   in Loop: Header=BB12_3 Depth=1
	s_or_b64 exec, exec, s[6:7]
	v_lshlrev_b64 v[12:13], 2, v[12:13]
	s_waitcnt vmcnt(0)
	v_mov_b32_e32 v4, s15
	v_add_co_u32_e32 v12, vcc, s14, v12
	v_addc_co_u32_e32 v13, vcc, v4, v13, vcc
	global_load_dword v4, v[12:13], off
	s_andn2_b64 vcc, exec, s[22:23]
	v_pk_mov_b32 v[12:13], s[10:11], s[10:11] op_sel:[0,1]
	v_pk_mov_b32 v[18:19], s[8:9], s[8:9] op_sel:[0,1]
	s_cbranch_vccnz .LBB12_13
; %bb.12:                               ;   in Loop: Header=BB12_3 Depth=1
	v_pk_mov_b32 v[12:13], s[10:11], s[10:11] op_sel:[0,1]
	flat_load_dwordx2 v[12:13], v[12:13]
	v_pk_mov_b32 v[18:19], s[8:9], s[8:9] op_sel:[0,1]
	flat_load_dwordx2 v[18:19], v[18:19]
	v_mov_b32_e32 v20, s17
	s_waitcnt vmcnt(0) lgkmcnt(0)
	v_add_co_u32_e32 v12, vcc, s16, v12
	v_addc_co_u32_e32 v13, vcc, v13, v20, vcc
.LBB12_13:                              ;   in Loop: Header=BB12_3 Depth=1
	v_alignbit_b32 v28, v13, v12, 2
	v_lshrrev_b32_e32 v29, 2, v13
	v_xor_b32_e32 v20, v6, v18
	v_and_b32_e32 v36, 3, v12
	v_mad_u64_u32 v[12:13], s[6:7], v28, s62, 0
	v_xor_b32_e32 v20, v20, v29
	v_xor_b32_e32 v13, v13, v19
	v_add_u32_e32 v41, 0xbb67ae85, v19
	v_mad_u64_u32 v[20:21], s[6:7], v20, s62, 0
	v_mad_u64_u32 v[22:23], s[6:7], v13, s57, 0
	v_xor_b32_e32 v21, v41, v21
	v_add_u32_e32 v40, 0x9e3779b9, v18
	v_xor_b32_e32 v13, v2, v23
	v_xor_b32_e32 v21, v21, v12
	v_xor_b32_e32 v13, v13, v40
	v_add_u32_e32 v42, 0x3c6ef372, v18
	v_mad_u64_u32 v[24:25], s[6:7], v21, s57, 0
	v_add_u32_e32 v43, 0x76cf5d0a, v19
	v_mad_u64_u32 v[12:13], s[6:7], v13, s62, 0
	v_xor_b32_e32 v21, v42, v25
	v_xor_b32_e32 v21, v21, v22
	v_xor_b32_e32 v13, v43, v13
	v_xor_b32_e32 v13, v13, v20
	v_add_u32_e32 v45, 0x32370b8f, v19
	v_mad_u64_u32 v[20:21], s[6:7], v21, s62, 0
	v_add_u32_e32 v44, 0xdaa66d2b, v18
	v_mad_u64_u32 v[22:23], s[6:7], v13, s57, 0
	v_xor_b32_e32 v21, v45, v21
	;; [unrolled: 8-line block ×5, first 2 shown]
	v_xor_b32_e32 v21, v21, v22
	v_xor_b32_e32 v13, v51, v13
	;; [unrolled: 1-line block ×3, first 2 shown]
	v_add_u32_e32 v53, 0x1fd5c5a3, v19
	v_mad_u64_u32 v[20:21], s[6:7], v21, s62, 0
	v_xor_b32_e32 v21, v53, v21
	v_xor_b32_e32 v12, v21, v12
	v_add_u32_e32 v52, 0x5384540f, v18
	v_mad_u64_u32 v[26:27], s[6:7], v13, s57, 0
	v_add_co_u32_e32 v38, vcc, s63, v18
	v_mad_u64_u32 v[22:23], s[6:7], v12, s57, 0
	v_xor_b32_e32 v13, v52, v27
	v_xor_b32_e32 v12, v38, v23
	v_xor_b32_e32 v13, v13, v24
	v_xor_b32_e32 v12, v12, v26
	v_mad_u64_u32 v[24:25], s[6:7], v13, s62, 0
	v_mad_u64_u32 v[12:13], s[6:7], v12, s62, 0
	v_add_u32_e32 v39, 0x96a522ad, v19
	v_xor_b32_e32 v13, v13, v24
	v_xor_b32_e32 v37, v39, v13
	v_add_co_u32_e32 v13, vcc, 1, v28
	v_cndmask_b32_e64 v24, 0, 1, vcc
	v_addc_co_u32_e32 v30, vcc, 0, v29, vcc
	v_cmp_eq_u32_e32 vcc, 0, v30
	v_cndmask_b32_e32 v24, 0, v24, vcc
	v_add_u32_e32 v28, v24, v1
	v_cmp_eq_u32_e32 vcc, 0, v28
	v_mad_u64_u32 v[26:27], s[6:7], v13, s62, 0
	v_mad_u64_u32 v[28:29], s[6:7], v28, s57, 0
	v_add_u32_e32 v23, 0x8ff34781, v18
	v_cndmask_b32_e32 v24, 0, v24, vcc
	v_xor_b32_e32 v13, v29, v18
	v_xor_b32_e32 v18, v27, v19
	;; [unrolled: 1-line block ×4, first 2 shown]
	v_mad_u64_u32 v[30:31], s[6:7], v24, s57, 0
	v_add_u32_e32 v21, 0xdb3d7428, v19
	v_mad_u64_u32 v[18:19], s[6:7], v13, s62, 0
	v_xor_b32_e32 v13, v40, v31
	v_xor_b32_e32 v13, v13, v28
	v_xor_b32_e32 v19, v41, v19
	v_xor_b32_e32 v19, v19, v26
	v_mad_u64_u32 v[26:27], s[6:7], v13, s62, 0
	v_mad_u64_u32 v[28:29], s[6:7], v19, s57, 0
	v_xor_b32_e32 v19, v43, v27
	v_xor_b32_e32 v13, v42, v29
	v_xor_b32_e32 v24, v19, v18
	v_xor_b32_e32 v13, v13, v30
	v_mad_u64_u32 v[30:31], s[6:7], v24, s57, 0
	;; [unrolled: 6-line block ×7, first 2 shown]
	v_xor_b32_e32 v13, v21, v29
	v_xor_b32_e32 v13, v13, v18
	v_mad_u64_u32 v[30:31], s[6:7], v19, s57, 0
	v_mad_u64_u32 v[18:19], s[6:7], v13, s57, 0
	v_xor_b32_e32 v13, v19, v30
	v_xor_b32_e32 v13, v23, v13
	v_cmp_lt_i32_e32 vcc, 1, v36
                                        ; implicit-def: $vgpr27
	s_and_saveexec_b64 s[6:7], vcc
	s_xor_b64 s[6:7], exec, s[6:7]
	s_cbranch_execz .LBB12_19
; %bb.14:                               ;   in Loop: Header=BB12_3 Depth=1
	v_cmp_lt_i32_e32 vcc, 2, v36
                                        ; implicit-def: $vgpr27
	s_and_saveexec_b64 s[42:43], vcc
	s_xor_b64 s[42:43], exec, s[42:43]
; %bb.15:                               ;   in Loop: Header=BB12_3 Depth=1
	v_xor_b32_e32 v19, v38, v31
	v_xor_b32_e32 v19, v19, v26
	v_mul_hi_u32 v19, v19, s62
	v_xor_b32_e32 v19, v19, v28
	v_xor_b32_e32 v27, v39, v19
                                        ; implicit-def: $vgpr37
; %bb.16:                               ;   in Loop: Header=BB12_3 Depth=1
	s_andn2_saveexec_b64 s[42:43], s[42:43]
; %bb.17:                               ;   in Loop: Header=BB12_3 Depth=1
	v_mov_b32_e32 v27, v18
	v_mov_b32_e32 v18, v13
	;; [unrolled: 1-line block ×4, first 2 shown]
; %bb.18:                               ;   in Loop: Header=BB12_3 Depth=1
	s_or_b64 exec, exec, s[42:43]
                                        ; implicit-def: $vgpr20_vgpr21
                                        ; implicit-def: $vgpr22_vgpr23
                                        ; implicit-def: $vgpr36
                                        ; implicit-def: $vgpr37
                                        ; implicit-def: $vgpr24_vgpr25
                                        ; implicit-def: $vgpr21
                                        ; implicit-def: $vgpr23
.LBB12_19:                              ;   in Loop: Header=BB12_3 Depth=1
	s_andn2_saveexec_b64 s[6:7], s[6:7]
	s_cbranch_execz .LBB12_23
; %bb.20:                               ;   in Loop: Header=BB12_3 Depth=1
	v_xor_b32_e32 v18, v21, v25
	v_xor_b32_e32 v18, v18, v20
	v_mad_u64_u32 v[20:21], s[42:43], v18, s57, 0
	v_xor_b32_e32 v18, v21, v22
	v_xor_b32_e32 v19, v23, v18
	v_cmp_eq_u32_e32 vcc, 1, v36
	v_mov_b32_e32 v27, v12
	v_mov_b32_e32 v18, v37
	;; [unrolled: 1-line block ×3, first 2 shown]
	s_and_saveexec_b64 s[42:43], vcc
; %bb.21:                               ;   in Loop: Header=BB12_3 Depth=1
	v_mov_b32_e32 v27, v13
	v_mov_b32_e32 v18, v12
	;; [unrolled: 1-line block ×4, first 2 shown]
; %bb.22:                               ;   in Loop: Header=BB12_3 Depth=1
	s_or_b64 exec, exec, s[42:43]
	v_mov_b32_e32 v12, v19
	v_mov_b32_e32 v13, v21
.LBB12_23:                              ;   in Loop: Header=BB12_3 Depth=1
	s_or_b64 exec, exec, s[6:7]
	v_min_i32_e32 v19, 4, v7
	v_cmp_lt_i32_e32 vcc, 2, v19
	s_mov_b64 s[42:43], 0
	s_mov_b64 s[52:53], 0
                                        ; implicit-def: $sgpr6_sgpr7
                                        ; implicit-def: $sgpr44_sgpr45
                                        ; implicit-def: $sgpr46_sgpr47
	s_and_saveexec_b64 s[48:49], vcc
	s_xor_b64 s[48:49], exec, s[48:49]
	s_cbranch_execz .LBB12_33
; %bb.24:                               ;   in Loop: Header=BB12_3 Depth=1
	v_cmp_lt_i32_e32 vcc, 3, v19
	s_mov_b64 s[6:7], -1
                                        ; implicit-def: $sgpr44_sgpr45
                                        ; implicit-def: $sgpr50_sgpr51
	s_and_saveexec_b64 s[46:47], vcc
	s_cbranch_execz .LBB12_28
; %bb.25:                               ;   in Loop: Header=BB12_3 Depth=1
	s_waitcnt vmcnt(0)
	v_cmp_le_f32_e32 vcc, 0, v4
	v_cmp_ge_f32_e64 s[6:7], 1.0, v4
	s_and_b64 s[52:53], vcc, s[6:7]
	s_mov_b64 s[44:45], 0
	s_mov_b64 s[6:7], 0
	s_and_saveexec_b64 s[50:51], s[52:53]
	s_cbranch_execz .LBB12_27
; %bb.26:                               ;   in Loop: Header=BB12_3 Depth=1
	v_cvt_f32_u32_e32 v20, v27
	v_mov_b32_e32 v21, 0x2f800000
	v_mov_b32_e32 v22, s13
	v_add_co_u32_e32 v16, vcc, s12, v16
	v_fmac_f32_e32 v21, 0x2f800000, v20
	v_addc_co_u32_e32 v17, vcc, v22, v17, vcc
	v_cmp_le_f32_e32 vcc, v21, v4
	s_mov_b64 s[6:7], exec
	v_cndmask_b32_e64 v4, 0, 1, vcc
	global_store_byte v[16:17], v4, off
.LBB12_27:                              ;   in Loop: Header=BB12_3 Depth=1
	s_or_b64 exec, exec, s[50:51]
	s_mov_b64 s[50:51], -1
	s_orn2_b64 s[6:7], s[6:7], exec
.LBB12_28:                              ;   in Loop: Header=BB12_3 Depth=1
	s_or_b64 exec, exec, s[46:47]
	s_mov_b64 s[52:53], 0
	s_mov_b64 s[54:55], s[44:45]
	s_and_saveexec_b64 s[46:47], s[6:7]
	s_cbranch_execz .LBB12_32
; %bb.29:                               ;   in Loop: Header=BB12_3 Depth=1
	v_lshlrev_b64 v[14:15], 2, v[14:15]
	s_waitcnt vmcnt(0)
	v_mov_b32_e32 v4, s15
	v_add_co_u32_e32 v14, vcc, s14, v14
	v_addc_co_u32_e32 v15, vcc, v4, v15, vcc
	global_load_dword v4, v[14:15], off
	s_waitcnt vmcnt(0)
	v_cmp_le_f32_e32 vcc, 0, v4
	v_cmp_ge_f32_e64 s[6:7], 1.0, v4
	s_and_b64 s[52:53], vcc, s[6:7]
	s_mov_b64 s[6:7], 0
	s_and_saveexec_b64 s[54:55], s[52:53]
	s_xor_b64 s[52:53], exec, s[54:55]
	s_cbranch_execz .LBB12_31
; %bb.30:                               ;   in Loop: Header=BB12_3 Depth=1
	v_cvt_f32_u32_e32 v14, v18
	v_mov_b32_e32 v15, 0x2f800000
	v_add_u32_e32 v16, s58, v34
	s_mov_b64 s[6:7], exec
	v_fmac_f32_e32 v15, 0x2f800000, v14
	v_cmp_le_f32_e32 vcc, v15, v4
	v_cndmask_b32_e64 v14, 0, v16, s[4:5]
	v_cndmask_b32_e64 v4, 0, 1, vcc
	global_store_byte v14, v4, s[12:13]
.LBB12_31:                              ;   in Loop: Header=BB12_3 Depth=1
	s_or_b64 exec, exec, s[52:53]
	s_andn2_b64 s[54:55], s[44:45], exec
	s_or_b64 s[44:45], s[44:45], exec
	s_andn2_b64 s[50:51], s[50:51], exec
	s_and_b64 s[52:53], s[6:7], exec
.LBB12_32:                              ;   in Loop: Header=BB12_3 Depth=1
	s_or_b64 exec, exec, s[46:47]
	s_and_b64 s[46:47], s[54:55], exec
	s_and_b64 s[44:45], s[44:45], exec
	;; [unrolled: 1-line block ×4, first 2 shown]
.LBB12_33:                              ;   in Loop: Header=BB12_3 Depth=1
	s_andn2_saveexec_b64 s[4:5], s[48:49]
; %bb.34:                               ;   in Loop: Header=BB12_3 Depth=1
	v_cmp_lt_i32_e32 vcc, 1, v19
	s_andn2_b64 s[48:49], s[52:53], exec
	s_and_b64 s[50:51], vcc, exec
	s_mov_b64 s[42:43], exec
	s_andn2_b64 s[46:47], s[46:47], exec
	s_andn2_b64 s[44:45], s[44:45], exec
	;; [unrolled: 1-line block ×3, first 2 shown]
	s_or_b64 s[52:53], s[48:49], s[50:51]
; %bb.35:                               ;   in Loop: Header=BB12_3 Depth=1
	s_or_b64 exec, exec, s[4:5]
	s_mov_b64 s[48:49], 0
	s_mov_b64 s[50:51], 0
	;; [unrolled: 1-line block ×3, first 2 shown]
	s_and_saveexec_b64 s[54:55], s[52:53]
	s_cbranch_execnz .LBB12_38
; %bb.36:                               ;   in Loop: Header=BB12_3 Depth=1
	s_or_b64 exec, exec, s[54:55]
	s_and_saveexec_b64 s[2:3], s[42:43]
	s_cbranch_execnz .LBB12_41
.LBB12_37:                              ;   in Loop: Header=BB12_3 Depth=1
	s_or_b64 exec, exec, s[2:3]
	s_and_saveexec_b64 s[42:43], s[50:51]
	s_cbranch_execnz .LBB12_42
	s_branch .LBB12_45
.LBB12_38:                              ;   in Loop: Header=BB12_3 Depth=1
	v_lshlrev_b64 v[10:11], 2, v[10:11]
	s_waitcnt vmcnt(0)
	v_mov_b32_e32 v4, s15
	v_add_co_u32_e32 v10, vcc, s14, v10
	v_addc_co_u32_e32 v11, vcc, v4, v11, vcc
	global_load_dword v4, v[10:11], off
	s_waitcnt vmcnt(0)
	v_cmp_le_f32_e32 vcc, 0, v4
	v_cmp_ge_f32_e64 s[4:5], 1.0, v4
	s_and_b64 s[4:5], vcc, s[4:5]
	s_and_saveexec_b64 s[52:53], s[4:5]
	s_xor_b64 s[4:5], exec, s[52:53]
	s_cbranch_execz .LBB12_40
; %bb.39:                               ;   in Loop: Header=BB12_3 Depth=1
	v_cvt_f32_u32_e32 v10, v13
	v_mov_b32_e32 v11, 0x2f800000
	v_add_u32_e32 v13, s58, v33
	s_mov_b64 s[50:51], exec
	v_fmac_f32_e32 v11, 0x2f800000, v10
	v_cmp_le_f32_e32 vcc, v11, v4
	v_cndmask_b32_e64 v10, 0, v13, s[2:3]
	v_cndmask_b32_e64 v4, 0, 1, vcc
	global_store_byte v10, v4, s[12:13]
.LBB12_40:                              ;   in Loop: Header=BB12_3 Depth=1
	s_or_b64 exec, exec, s[4:5]
	s_andn2_b64 s[4:5], s[46:47], exec
	s_or_b64 s[46:47], s[46:47], exec
	s_andn2_b64 s[44:45], s[44:45], exec
	s_andn2_b64 s[6:7], s[6:7], exec
	s_and_b64 s[50:51], s[50:51], exec
	s_andn2_b64 s[42:43], s[42:43], exec
	s_or_b64 exec, exec, s[54:55]
	s_and_saveexec_b64 s[2:3], s[42:43]
	s_cbranch_execz .LBB12_37
.LBB12_41:                              ;   in Loop: Header=BB12_3 Depth=1
	v_cmp_eq_u32_e32 vcc, 1, v19
	s_andn2_b64 s[42:43], s[50:51], exec
	s_and_b64 s[50:51], vcc, exec
	s_mov_b64 s[48:49], exec
	s_andn2_b64 s[4:5], s[4:5], exec
	s_andn2_b64 s[46:47], s[46:47], exec
	;; [unrolled: 1-line block ×4, first 2 shown]
	s_or_b64 s[50:51], s[42:43], s[50:51]
	s_or_b64 exec, exec, s[2:3]
	s_and_saveexec_b64 s[42:43], s[50:51]
	s_cbranch_execz .LBB12_45
.LBB12_42:                              ;   in Loop: Header=BB12_3 Depth=1
	v_lshlrev_b64 v[8:9], 2, v[8:9]
	s_waitcnt vmcnt(0)
	v_mov_b32_e32 v4, s15
	v_add_co_u32_e32 v8, vcc, s14, v8
	v_addc_co_u32_e32 v9, vcc, v4, v9, vcc
	global_load_dword v4, v[8:9], off
	s_waitcnt vmcnt(0)
	v_cmp_le_f32_e32 vcc, 0, v4
	v_cmp_ge_f32_e64 s[2:3], 1.0, v4
	s_and_b64 s[52:53], vcc, s[2:3]
	s_mov_b64 s[2:3], 0
	s_and_saveexec_b64 s[50:51], s[52:53]
	s_cbranch_execz .LBB12_44
; %bb.43:                               ;   in Loop: Header=BB12_3 Depth=1
	v_cvt_f32_u32_e32 v8, v12
	v_mov_b32_e32 v9, 0x2f800000
	v_add_u32_e32 v10, s58, v32
	s_mov_b64 s[2:3], exec
	v_fmac_f32_e32 v9, 0x2f800000, v8
	v_cmp_le_f32_e32 vcc, v9, v4
	v_cndmask_b32_e64 v8, 0, v10, s[0:1]
	v_cndmask_b32_e64 v4, 0, 1, vcc
	global_store_byte v8, v4, s[12:13]
.LBB12_44:                              ;   in Loop: Header=BB12_3 Depth=1
	s_or_b64 exec, exec, s[50:51]
	s_andn2_b64 s[0:1], s[48:49], exec
	s_and_b64 s[2:3], s[2:3], exec
	s_or_b64 s[4:5], s[4:5], exec
	s_andn2_b64 s[46:47], s[46:47], exec
	s_andn2_b64 s[44:45], s[44:45], exec
	;; [unrolled: 1-line block ×3, first 2 shown]
	s_or_b64 s[48:49], s[0:1], s[2:3]
.LBB12_45:                              ;   in Loop: Header=BB12_3 Depth=1
	s_or_b64 exec, exec, s[42:43]
	s_andn2_b64 s[2:3], s[40:41], exec
	s_and_b64 s[4:5], s[4:5], exec
	s_or_b64 s[40:41], s[2:3], s[4:5]
	s_andn2_b64 s[2:3], s[38:39], exec
	s_and_b64 s[4:5], s[46:47], exec
	s_or_b64 s[38:39], s[2:3], s[4:5]
	;; [unrolled: 3-line block ×3, first 2 shown]
	s_andn2_b64 s[2:3], s[34:35], exec
	s_and_b64 s[4:5], s[6:7], exec
	s_mov_b64 s[0:1], -1
	s_or_b64 s[34:35], s[2:3], s[4:5]
	s_and_saveexec_b64 s[2:3], s[48:49]
	s_cbranch_execz .LBB12_2
; %bb.46:                               ;   in Loop: Header=BB12_3 Depth=1
	v_add_u32_e32 v0, s59, v0
	v_cmp_le_u32_e32 vcc, s33, v0
	v_subrev_u32_e32 v7, s59, v7
	s_add_i32 s58, s58, s61
	s_andn2_b64 s[40:41], s[40:41], exec
	s_andn2_b64 s[38:39], s[38:39], exec
	;; [unrolled: 1-line block ×4, first 2 shown]
	s_orn2_b64 s[0:1], vcc, exec
	s_branch .LBB12_2
.LBB12_47:
	s_or_b64 exec, exec, s[24:25]
	s_xor_b64 s[6:7], s[30:31], -1
	s_xor_b64 s[8:9], s[28:29], -1
	;; [unrolled: 1-line block ×3, first 2 shown]
	s_mov_b64 s[2:3], 0
	s_and_saveexec_b64 s[4:5], s[0:1]
	s_xor_b64 s[0:1], exec, s[4:5]
	s_cbranch_execnz .LBB12_52
; %bb.48:
	s_andn2_saveexec_b64 s[0:1], s[0:1]
	s_cbranch_execnz .LBB12_60
.LBB12_49:
	s_or_b64 exec, exec, s[0:1]
	s_and_b64 exec, exec, s[2:3]
.LBB12_50:
	; divergent unreachable
.LBB12_51:
	s_endpgm
.LBB12_52:
	s_mov_b64 s[4:5], 0
	s_and_saveexec_b64 s[2:3], s[8:9]
	s_xor_b64 s[2:3], exec, s[2:3]
	s_cbranch_execz .LBB12_58
; %bb.53:
	s_and_saveexec_b64 s[8:9], s[6:7]
	s_xor_b64 s[6:7], exec, s[8:9]
	s_cbranch_execz .LBB12_56
; %bb.54:
	s_and_saveexec_b64 s[8:9], s[20:21]
	s_xor_b64 s[8:9], exec, s[8:9]
	s_cbranch_execnz .LBB12_63
.LBB12_55:
	s_or_b64 exec, exec, s[8:9]
	s_and_b64 s[4:5], s[4:5], exec
.LBB12_56:
	s_andn2_saveexec_b64 s[6:7], s[6:7]
	s_cbranch_execnz .LBB12_62
.LBB12_57:
	s_or_b64 exec, exec, s[6:7]
	s_and_b64 s[4:5], s[4:5], exec
.LBB12_58:
	s_andn2_saveexec_b64 s[2:3], s[2:3]
	s_cbranch_execnz .LBB12_61
.LBB12_59:
	s_or_b64 exec, exec, s[2:3]
	s_and_b64 s[2:3], s[4:5], exec
	s_andn2_saveexec_b64 s[0:1], s[0:1]
	s_cbranch_execz .LBB12_49
.LBB12_60:
	s_or_b64 s[2:3], s[2:3], exec
	s_trap 2
	s_or_b64 exec, exec, s[0:1]
	s_and_b64 exec, exec, s[2:3]
	s_cbranch_execnz .LBB12_50
	s_branch .LBB12_51
.LBB12_61:
	s_or_b64 s[4:5], s[4:5], exec
	s_trap 2
	s_branch .LBB12_59
.LBB12_62:
	s_trap 2
	s_or_b64 s[4:5], s[4:5], exec
	s_branch .LBB12_57
.LBB12_63:
	s_mov_b64 s[4:5], exec
	s_trap 2
	s_branch .LBB12_55
	.section	.rodata,"a",@progbits
	.p2align	6, 0x0
	.amdhsa_kernel _ZN2at4cuda12_GLOBAL__N_121kernelPointwiseApply2IZNS_6native9templates4cuda28bernoulli_tensor_cuda_kernelIhfEEvRKNS_10TensorBaseES9_NS_15PhiloxCudaStateEEUliRhSB_SB_SB_RKfSD_SD_SD_E_hSC_jLi1ELi2ELi4ELi512ELi2EEEvNS0_6detail10TensorInfoIT0_T2_EENSG_IT1_SI_EESI_T_
		.amdhsa_group_segment_fixed_size 0
		.amdhsa_private_segment_fixed_size 0
		.amdhsa_kernarg_size 728
		.amdhsa_user_sgpr_count 6
		.amdhsa_user_sgpr_private_segment_buffer 1
		.amdhsa_user_sgpr_dispatch_ptr 0
		.amdhsa_user_sgpr_queue_ptr 0
		.amdhsa_user_sgpr_kernarg_segment_ptr 1
		.amdhsa_user_sgpr_dispatch_id 0
		.amdhsa_user_sgpr_flat_scratch_init 0
		.amdhsa_user_sgpr_kernarg_preload_length 0
		.amdhsa_user_sgpr_kernarg_preload_offset 0
		.amdhsa_user_sgpr_private_segment_size 0
		.amdhsa_uses_dynamic_stack 0
		.amdhsa_system_sgpr_private_segment_wavefront_offset 0
		.amdhsa_system_sgpr_workgroup_id_x 1
		.amdhsa_system_sgpr_workgroup_id_y 0
		.amdhsa_system_sgpr_workgroup_id_z 0
		.amdhsa_system_sgpr_workgroup_info 0
		.amdhsa_system_vgpr_workitem_id 0
		.amdhsa_next_free_vgpr 54
		.amdhsa_next_free_sgpr 64
		.amdhsa_accum_offset 56
		.amdhsa_reserve_vcc 1
		.amdhsa_reserve_flat_scratch 0
		.amdhsa_float_round_mode_32 0
		.amdhsa_float_round_mode_16_64 0
		.amdhsa_float_denorm_mode_32 3
		.amdhsa_float_denorm_mode_16_64 3
		.amdhsa_dx10_clamp 1
		.amdhsa_ieee_mode 1
		.amdhsa_fp16_overflow 0
		.amdhsa_tg_split 0
		.amdhsa_exception_fp_ieee_invalid_op 0
		.amdhsa_exception_fp_denorm_src 0
		.amdhsa_exception_fp_ieee_div_zero 0
		.amdhsa_exception_fp_ieee_overflow 0
		.amdhsa_exception_fp_ieee_underflow 0
		.amdhsa_exception_fp_ieee_inexact 0
		.amdhsa_exception_int_div_zero 0
	.end_amdhsa_kernel
	.section	.text._ZN2at4cuda12_GLOBAL__N_121kernelPointwiseApply2IZNS_6native9templates4cuda28bernoulli_tensor_cuda_kernelIhfEEvRKNS_10TensorBaseES9_NS_15PhiloxCudaStateEEUliRhSB_SB_SB_RKfSD_SD_SD_E_hSC_jLi1ELi2ELi4ELi512ELi2EEEvNS0_6detail10TensorInfoIT0_T2_EENSG_IT1_SI_EESI_T_,"axG",@progbits,_ZN2at4cuda12_GLOBAL__N_121kernelPointwiseApply2IZNS_6native9templates4cuda28bernoulli_tensor_cuda_kernelIhfEEvRKNS_10TensorBaseES9_NS_15PhiloxCudaStateEEUliRhSB_SB_SB_RKfSD_SD_SD_E_hSC_jLi1ELi2ELi4ELi512ELi2EEEvNS0_6detail10TensorInfoIT0_T2_EENSG_IT1_SI_EESI_T_,comdat
.Lfunc_end12:
	.size	_ZN2at4cuda12_GLOBAL__N_121kernelPointwiseApply2IZNS_6native9templates4cuda28bernoulli_tensor_cuda_kernelIhfEEvRKNS_10TensorBaseES9_NS_15PhiloxCudaStateEEUliRhSB_SB_SB_RKfSD_SD_SD_E_hSC_jLi1ELi2ELi4ELi512ELi2EEEvNS0_6detail10TensorInfoIT0_T2_EENSG_IT1_SI_EESI_T_, .Lfunc_end12-_ZN2at4cuda12_GLOBAL__N_121kernelPointwiseApply2IZNS_6native9templates4cuda28bernoulli_tensor_cuda_kernelIhfEEvRKNS_10TensorBaseES9_NS_15PhiloxCudaStateEEUliRhSB_SB_SB_RKfSD_SD_SD_E_hSC_jLi1ELi2ELi4ELi512ELi2EEEvNS0_6detail10TensorInfoIT0_T2_EENSG_IT1_SI_EESI_T_
                                        ; -- End function
	.section	.AMDGPU.csdata,"",@progbits
; Kernel info:
; codeLenInByte = 2976
; NumSgprs: 68
; NumVgprs: 54
; NumAgprs: 0
; TotalNumVgprs: 54
; ScratchSize: 0
; MemoryBound: 0
; FloatMode: 240
; IeeeMode: 1
; LDSByteSize: 0 bytes/workgroup (compile time only)
; SGPRBlocks: 8
; VGPRBlocks: 6
; NumSGPRsForWavesPerEU: 68
; NumVGPRsForWavesPerEU: 54
; AccumOffset: 56
; Occupancy: 8
; WaveLimiterHint : 1
; COMPUTE_PGM_RSRC2:SCRATCH_EN: 0
; COMPUTE_PGM_RSRC2:USER_SGPR: 6
; COMPUTE_PGM_RSRC2:TRAP_HANDLER: 0
; COMPUTE_PGM_RSRC2:TGID_X_EN: 1
; COMPUTE_PGM_RSRC2:TGID_Y_EN: 0
; COMPUTE_PGM_RSRC2:TGID_Z_EN: 0
; COMPUTE_PGM_RSRC2:TIDIG_COMP_CNT: 0
; COMPUTE_PGM_RSRC3_GFX90A:ACCUM_OFFSET: 13
; COMPUTE_PGM_RSRC3_GFX90A:TG_SPLIT: 0
	.section	.text._ZN2at4cuda12_GLOBAL__N_121kernelPointwiseApply2IZNS_6native9templates4cuda28bernoulli_tensor_cuda_kernelIhfEEvRKNS_10TensorBaseES9_NS_15PhiloxCudaStateEEUliRhSB_SB_SB_RKfSD_SD_SD_E_hSC_jLi1ELin1ELi4ELi512ELi2EEEvNS0_6detail10TensorInfoIT0_T2_EENSG_IT1_SI_EESI_T_,"axG",@progbits,_ZN2at4cuda12_GLOBAL__N_121kernelPointwiseApply2IZNS_6native9templates4cuda28bernoulli_tensor_cuda_kernelIhfEEvRKNS_10TensorBaseES9_NS_15PhiloxCudaStateEEUliRhSB_SB_SB_RKfSD_SD_SD_E_hSC_jLi1ELin1ELi4ELi512ELi2EEEvNS0_6detail10TensorInfoIT0_T2_EENSG_IT1_SI_EESI_T_,comdat
	.globl	_ZN2at4cuda12_GLOBAL__N_121kernelPointwiseApply2IZNS_6native9templates4cuda28bernoulli_tensor_cuda_kernelIhfEEvRKNS_10TensorBaseES9_NS_15PhiloxCudaStateEEUliRhSB_SB_SB_RKfSD_SD_SD_E_hSC_jLi1ELin1ELi4ELi512ELi2EEEvNS0_6detail10TensorInfoIT0_T2_EENSG_IT1_SI_EESI_T_ ; -- Begin function _ZN2at4cuda12_GLOBAL__N_121kernelPointwiseApply2IZNS_6native9templates4cuda28bernoulli_tensor_cuda_kernelIhfEEvRKNS_10TensorBaseES9_NS_15PhiloxCudaStateEEUliRhSB_SB_SB_RKfSD_SD_SD_E_hSC_jLi1ELin1ELi4ELi512ELi2EEEvNS0_6detail10TensorInfoIT0_T2_EENSG_IT1_SI_EESI_T_
	.p2align	8
	.type	_ZN2at4cuda12_GLOBAL__N_121kernelPointwiseApply2IZNS_6native9templates4cuda28bernoulli_tensor_cuda_kernelIhfEEvRKNS_10TensorBaseES9_NS_15PhiloxCudaStateEEUliRhSB_SB_SB_RKfSD_SD_SD_E_hSC_jLi1ELin1ELi4ELi512ELi2EEEvNS0_6detail10TensorInfoIT0_T2_EENSG_IT1_SI_EESI_T_,@function
_ZN2at4cuda12_GLOBAL__N_121kernelPointwiseApply2IZNS_6native9templates4cuda28bernoulli_tensor_cuda_kernelIhfEEvRKNS_10TensorBaseES9_NS_15PhiloxCudaStateEEUliRhSB_SB_SB_RKfSD_SD_SD_E_hSC_jLi1ELin1ELi4ELi512ELi2EEEvNS0_6detail10TensorInfoIT0_T2_EENSG_IT1_SI_EESI_T_: ; @_ZN2at4cuda12_GLOBAL__N_121kernelPointwiseApply2IZNS_6native9templates4cuda28bernoulli_tensor_cuda_kernelIhfEEvRKNS_10TensorBaseES9_NS_15PhiloxCudaStateEEUliRhSB_SB_SB_RKfSD_SD_SD_E_hSC_jLi1ELin1ELi4ELi512ELi2EEEvNS0_6detail10TensorInfoIT0_T2_EENSG_IT1_SI_EESI_T_
; %bb.0:
	s_load_dword s2, s[4:5], 0x1e4
	s_load_dword s33, s[4:5], 0x1b0
	s_add_u32 s0, s4, 0x1d8
	s_addc_u32 s1, s5, 0
	s_waitcnt lgkmcnt(0)
	s_and_b32 s2, s2, 0xffff
	s_mul_i32 s6, s6, s2
	v_add_u32_e32 v5, s6, v0
	v_lshlrev_b32_e32 v28, 2, v5
	v_cmp_gt_u32_e32 vcc, s33, v28
	s_and_saveexec_b64 s[6:7], vcc
	s_cbranch_execz .LBB13_65
; %bb.1:
	s_load_dword s3, s[0:1], 0x0
	s_load_dwordx4 s[12:15], s[4:5], 0x1b8
	s_load_dword s8, s[4:5], 0x1a8
	s_load_dwordx2 s[10:11], s[4:5], 0x0
	s_load_dword s60, s[4:5], 0x6c
	s_waitcnt lgkmcnt(0)
	s_mul_i32 s9, s3, s2
	s_load_dwordx2 s[16:17], s[4:5], 0x1c8
	s_load_dword s2, s[4:5], 0x1d0
	s_add_u32 s6, s4, 0xd8
	s_addc_u32 s7, s5, 0
	s_cmp_gt_i32 s8, 1
	s_mov_b32 s62, 0xcd9e8d57
	s_cselect_b64 s[0:1], -1, 0
	s_waitcnt lgkmcnt(0)
	s_bitcmp1_b32 s2, 0
	v_mad_u64_u32 v[0:1], s[2:3], v5, s62, 0
	s_cselect_b64 s[22:23], -1, 0
	s_add_i32 s2, s8, -1
	s_mov_b32 s3, 0
	s_load_dword s61, s[4:5], 0x144
	s_load_dwordx2 s[18:19], s[4:5], 0xd8
	s_lshl_b32 s63, s9, 2
	s_add_i32 s64, s8, 1
	s_lshl_b64 s[2:3], s[2:3], 2
	s_add_u32 s2, s2, s6
	s_addc_u32 s3, s3, s7
	v_mov_b32_e32 v4, v1
	s_add_u32 s24, s2, 8
	v_cndmask_b32_e64 v1, 0, 1, s[0:1]
	v_mov_b32_e32 v3, 0
	s_addc_u32 s25, s3, 0
	s_mov_b64 s[26:27], 0
	s_mov_b32 s65, 0xd2511f53
	v_cmp_ne_u32_e64 s[0:1], 1, v1
	s_mov_b32 s66, 0xf1bbcdc8
                                        ; implicit-def: $sgpr28_sgpr29
                                        ; implicit-def: $sgpr30_sgpr31
                                        ; implicit-def: $sgpr34_sgpr35
                                        ; implicit-def: $sgpr20_sgpr21
                                        ; implicit-def: $sgpr36_sgpr37
                                        ; implicit-def: $sgpr38_sgpr39
                                        ; implicit-def: $sgpr40_sgpr41
                                        ; implicit-def: $sgpr42_sgpr43
	s_branch .LBB13_3
.LBB13_2:                               ;   in Loop: Header=BB13_3 Depth=1
	s_or_b64 exec, exec, s[4:5]
	s_and_b64 s[2:3], exec, s[2:3]
	s_or_b64 s[26:27], s[2:3], s[26:27]
	s_andn2_b64 s[2:3], s[20:21], exec
	s_and_b64 s[4:5], s[42:43], exec
	s_or_b64 s[20:21], s[2:3], s[4:5]
	s_andn2_b64 s[2:3], s[34:35], exec
	s_and_b64 s[4:5], s[40:41], exec
	;; [unrolled: 3-line block ×4, first 2 shown]
	s_or_b64 s[28:29], s[2:3], s[4:5]
	s_andn2_b64 exec, exec, s[26:27]
	s_cbranch_execz .LBB13_61
.LBB13_3:                               ; =>This Loop Header: Depth=1
                                        ;     Child Loop BB13_6 Depth 2
                                        ;     Child Loop BB13_11 Depth 2
	;; [unrolled: 1-line block ×4, first 2 shown]
	v_sub_u32_e32 v29, s33, v28
	v_cmp_lt_i32_e64 s[2:3], 0, v29
	v_mov_b32_e32 v2, 0
	s_and_saveexec_b64 s[4:5], s[2:3]
	s_cbranch_execz .LBB13_8
; %bb.4:                                ;   in Loop: Header=BB13_3 Depth=1
	s_and_b64 vcc, exec, s[0:1]
	v_mov_b32_e32 v6, 0
	v_mov_b32_e32 v1, v28
	s_cbranch_vccnz .LBB13_7
; %bb.5:                                ;   in Loop: Header=BB13_3 Depth=1
	v_mov_b32_e32 v6, 0
	s_mov_b64 s[6:7], s[24:25]
	s_mov_b32 s8, s64
	v_mov_b32_e32 v1, v28
.LBB13_6:                               ;   Parent Loop BB13_3 Depth=1
                                        ; =>  This Inner Loop Header: Depth=2
	s_load_dword s9, s[6:7], 0x0
	s_load_dword s44, s[6:7], 0x64
	v_mov_b32_e32 v2, v1
	s_add_i32 s8, s8, -1
	s_waitcnt lgkmcnt(0)
	v_cvt_f32_u32_e32 v1, s9
	s_sub_i32 s45, 0, s9
	s_add_u32 s6, s6, -4
	s_addc_u32 s7, s7, -1
	v_rcp_iflag_f32_e32 v1, v1
	s_cmp_gt_u32 s8, 2
	v_mul_f32_e32 v1, 0x4f7ffffe, v1
	v_cvt_u32_f32_e32 v1, v1
	v_mul_lo_u32 v7, s45, v1
	v_mul_hi_u32 v7, v1, v7
	v_add_u32_e32 v1, v1, v7
	v_mul_hi_u32 v1, v2, v1
	v_mul_lo_u32 v7, v1, s9
	v_sub_u32_e32 v7, v2, v7
	v_add_u32_e32 v8, 1, v1
	v_cmp_le_u32_e32 vcc, s9, v7
	v_cndmask_b32_e32 v1, v1, v8, vcc
	v_subrev_u32_e32 v8, s9, v7
	v_cndmask_b32_e32 v7, v7, v8, vcc
	v_add_u32_e32 v8, 1, v1
	v_cmp_le_u32_e32 vcc, s9, v7
	v_cndmask_b32_e32 v1, v1, v8, vcc
	v_mul_lo_u32 v7, v1, s9
	v_sub_u32_e32 v2, v2, v7
	v_mad_u64_u32 v[6:7], s[44:45], s44, v2, v[6:7]
	s_cbranch_scc1 .LBB13_6
.LBB13_7:                               ;   in Loop: Header=BB13_3 Depth=1
	s_waitcnt lgkmcnt(0)
	v_mad_u64_u32 v[6:7], s[6:7], s61, v1, v[6:7]
	v_mov_b32_e32 v2, v6
.LBB13_8:                               ;   in Loop: Header=BB13_3 Depth=1
	s_or_b64 exec, exec, s[4:5]
	v_cmp_lt_i32_e64 s[4:5], 1, v29
	v_pk_mov_b32 v[6:7], 0, 0
	s_and_saveexec_b64 s[6:7], s[4:5]
	s_cbranch_execz .LBB13_13
; %bb.9:                                ;   in Loop: Header=BB13_3 Depth=1
	v_or_b32_e32 v1, 1, v28
	s_and_b64 vcc, exec, s[0:1]
	v_mov_b32_e32 v6, 0
	s_cbranch_vccnz .LBB13_12
; %bb.10:                               ;   in Loop: Header=BB13_3 Depth=1
	v_mov_b32_e32 v6, 0
	s_mov_b64 s[8:9], s[24:25]
	s_mov_b32 s44, s64
.LBB13_11:                              ;   Parent Loop BB13_3 Depth=1
                                        ; =>  This Inner Loop Header: Depth=2
	s_load_dword s45, s[8:9], 0x0
	s_load_dword s46, s[8:9], 0x64
	v_mov_b32_e32 v7, v1
	s_add_i32 s44, s44, -1
	s_waitcnt lgkmcnt(0)
	v_cvt_f32_u32_e32 v1, s45
	s_sub_i32 s47, 0, s45
	s_add_u32 s8, s8, -4
	s_addc_u32 s9, s9, -1
	v_rcp_iflag_f32_e32 v1, v1
	s_cmp_gt_u32 s44, 2
	v_mul_f32_e32 v1, 0x4f7ffffe, v1
	v_cvt_u32_f32_e32 v1, v1
	v_mul_lo_u32 v8, s47, v1
	v_mul_hi_u32 v8, v1, v8
	v_add_u32_e32 v1, v1, v8
	v_mul_hi_u32 v1, v7, v1
	v_mul_lo_u32 v8, v1, s45
	v_sub_u32_e32 v8, v7, v8
	v_add_u32_e32 v9, 1, v1
	v_cmp_le_u32_e32 vcc, s45, v8
	v_cndmask_b32_e32 v1, v1, v9, vcc
	v_subrev_u32_e32 v9, s45, v8
	v_cndmask_b32_e32 v8, v8, v9, vcc
	v_add_u32_e32 v9, 1, v1
	v_cmp_le_u32_e32 vcc, s45, v8
	v_cndmask_b32_e32 v1, v1, v9, vcc
	v_mul_lo_u32 v8, v1, s45
	v_sub_u32_e32 v7, v7, v8
	v_mad_u64_u32 v[6:7], s[46:47], s46, v7, v[6:7]
	s_cbranch_scc1 .LBB13_11
.LBB13_12:                              ;   in Loop: Header=BB13_3 Depth=1
	s_waitcnt lgkmcnt(0)
	v_mad_u64_u32 v[6:7], s[8:9], s61, v1, v[6:7]
	v_mov_b32_e32 v7, v3
.LBB13_13:                              ;   in Loop: Header=BB13_3 Depth=1
	s_or_b64 exec, exec, s[6:7]
	v_cmp_lt_i32_e64 s[6:7], 2, v29
	v_pk_mov_b32 v[10:11], 0, 0
	s_and_saveexec_b64 s[8:9], s[6:7]
	s_cbranch_execz .LBB13_18
; %bb.14:                               ;   in Loop: Header=BB13_3 Depth=1
	v_or_b32_e32 v1, 2, v28
	s_and_b64 vcc, exec, s[0:1]
	v_mov_b32_e32 v8, 0
	s_cbranch_vccnz .LBB13_17
; %bb.15:                               ;   in Loop: Header=BB13_3 Depth=1
	v_mov_b32_e32 v8, 0
	s_mov_b64 s[44:45], s[24:25]
	s_mov_b32 s46, s64
.LBB13_16:                              ;   Parent Loop BB13_3 Depth=1
                                        ; =>  This Inner Loop Header: Depth=2
	s_load_dword s47, s[44:45], 0x0
	s_load_dword s48, s[44:45], 0x64
	v_mov_b32_e32 v9, v1
	s_add_i32 s46, s46, -1
	s_waitcnt lgkmcnt(0)
	v_cvt_f32_u32_e32 v1, s47
	s_sub_i32 s49, 0, s47
	s_add_u32 s44, s44, -4
	s_addc_u32 s45, s45, -1
	v_rcp_iflag_f32_e32 v1, v1
	s_cmp_gt_u32 s46, 2
	v_mul_f32_e32 v1, 0x4f7ffffe, v1
	v_cvt_u32_f32_e32 v1, v1
	v_mul_lo_u32 v10, s49, v1
	v_mul_hi_u32 v10, v1, v10
	v_add_u32_e32 v1, v1, v10
	v_mul_hi_u32 v1, v9, v1
	v_mul_lo_u32 v10, v1, s47
	v_sub_u32_e32 v10, v9, v10
	v_add_u32_e32 v11, 1, v1
	v_cmp_le_u32_e32 vcc, s47, v10
	v_cndmask_b32_e32 v1, v1, v11, vcc
	v_subrev_u32_e32 v11, s47, v10
	v_cndmask_b32_e32 v10, v10, v11, vcc
	v_add_u32_e32 v11, 1, v1
	v_cmp_le_u32_e32 vcc, s47, v10
	v_cndmask_b32_e32 v1, v1, v11, vcc
	v_mul_lo_u32 v10, v1, s47
	v_sub_u32_e32 v9, v9, v10
	v_mad_u64_u32 v[8:9], s[48:49], s48, v9, v[8:9]
	s_cbranch_scc1 .LBB13_16
.LBB13_17:                              ;   in Loop: Header=BB13_3 Depth=1
	s_waitcnt lgkmcnt(0)
	v_mad_u64_u32 v[10:11], s[44:45], s61, v1, v[8:9]
	v_mov_b32_e32 v11, v3
.LBB13_18:                              ;   in Loop: Header=BB13_3 Depth=1
	s_or_b64 exec, exec, s[8:9]
	v_mul_lo_u32 v1, v28, s60
	v_add_u32_e32 v30, s60, v1
	v_pk_mov_b32 v[8:9], 0, 0
	v_add_u32_e32 v31, s60, v30
	v_cmp_lt_i32_e32 vcc, 3, v29
	v_pk_mov_b32 v[12:13], v[8:9], v[8:9] op_sel:[0,1]
	s_and_saveexec_b64 s[8:9], vcc
	s_cbranch_execz .LBB13_23
; %bb.19:                               ;   in Loop: Header=BB13_3 Depth=1
	v_or_b32_e32 v14, 3, v28
	s_and_b64 vcc, exec, s[0:1]
	v_mov_b32_e32 v8, 0
	s_cbranch_vccnz .LBB13_22
; %bb.20:                               ;   in Loop: Header=BB13_3 Depth=1
	v_mov_b32_e32 v8, 0
	s_mov_b64 s[44:45], s[24:25]
	s_mov_b32 s46, s64
.LBB13_21:                              ;   Parent Loop BB13_3 Depth=1
                                        ; =>  This Inner Loop Header: Depth=2
	s_load_dword s47, s[44:45], 0x0
	s_load_dword s48, s[44:45], 0x64
	v_mov_b32_e32 v9, v14
	s_add_i32 s46, s46, -1
	s_waitcnt lgkmcnt(0)
	v_cvt_f32_u32_e32 v12, s47
	s_sub_i32 s49, 0, s47
	s_add_u32 s44, s44, -4
	s_addc_u32 s45, s45, -1
	v_rcp_iflag_f32_e32 v12, v12
	s_cmp_gt_u32 s46, 2
	v_mul_f32_e32 v12, 0x4f7ffffe, v12
	v_cvt_u32_f32_e32 v12, v12
	v_mul_lo_u32 v13, s49, v12
	v_mul_hi_u32 v13, v12, v13
	v_add_u32_e32 v12, v12, v13
	v_mul_hi_u32 v12, v9, v12
	v_mul_lo_u32 v13, v12, s47
	v_sub_u32_e32 v13, v9, v13
	v_add_u32_e32 v14, 1, v12
	v_cmp_le_u32_e32 vcc, s47, v13
	v_cndmask_b32_e32 v12, v12, v14, vcc
	v_subrev_u32_e32 v14, s47, v13
	v_cndmask_b32_e32 v13, v13, v14, vcc
	v_add_u32_e32 v14, 1, v12
	v_cmp_le_u32_e32 vcc, s47, v13
	v_cndmask_b32_e32 v14, v12, v14, vcc
	v_mul_lo_u32 v12, v14, s47
	v_sub_u32_e32 v9, v9, v12
	v_mad_u64_u32 v[8:9], s[48:49], s48, v9, v[8:9]
	s_cbranch_scc1 .LBB13_21
.LBB13_22:                              ;   in Loop: Header=BB13_3 Depth=1
	s_waitcnt lgkmcnt(0)
	v_mad_u64_u32 v[8:9], s[44:45], s61, v14, v[8:9]
	v_add_u32_e32 v12, s60, v31
	v_mov_b32_e32 v13, v3
	v_mov_b32_e32 v9, v3
.LBB13_23:                              ;   in Loop: Header=BB13_3 Depth=1
	s_or_b64 exec, exec, s[8:9]
	v_lshlrev_b64 v[8:9], 2, v[8:9]
	s_waitcnt lgkmcnt(0)
	v_mov_b32_e32 v14, s19
	v_add_co_u32_e32 v8, vcc, s18, v8
	v_addc_co_u32_e32 v9, vcc, v14, v9, vcc
	global_load_dword v32, v[8:9], off
	s_andn2_b64 vcc, exec, s[22:23]
	v_pk_mov_b32 v[8:9], s[14:15], s[14:15] op_sel:[0,1]
	v_pk_mov_b32 v[14:15], s[12:13], s[12:13] op_sel:[0,1]
	s_cbranch_vccnz .LBB13_25
; %bb.24:                               ;   in Loop: Header=BB13_3 Depth=1
	v_pk_mov_b32 v[8:9], s[14:15], s[14:15] op_sel:[0,1]
	flat_load_dwordx2 v[8:9], v[8:9]
	v_pk_mov_b32 v[14:15], s[12:13], s[12:13] op_sel:[0,1]
	flat_load_dwordx2 v[14:15], v[14:15]
	v_mov_b32_e32 v16, s17
	s_waitcnt vmcnt(0) lgkmcnt(0)
	v_add_co_u32_e32 v8, vcc, s16, v8
	v_addc_co_u32_e32 v9, vcc, v9, v16, vcc
.LBB13_25:                              ;   in Loop: Header=BB13_3 Depth=1
	v_alignbit_b32 v24, v9, v8, 2
	v_lshrrev_b32_e32 v25, 2, v9
	v_xor_b32_e32 v16, v4, v14
	v_and_b32_e32 v33, 3, v8
	v_mad_u64_u32 v[8:9], s[8:9], v24, s65, 0
	v_xor_b32_e32 v16, v16, v25
	v_xor_b32_e32 v9, v9, v15
	v_add_u32_e32 v38, 0xbb67ae85, v15
	v_mad_u64_u32 v[16:17], s[8:9], v16, s65, 0
	v_mad_u64_u32 v[18:19], s[8:9], v9, s62, 0
	v_xor_b32_e32 v17, v38, v17
	v_add_u32_e32 v37, 0x9e3779b9, v14
	v_xor_b32_e32 v9, v0, v19
	v_xor_b32_e32 v17, v17, v8
	v_xor_b32_e32 v9, v9, v37
	v_add_u32_e32 v39, 0x3c6ef372, v14
	v_mad_u64_u32 v[20:21], s[8:9], v17, s62, 0
	v_add_u32_e32 v40, 0x76cf5d0a, v15
	v_mad_u64_u32 v[8:9], s[8:9], v9, s65, 0
	v_xor_b32_e32 v17, v39, v21
	v_xor_b32_e32 v17, v17, v18
	v_xor_b32_e32 v9, v40, v9
	v_xor_b32_e32 v9, v9, v16
	v_add_u32_e32 v42, 0x32370b8f, v15
	v_mad_u64_u32 v[16:17], s[8:9], v17, s65, 0
	v_add_u32_e32 v41, 0xdaa66d2b, v14
	v_mad_u64_u32 v[18:19], s[8:9], v9, s62, 0
	v_xor_b32_e32 v17, v42, v17
	;; [unrolled: 8-line block ×5, first 2 shown]
	v_xor_b32_e32 v17, v17, v18
	v_xor_b32_e32 v9, v48, v9
	v_xor_b32_e32 v9, v9, v16
	v_add_u32_e32 v50, 0x1fd5c5a3, v15
	v_mad_u64_u32 v[16:17], s[8:9], v17, s65, 0
	v_xor_b32_e32 v17, v50, v17
	v_xor_b32_e32 v8, v17, v8
	v_add_u32_e32 v49, 0x5384540f, v14
	v_mad_u64_u32 v[22:23], s[8:9], v9, s62, 0
	v_add_co_u32_e32 v35, vcc, s66, v14
	v_mad_u64_u32 v[18:19], s[8:9], v8, s62, 0
	v_xor_b32_e32 v9, v49, v23
	v_xor_b32_e32 v8, v35, v19
	;; [unrolled: 1-line block ×4, first 2 shown]
	v_mad_u64_u32 v[20:21], s[8:9], v9, s65, 0
	v_mad_u64_u32 v[8:9], s[8:9], v8, s65, 0
	v_add_u32_e32 v36, 0x96a522ad, v15
	v_xor_b32_e32 v9, v9, v20
	v_xor_b32_e32 v34, v36, v9
	v_add_co_u32_e32 v9, vcc, 1, v24
	v_cndmask_b32_e64 v20, 0, 1, vcc
	v_addc_co_u32_e32 v26, vcc, 0, v25, vcc
	v_cmp_eq_u32_e32 vcc, 0, v26
	v_cndmask_b32_e32 v20, 0, v20, vcc
	v_add_u32_e32 v24, v20, v5
	v_cmp_eq_u32_e32 vcc, 0, v24
	v_mad_u64_u32 v[22:23], s[8:9], v9, s65, 0
	v_mad_u64_u32 v[24:25], s[8:9], v24, s62, 0
	v_add_u32_e32 v19, 0x8ff34781, v14
	v_cndmask_b32_e32 v20, 0, v20, vcc
	v_xor_b32_e32 v9, v25, v14
	v_xor_b32_e32 v14, v23, v15
	;; [unrolled: 1-line block ×4, first 2 shown]
	v_mad_u64_u32 v[26:27], s[8:9], v20, s62, 0
	v_add_u32_e32 v17, 0xdb3d7428, v15
	v_mad_u64_u32 v[14:15], s[8:9], v9, s65, 0
	v_xor_b32_e32 v9, v37, v27
	v_xor_b32_e32 v9, v9, v24
	v_xor_b32_e32 v15, v38, v15
	v_xor_b32_e32 v15, v15, v22
	v_mad_u64_u32 v[22:23], s[8:9], v9, s65, 0
	v_mad_u64_u32 v[24:25], s[8:9], v15, s62, 0
	v_xor_b32_e32 v15, v40, v23
	v_xor_b32_e32 v9, v39, v25
	v_xor_b32_e32 v20, v15, v14
	v_xor_b32_e32 v9, v9, v26
	v_mad_u64_u32 v[26:27], s[8:9], v20, s62, 0
	;; [unrolled: 6-line block ×7, first 2 shown]
	v_xor_b32_e32 v9, v17, v25
	v_xor_b32_e32 v9, v9, v14
	v_mad_u64_u32 v[26:27], s[8:9], v15, s62, 0
	v_mad_u64_u32 v[14:15], s[8:9], v9, s62, 0
	v_xor_b32_e32 v9, v15, v26
	v_xor_b32_e32 v9, v19, v9
	v_cmp_lt_i32_e32 vcc, 1, v33
                                        ; implicit-def: $vgpr23
	s_and_saveexec_b64 s[8:9], vcc
	s_xor_b64 s[8:9], exec, s[8:9]
	s_cbranch_execz .LBB13_31
; %bb.26:                               ;   in Loop: Header=BB13_3 Depth=1
	v_cmp_lt_i32_e32 vcc, 2, v33
                                        ; implicit-def: $vgpr23
	s_and_saveexec_b64 s[44:45], vcc
	s_xor_b64 s[44:45], exec, s[44:45]
; %bb.27:                               ;   in Loop: Header=BB13_3 Depth=1
	v_xor_b32_e32 v15, v35, v27
	v_xor_b32_e32 v15, v15, v22
	v_mul_hi_u32 v15, v15, s65
	v_xor_b32_e32 v15, v15, v24
	v_xor_b32_e32 v23, v36, v15
                                        ; implicit-def: $vgpr34
; %bb.28:                               ;   in Loop: Header=BB13_3 Depth=1
	s_andn2_saveexec_b64 s[44:45], s[44:45]
; %bb.29:                               ;   in Loop: Header=BB13_3 Depth=1
	v_mov_b32_e32 v23, v14
	v_mov_b32_e32 v14, v9
	;; [unrolled: 1-line block ×4, first 2 shown]
; %bb.30:                               ;   in Loop: Header=BB13_3 Depth=1
	s_or_b64 exec, exec, s[44:45]
                                        ; implicit-def: $vgpr16_vgpr17
                                        ; implicit-def: $vgpr18_vgpr19
                                        ; implicit-def: $vgpr33
                                        ; implicit-def: $vgpr34
                                        ; implicit-def: $vgpr20_vgpr21
                                        ; implicit-def: $vgpr17
                                        ; implicit-def: $vgpr19
.LBB13_31:                              ;   in Loop: Header=BB13_3 Depth=1
	s_andn2_saveexec_b64 s[8:9], s[8:9]
	s_cbranch_execz .LBB13_35
; %bb.32:                               ;   in Loop: Header=BB13_3 Depth=1
	v_xor_b32_e32 v14, v17, v21
	v_xor_b32_e32 v14, v14, v16
	v_mad_u64_u32 v[16:17], s[44:45], v14, s62, 0
	v_xor_b32_e32 v14, v17, v18
	v_xor_b32_e32 v15, v19, v14
	v_cmp_eq_u32_e32 vcc, 1, v33
	v_mov_b32_e32 v23, v8
	v_mov_b32_e32 v14, v34
	;; [unrolled: 1-line block ×3, first 2 shown]
	s_and_saveexec_b64 s[44:45], vcc
; %bb.33:                               ;   in Loop: Header=BB13_3 Depth=1
	v_mov_b32_e32 v23, v9
	v_mov_b32_e32 v14, v8
	;; [unrolled: 1-line block ×4, first 2 shown]
; %bb.34:                               ;   in Loop: Header=BB13_3 Depth=1
	s_or_b64 exec, exec, s[44:45]
	v_mov_b32_e32 v8, v15
	v_mov_b32_e32 v9, v17
.LBB13_35:                              ;   in Loop: Header=BB13_3 Depth=1
	s_or_b64 exec, exec, s[8:9]
	v_min_i32_e32 v15, 4, v29
	v_cmp_lt_i32_e32 vcc, 2, v15
	s_mov_b64 s[44:45], 0
	s_mov_b64 s[54:55], 0
	;; [unrolled: 1-line block ×3, first 2 shown]
                                        ; implicit-def: $sgpr46_sgpr47
                                        ; implicit-def: $sgpr48_sgpr49
                                        ; implicit-def: $sgpr50_sgpr51
	s_and_saveexec_b64 s[52:53], vcc
	s_xor_b64 s[52:53], exec, s[52:53]
	s_cbranch_execz .LBB13_47
; %bb.36:                               ;   in Loop: Header=BB13_3 Depth=1
	v_cmp_lt_i32_e32 vcc, 3, v15
	s_mov_b64 s[8:9], -1
	s_mov_b64 s[58:59], 0
                                        ; implicit-def: $sgpr46_sgpr47
                                        ; implicit-def: $sgpr56_sgpr57
	s_and_saveexec_b64 s[48:49], vcc
	s_cbranch_execz .LBB13_42
; %bb.37:                               ;   in Loop: Header=BB13_3 Depth=1
	v_cmp_eq_u32_e32 vcc, 4, v15
	s_mov_b64 s[8:9], 0
	s_mov_b64 s[58:59], -1
                                        ; implicit-def: $sgpr46_sgpr47
                                        ; implicit-def: $sgpr56_sgpr57
	s_and_saveexec_b64 s[50:51], vcc
	s_cbranch_execz .LBB13_41
; %bb.38:                               ;   in Loop: Header=BB13_3 Depth=1
	s_waitcnt vmcnt(0)
	v_cmp_le_f32_e32 vcc, 0, v32
	v_cmp_ge_f32_e64 s[8:9], 1.0, v32
	s_and_b64 s[58:59], vcc, s[8:9]
	s_mov_b64 s[46:47], 0
	s_mov_b64 s[8:9], 0
	s_and_saveexec_b64 s[56:57], s[58:59]
	s_cbranch_execz .LBB13_40
; %bb.39:                               ;   in Loop: Header=BB13_3 Depth=1
	v_cvt_f32_u32_e32 v16, v23
	v_mov_b32_e32 v17, 0x2f800000
	v_mov_b32_e32 v18, s11
	v_add_co_u32_e32 v12, vcc, s10, v12
	v_fmac_f32_e32 v17, 0x2f800000, v16
	v_addc_co_u32_e32 v13, vcc, v18, v13, vcc
	v_cmp_le_f32_e32 vcc, v17, v32
	s_mov_b64 s[8:9], exec
	v_cndmask_b32_e64 v16, 0, 1, vcc
	global_store_byte v[12:13], v16, off
.LBB13_40:                              ;   in Loop: Header=BB13_3 Depth=1
	s_or_b64 exec, exec, s[56:57]
	s_mov_b64 s[56:57], -1
	s_xor_b64 s[58:59], exec, -1
	s_and_b64 s[8:9], s[8:9], exec
.LBB13_41:                              ;   in Loop: Header=BB13_3 Depth=1
	s_or_b64 exec, exec, s[50:51]
	s_and_b64 s[58:59], s[58:59], exec
	s_orn2_b64 s[8:9], s[8:9], exec
.LBB13_42:                              ;   in Loop: Header=BB13_3 Depth=1
	s_or_b64 exec, exec, s[48:49]
	s_mov_b64 s[50:51], s[46:47]
	s_and_saveexec_b64 s[48:49], s[8:9]
	s_cbranch_execz .LBB13_46
; %bb.43:                               ;   in Loop: Header=BB13_3 Depth=1
	v_lshlrev_b64 v[10:11], 2, v[10:11]
	v_mov_b32_e32 v12, s19
	v_add_co_u32_e32 v10, vcc, s18, v10
	v_addc_co_u32_e32 v11, vcc, v12, v11, vcc
	global_load_dword v10, v[10:11], off
	s_waitcnt vmcnt(0)
	v_cmp_le_f32_e32 vcc, 0, v10
	v_cmp_ge_f32_e64 s[8:9], 1.0, v10
	s_and_b64 s[50:51], vcc, s[8:9]
	s_mov_b64 s[8:9], 0
	s_and_saveexec_b64 s[54:55], s[50:51]
	s_xor_b64 s[50:51], exec, s[54:55]
	s_cbranch_execz .LBB13_45
; %bb.44:                               ;   in Loop: Header=BB13_3 Depth=1
	v_cvt_f32_u32_e32 v11, v14
	v_mov_b32_e32 v12, 0x2f800000
	v_cndmask_b32_e64 v13, 0, v31, s[6:7]
	s_mov_b64 s[8:9], exec
	v_fmac_f32_e32 v12, 0x2f800000, v11
	v_cmp_le_f32_e32 vcc, v12, v10
	v_cndmask_b32_e64 v10, 0, 1, vcc
	global_store_byte v13, v10, s[10:11]
.LBB13_45:                              ;   in Loop: Header=BB13_3 Depth=1
	s_or_b64 exec, exec, s[50:51]
	s_andn2_b64 s[50:51], s[46:47], exec
	s_or_b64 s[46:47], s[46:47], exec
	s_andn2_b64 s[56:57], s[56:57], exec
	s_and_b64 s[54:55], s[8:9], exec
.LBB13_46:                              ;   in Loop: Header=BB13_3 Depth=1
	s_or_b64 exec, exec, s[48:49]
	s_and_b64 s[50:51], s[50:51], exec
	s_and_b64 s[48:49], s[46:47], exec
	;; [unrolled: 1-line block ×5, first 2 shown]
.LBB13_47:                              ;   in Loop: Header=BB13_3 Depth=1
	s_andn2_saveexec_b64 s[6:7], s[52:53]
; %bb.48:                               ;   in Loop: Header=BB13_3 Depth=1
	v_cmp_lt_i32_e32 vcc, 1, v15
	s_andn2_b64 s[52:53], s[54:55], exec
	s_and_b64 s[54:55], vcc, exec
	s_mov_b64 s[44:45], exec
	s_andn2_b64 s[50:51], s[50:51], exec
	s_andn2_b64 s[48:49], s[48:49], exec
	;; [unrolled: 1-line block ×3, first 2 shown]
	s_or_b64 s[54:55], s[52:53], s[54:55]
; %bb.49:                               ;   in Loop: Header=BB13_3 Depth=1
	s_or_b64 exec, exec, s[6:7]
	s_mov_b64 s[52:53], 0
	s_mov_b64 s[6:7], s[50:51]
	s_and_saveexec_b64 s[56:57], s[54:55]
	s_cbranch_execnz .LBB13_52
; %bb.50:                               ;   in Loop: Header=BB13_3 Depth=1
	s_or_b64 exec, exec, s[56:57]
	s_and_saveexec_b64 s[4:5], s[44:45]
	s_cbranch_execnz .LBB13_55
.LBB13_51:                              ;   in Loop: Header=BB13_3 Depth=1
	s_or_b64 exec, exec, s[4:5]
	s_and_saveexec_b64 s[44:45], s[52:53]
	s_cbranch_execnz .LBB13_56
	s_branch .LBB13_59
.LBB13_52:                              ;   in Loop: Header=BB13_3 Depth=1
	v_lshlrev_b64 v[6:7], 2, v[6:7]
	v_mov_b32_e32 v10, s19
	v_add_co_u32_e32 v6, vcc, s18, v6
	v_addc_co_u32_e32 v7, vcc, v10, v7, vcc
	global_load_dword v6, v[6:7], off
	s_waitcnt vmcnt(0)
	v_cmp_le_f32_e32 vcc, 0, v6
	v_cmp_ge_f32_e64 s[6:7], 1.0, v6
	s_and_b64 s[6:7], vcc, s[6:7]
	s_and_saveexec_b64 s[54:55], s[6:7]
	s_xor_b64 s[6:7], exec, s[54:55]
	s_cbranch_execz .LBB13_54
; %bb.53:                               ;   in Loop: Header=BB13_3 Depth=1
	v_cvt_f32_u32_e32 v7, v9
	v_mov_b32_e32 v9, 0x2f800000
	v_cndmask_b32_e64 v10, 0, v30, s[4:5]
	s_mov_b64 s[52:53], exec
	v_fmac_f32_e32 v9, 0x2f800000, v7
	v_cmp_le_f32_e32 vcc, v9, v6
	v_cndmask_b32_e64 v6, 0, 1, vcc
	global_store_byte v10, v6, s[10:11]
.LBB13_54:                              ;   in Loop: Header=BB13_3 Depth=1
	s_or_b64 exec, exec, s[6:7]
	s_andn2_b64 s[6:7], s[50:51], exec
	s_or_b64 s[50:51], s[50:51], exec
	s_andn2_b64 s[48:49], s[48:49], exec
	s_andn2_b64 s[46:47], s[46:47], exec
	s_and_b64 s[52:53], s[52:53], exec
	s_andn2_b64 s[44:45], s[44:45], exec
	s_or_b64 exec, exec, s[56:57]
	s_and_saveexec_b64 s[4:5], s[44:45]
	s_cbranch_execz .LBB13_51
.LBB13_55:                              ;   in Loop: Header=BB13_3 Depth=1
	v_cmp_eq_u32_e32 vcc, 1, v15
	s_andn2_b64 s[44:45], s[52:53], exec
	s_and_b64 s[52:53], vcc, exec
	s_andn2_b64 s[6:7], s[6:7], exec
	s_andn2_b64 s[50:51], s[50:51], exec
	;; [unrolled: 1-line block ×4, first 2 shown]
	s_or_b64 s[8:9], s[8:9], exec
	s_or_b64 s[52:53], s[44:45], s[52:53]
	s_or_b64 exec, exec, s[4:5]
	s_and_saveexec_b64 s[44:45], s[52:53]
	s_cbranch_execz .LBB13_59
.LBB13_56:                              ;   in Loop: Header=BB13_3 Depth=1
	v_lshlrev_b64 v[6:7], 2, v[2:3]
	v_mov_b32_e32 v2, s19
	v_add_co_u32_e32 v6, vcc, s18, v6
	v_addc_co_u32_e32 v7, vcc, v2, v7, vcc
	global_load_dword v2, v[6:7], off
	s_waitcnt vmcnt(0)
	v_cmp_le_f32_e32 vcc, 0, v2
	v_cmp_ge_f32_e64 s[4:5], 1.0, v2
	s_and_b64 s[54:55], vcc, s[4:5]
	s_mov_b64 s[4:5], 0
	s_and_saveexec_b64 s[52:53], s[54:55]
	s_cbranch_execz .LBB13_58
; %bb.57:                               ;   in Loop: Header=BB13_3 Depth=1
	v_cvt_f32_u32_e32 v6, v8
	v_mov_b32_e32 v7, 0x2f800000
	s_mov_b64 s[4:5], exec
	v_cndmask_b32_e64 v1, 0, v1, s[2:3]
	v_fmac_f32_e32 v7, 0x2f800000, v6
	v_cmp_le_f32_e32 vcc, v7, v2
	v_cndmask_b32_e64 v2, 0, 1, vcc
	global_store_byte v1, v2, s[10:11]
.LBB13_58:                              ;   in Loop: Header=BB13_3 Depth=1
	s_or_b64 exec, exec, s[52:53]
	s_andn2_b64 s[2:3], s[8:9], exec
	s_and_b64 s[4:5], s[4:5], exec
	s_or_b64 s[6:7], s[6:7], exec
	s_andn2_b64 s[50:51], s[50:51], exec
	s_andn2_b64 s[48:49], s[48:49], exec
	;; [unrolled: 1-line block ×3, first 2 shown]
	s_or_b64 s[8:9], s[2:3], s[4:5]
.LBB13_59:                              ;   in Loop: Header=BB13_3 Depth=1
	s_or_b64 exec, exec, s[44:45]
	s_andn2_b64 s[4:5], s[42:43], exec
	s_and_b64 s[6:7], s[6:7], exec
	s_or_b64 s[42:43], s[4:5], s[6:7]
	s_andn2_b64 s[4:5], s[40:41], exec
	s_and_b64 s[6:7], s[50:51], exec
	s_or_b64 s[40:41], s[4:5], s[6:7]
	;; [unrolled: 3-line block ×3, first 2 shown]
	s_andn2_b64 s[4:5], s[36:37], exec
	s_and_b64 s[6:7], s[46:47], exec
	s_mov_b64 s[2:3], -1
	s_or_b64 s[36:37], s[4:5], s[6:7]
	s_and_saveexec_b64 s[4:5], s[8:9]
	s_cbranch_execz .LBB13_2
; %bb.60:                               ;   in Loop: Header=BB13_3 Depth=1
	v_add_u32_e32 v28, s63, v28
	v_cmp_le_u32_e32 vcc, s33, v28
	s_andn2_b64 s[42:43], s[42:43], exec
	s_andn2_b64 s[40:41], s[40:41], exec
	;; [unrolled: 1-line block ×4, first 2 shown]
	s_orn2_b64 s[2:3], vcc, exec
	s_branch .LBB13_2
.LBB13_61:
	s_or_b64 exec, exec, s[26:27]
	s_xor_b64 s[6:7], s[34:35], -1
	s_xor_b64 s[8:9], s[30:31], -1
	;; [unrolled: 1-line block ×3, first 2 shown]
	s_mov_b64 s[2:3], 0
	s_and_saveexec_b64 s[4:5], s[0:1]
	s_xor_b64 s[0:1], exec, s[4:5]
	s_cbranch_execnz .LBB13_66
; %bb.62:
	s_andn2_saveexec_b64 s[0:1], s[0:1]
	s_cbranch_execnz .LBB13_74
.LBB13_63:
	s_or_b64 exec, exec, s[0:1]
	s_and_b64 exec, exec, s[2:3]
.LBB13_64:
	; divergent unreachable
.LBB13_65:
	s_endpgm
.LBB13_66:
	s_mov_b64 s[4:5], 0
	s_and_saveexec_b64 s[2:3], s[8:9]
	s_xor_b64 s[2:3], exec, s[2:3]
	s_cbranch_execz .LBB13_72
; %bb.67:
	s_and_saveexec_b64 s[8:9], s[6:7]
	s_xor_b64 s[6:7], exec, s[8:9]
	s_cbranch_execz .LBB13_70
; %bb.68:
	s_and_saveexec_b64 s[8:9], s[20:21]
	s_xor_b64 s[8:9], exec, s[8:9]
	s_cbranch_execnz .LBB13_77
.LBB13_69:
	s_or_b64 exec, exec, s[8:9]
	s_and_b64 s[4:5], s[4:5], exec
.LBB13_70:
	s_andn2_saveexec_b64 s[6:7], s[6:7]
	s_cbranch_execnz .LBB13_76
.LBB13_71:
	s_or_b64 exec, exec, s[6:7]
	s_and_b64 s[4:5], s[4:5], exec
.LBB13_72:
	s_andn2_saveexec_b64 s[2:3], s[2:3]
	s_cbranch_execnz .LBB13_75
.LBB13_73:
	s_or_b64 exec, exec, s[2:3]
	s_and_b64 s[2:3], s[4:5], exec
	s_andn2_saveexec_b64 s[0:1], s[0:1]
	s_cbranch_execz .LBB13_63
.LBB13_74:
	s_or_b64 s[2:3], s[2:3], exec
	s_trap 2
	s_or_b64 exec, exec, s[0:1]
	s_and_b64 exec, exec, s[2:3]
	s_cbranch_execnz .LBB13_64
	s_branch .LBB13_65
.LBB13_75:
	s_or_b64 s[4:5], s[4:5], exec
	s_trap 2
	s_branch .LBB13_73
.LBB13_76:
	s_trap 2
	s_or_b64 s[4:5], s[4:5], exec
	s_branch .LBB13_71
.LBB13_77:
	s_mov_b64 s[4:5], exec
	s_trap 2
	s_branch .LBB13_69
	.section	.rodata,"a",@progbits
	.p2align	6, 0x0
	.amdhsa_kernel _ZN2at4cuda12_GLOBAL__N_121kernelPointwiseApply2IZNS_6native9templates4cuda28bernoulli_tensor_cuda_kernelIhfEEvRKNS_10TensorBaseES9_NS_15PhiloxCudaStateEEUliRhSB_SB_SB_RKfSD_SD_SD_E_hSC_jLi1ELin1ELi4ELi512ELi2EEEvNS0_6detail10TensorInfoIT0_T2_EENSG_IT1_SI_EESI_T_
		.amdhsa_group_segment_fixed_size 0
		.amdhsa_private_segment_fixed_size 0
		.amdhsa_kernarg_size 728
		.amdhsa_user_sgpr_count 6
		.amdhsa_user_sgpr_private_segment_buffer 1
		.amdhsa_user_sgpr_dispatch_ptr 0
		.amdhsa_user_sgpr_queue_ptr 0
		.amdhsa_user_sgpr_kernarg_segment_ptr 1
		.amdhsa_user_sgpr_dispatch_id 0
		.amdhsa_user_sgpr_flat_scratch_init 0
		.amdhsa_user_sgpr_kernarg_preload_length 0
		.amdhsa_user_sgpr_kernarg_preload_offset 0
		.amdhsa_user_sgpr_private_segment_size 0
		.amdhsa_uses_dynamic_stack 0
		.amdhsa_system_sgpr_private_segment_wavefront_offset 0
		.amdhsa_system_sgpr_workgroup_id_x 1
		.amdhsa_system_sgpr_workgroup_id_y 0
		.amdhsa_system_sgpr_workgroup_id_z 0
		.amdhsa_system_sgpr_workgroup_info 0
		.amdhsa_system_vgpr_workitem_id 0
		.amdhsa_next_free_vgpr 51
		.amdhsa_next_free_sgpr 67
		.amdhsa_accum_offset 52
		.amdhsa_reserve_vcc 1
		.amdhsa_reserve_flat_scratch 0
		.amdhsa_float_round_mode_32 0
		.amdhsa_float_round_mode_16_64 0
		.amdhsa_float_denorm_mode_32 3
		.amdhsa_float_denorm_mode_16_64 3
		.amdhsa_dx10_clamp 1
		.amdhsa_ieee_mode 1
		.amdhsa_fp16_overflow 0
		.amdhsa_tg_split 0
		.amdhsa_exception_fp_ieee_invalid_op 0
		.amdhsa_exception_fp_denorm_src 0
		.amdhsa_exception_fp_ieee_div_zero 0
		.amdhsa_exception_fp_ieee_overflow 0
		.amdhsa_exception_fp_ieee_underflow 0
		.amdhsa_exception_fp_ieee_inexact 0
		.amdhsa_exception_int_div_zero 0
	.end_amdhsa_kernel
	.section	.text._ZN2at4cuda12_GLOBAL__N_121kernelPointwiseApply2IZNS_6native9templates4cuda28bernoulli_tensor_cuda_kernelIhfEEvRKNS_10TensorBaseES9_NS_15PhiloxCudaStateEEUliRhSB_SB_SB_RKfSD_SD_SD_E_hSC_jLi1ELin1ELi4ELi512ELi2EEEvNS0_6detail10TensorInfoIT0_T2_EENSG_IT1_SI_EESI_T_,"axG",@progbits,_ZN2at4cuda12_GLOBAL__N_121kernelPointwiseApply2IZNS_6native9templates4cuda28bernoulli_tensor_cuda_kernelIhfEEvRKNS_10TensorBaseES9_NS_15PhiloxCudaStateEEUliRhSB_SB_SB_RKfSD_SD_SD_E_hSC_jLi1ELin1ELi4ELi512ELi2EEEvNS0_6detail10TensorInfoIT0_T2_EENSG_IT1_SI_EESI_T_,comdat
.Lfunc_end13:
	.size	_ZN2at4cuda12_GLOBAL__N_121kernelPointwiseApply2IZNS_6native9templates4cuda28bernoulli_tensor_cuda_kernelIhfEEvRKNS_10TensorBaseES9_NS_15PhiloxCudaStateEEUliRhSB_SB_SB_RKfSD_SD_SD_E_hSC_jLi1ELin1ELi4ELi512ELi2EEEvNS0_6detail10TensorInfoIT0_T2_EENSG_IT1_SI_EESI_T_, .Lfunc_end13-_ZN2at4cuda12_GLOBAL__N_121kernelPointwiseApply2IZNS_6native9templates4cuda28bernoulli_tensor_cuda_kernelIhfEEvRKNS_10TensorBaseES9_NS_15PhiloxCudaStateEEUliRhSB_SB_SB_RKfSD_SD_SD_E_hSC_jLi1ELin1ELi4ELi512ELi2EEEvNS0_6detail10TensorInfoIT0_T2_EENSG_IT1_SI_EESI_T_
                                        ; -- End function
	.section	.AMDGPU.csdata,"",@progbits
; Kernel info:
; codeLenInByte = 3432
; NumSgprs: 71
; NumVgprs: 51
; NumAgprs: 0
; TotalNumVgprs: 51
; ScratchSize: 0
; MemoryBound: 0
; FloatMode: 240
; IeeeMode: 1
; LDSByteSize: 0 bytes/workgroup (compile time only)
; SGPRBlocks: 8
; VGPRBlocks: 6
; NumSGPRsForWavesPerEU: 71
; NumVGPRsForWavesPerEU: 51
; AccumOffset: 52
; Occupancy: 8
; WaveLimiterHint : 1
; COMPUTE_PGM_RSRC2:SCRATCH_EN: 0
; COMPUTE_PGM_RSRC2:USER_SGPR: 6
; COMPUTE_PGM_RSRC2:TRAP_HANDLER: 0
; COMPUTE_PGM_RSRC2:TGID_X_EN: 1
; COMPUTE_PGM_RSRC2:TGID_Y_EN: 0
; COMPUTE_PGM_RSRC2:TGID_Z_EN: 0
; COMPUTE_PGM_RSRC2:TIDIG_COMP_CNT: 0
; COMPUTE_PGM_RSRC3_GFX90A:ACCUM_OFFSET: 12
; COMPUTE_PGM_RSRC3_GFX90A:TG_SPLIT: 0
	.section	.text._ZN2at4cuda12_GLOBAL__N_121kernelPointwiseApply2IZNS_6native9templates4cuda28bernoulli_tensor_cuda_kernelIhfEEvRKNS_10TensorBaseES9_NS_15PhiloxCudaStateEEUliRhSB_SB_SB_RKfSD_SD_SD_E_hSC_jLi2ELi1ELi4ELi512ELi2EEEvNS0_6detail10TensorInfoIT0_T2_EENSG_IT1_SI_EESI_T_,"axG",@progbits,_ZN2at4cuda12_GLOBAL__N_121kernelPointwiseApply2IZNS_6native9templates4cuda28bernoulli_tensor_cuda_kernelIhfEEvRKNS_10TensorBaseES9_NS_15PhiloxCudaStateEEUliRhSB_SB_SB_RKfSD_SD_SD_E_hSC_jLi2ELi1ELi4ELi512ELi2EEEvNS0_6detail10TensorInfoIT0_T2_EENSG_IT1_SI_EESI_T_,comdat
	.globl	_ZN2at4cuda12_GLOBAL__N_121kernelPointwiseApply2IZNS_6native9templates4cuda28bernoulli_tensor_cuda_kernelIhfEEvRKNS_10TensorBaseES9_NS_15PhiloxCudaStateEEUliRhSB_SB_SB_RKfSD_SD_SD_E_hSC_jLi2ELi1ELi4ELi512ELi2EEEvNS0_6detail10TensorInfoIT0_T2_EENSG_IT1_SI_EESI_T_ ; -- Begin function _ZN2at4cuda12_GLOBAL__N_121kernelPointwiseApply2IZNS_6native9templates4cuda28bernoulli_tensor_cuda_kernelIhfEEvRKNS_10TensorBaseES9_NS_15PhiloxCudaStateEEUliRhSB_SB_SB_RKfSD_SD_SD_E_hSC_jLi2ELi1ELi4ELi512ELi2EEEvNS0_6detail10TensorInfoIT0_T2_EENSG_IT1_SI_EESI_T_
	.p2align	8
	.type	_ZN2at4cuda12_GLOBAL__N_121kernelPointwiseApply2IZNS_6native9templates4cuda28bernoulli_tensor_cuda_kernelIhfEEvRKNS_10TensorBaseES9_NS_15PhiloxCudaStateEEUliRhSB_SB_SB_RKfSD_SD_SD_E_hSC_jLi2ELi1ELi4ELi512ELi2EEEvNS0_6detail10TensorInfoIT0_T2_EENSG_IT1_SI_EESI_T_,@function
_ZN2at4cuda12_GLOBAL__N_121kernelPointwiseApply2IZNS_6native9templates4cuda28bernoulli_tensor_cuda_kernelIhfEEvRKNS_10TensorBaseES9_NS_15PhiloxCudaStateEEUliRhSB_SB_SB_RKfSD_SD_SD_E_hSC_jLi2ELi1ELi4ELi512ELi2EEEvNS0_6detail10TensorInfoIT0_T2_EENSG_IT1_SI_EESI_T_: ; @_ZN2at4cuda12_GLOBAL__N_121kernelPointwiseApply2IZNS_6native9templates4cuda28bernoulli_tensor_cuda_kernelIhfEEvRKNS_10TensorBaseES9_NS_15PhiloxCudaStateEEUliRhSB_SB_SB_RKfSD_SD_SD_E_hSC_jLi2ELi1ELi4ELi512ELi2EEEvNS0_6detail10TensorInfoIT0_T2_EENSG_IT1_SI_EESI_T_
; %bb.0:
	s_load_dword s2, s[4:5], 0x1e4
	s_load_dword s33, s[4:5], 0x1b0
	s_add_u32 s0, s4, 0x1d8
	s_addc_u32 s1, s5, 0
	s_waitcnt lgkmcnt(0)
	s_and_b32 s2, s2, 0xffff
	s_mul_i32 s6, s6, s2
	v_add_u32_e32 v1, s6, v0
	v_lshlrev_b32_e32 v0, 2, v1
	v_cmp_gt_u32_e32 vcc, s33, v0
	s_and_saveexec_b64 s[6:7], vcc
	s_cbranch_execz .LBB14_51
; %bb.1:
	s_load_dwordx2 s[12:13], s[4:5], 0x0
	s_load_dword s56, s[4:5], 0xc
	s_load_dwordx2 s[14:15], s[4:5], 0x6c
	s_load_dwordx2 s[16:17], s[4:5], 0xd8
	s_load_dword s3, s[0:1], 0x0
	s_load_dwordx2 s[18:19], s[4:5], 0x1c8
	s_load_dword s6, s[4:5], 0x1d0
	s_load_dword s7, s[4:5], 0x144
	s_load_dwordx4 s[8:11], s[4:5], 0x1b8
	s_waitcnt lgkmcnt(0)
	v_cvt_f32_u32_e32 v2, s56
	s_mov_b32 s57, 0xcd9e8d57
	s_bitcmp1_b32 s6, 0
	s_cselect_b64 s[22:23], -1, 0
	v_rcp_iflag_f32_e32 v4, v2
	v_mad_u64_u32 v[2:3], s[0:1], v1, s57, 0
	s_sub_i32 s60, 0, s56
	v_mul_f32_e32 v4, 0x4f7ffffe, v4
	v_cvt_u32_f32_e32 v4, v4
	v_mov_b32_e32 v6, v3
	s_mul_i32 s3, s3, s2
	s_lshl_b32 s59, s3, 2
	v_mul_lo_u32 v3, s60, v4
	v_mul_hi_u32 v3, v4, v3
	v_add_u32_e32 v3, v4, v3
	v_add_u32_e32 v4, 2, v0
	v_mul_lo_u32 v32, v0, s7
	v_mul_lo_u32 v34, s7, v4
	v_add_u32_e32 v4, 3, v0
	s_mov_b32 s58, 0
	v_mov_b32_e32 v5, 0
	v_sub_u32_e32 v7, s33, v0
	v_add_u32_e32 v33, s7, v32
	s_mul_i32 s61, s59, s7
	v_mul_lo_u32 v35, s7, v4
	s_mov_b64 s[24:25], 0
	s_mov_b32 s62, 0xd2511f53
	s_mov_b32 s63, 0xf1bbcdc8
                                        ; implicit-def: $sgpr26_sgpr27
                                        ; implicit-def: $sgpr28_sgpr29
                                        ; implicit-def: $sgpr30_sgpr31
                                        ; implicit-def: $sgpr20_sgpr21
                                        ; implicit-def: $sgpr34_sgpr35
                                        ; implicit-def: $sgpr36_sgpr37
                                        ; implicit-def: $sgpr38_sgpr39
                                        ; implicit-def: $sgpr40_sgpr41
	s_branch .LBB14_3
.LBB14_2:                               ;   in Loop: Header=BB14_3 Depth=1
	s_or_b64 exec, exec, s[2:3]
	s_and_b64 s[0:1], exec, s[0:1]
	s_or_b64 s[24:25], s[0:1], s[24:25]
	s_andn2_b64 s[0:1], s[20:21], exec
	s_and_b64 s[2:3], s[40:41], exec
	s_or_b64 s[20:21], s[0:1], s[2:3]
	s_andn2_b64 s[0:1], s[30:31], exec
	s_and_b64 s[2:3], s[38:39], exec
	;; [unrolled: 3-line block ×4, first 2 shown]
	s_or_b64 s[26:27], s[0:1], s[2:3]
	s_andn2_b64 exec, exec, s[24:25]
	s_cbranch_execz .LBB14_47
.LBB14_3:                               ; =>This Inner Loop Header: Depth=1
	v_pk_mov_b32 v[10:11], 0, 0
	v_cmp_lt_i32_e64 s[0:1], 0, v7
	v_pk_mov_b32 v[8:9], v[10:11], v[10:11] op_sel:[0,1]
	s_and_saveexec_b64 s[2:3], s[0:1]
	s_cbranch_execz .LBB14_5
; %bb.4:                                ;   in Loop: Header=BB14_3 Depth=1
	s_waitcnt vmcnt(0)
	v_mul_hi_u32 v4, v3, v0
	v_not_b32_e32 v12, v4
	v_mad_u64_u32 v[8:9], s[4:5], s60, v4, v[0:1]
	v_add_u32_e32 v9, 1, v4
	v_cmp_le_u32_e32 vcc, s56, v8
	v_mad_u64_u32 v[12:13], s[4:5], s56, v12, v[0:1]
	v_cndmask_b32_e32 v4, v4, v9, vcc
	v_cndmask_b32_e32 v8, v8, v12, vcc
	v_add_u32_e32 v9, 1, v4
	v_cmp_le_u32_e32 vcc, s56, v8
	v_cndmask_b32_e32 v12, v4, v9, vcc
	v_mad_u64_u32 v[8:9], s[4:5], s60, v12, v[0:1]
	v_mul_lo_u32 v4, v8, s15
	v_mad_u64_u32 v[8:9], s[4:5], v12, s14, v[4:5]
	v_mov_b32_e32 v9, v5
.LBB14_5:                               ;   in Loop: Header=BB14_3 Depth=1
	s_or_b64 exec, exec, s[2:3]
	v_cmp_lt_i32_e64 s[2:3], 1, v7
	s_and_saveexec_b64 s[4:5], s[2:3]
	s_cbranch_execz .LBB14_7
; %bb.6:                                ;   in Loop: Header=BB14_3 Depth=1
	s_waitcnt vmcnt(0)
	v_add_u32_e32 v4, 1, v0
	v_mul_hi_u32 v10, v4, v3
	v_mul_lo_u32 v11, v10, s56
	v_sub_u32_e32 v11, v4, v11
	v_add_u32_e32 v12, 1, v10
	v_cmp_le_u32_e32 vcc, s56, v11
	v_cndmask_b32_e32 v10, v10, v12, vcc
	v_subrev_u32_e32 v12, s56, v11
	v_cndmask_b32_e32 v11, v11, v12, vcc
	v_add_u32_e32 v12, 1, v10
	v_cmp_le_u32_e32 vcc, s56, v11
	v_cndmask_b32_e32 v10, v10, v12, vcc
	v_mul_lo_u32 v11, v10, s56
	v_sub_u32_e32 v4, v4, v11
	v_mul_lo_u32 v4, v4, s15
	v_mad_u64_u32 v[10:11], s[6:7], v10, s14, v[4:5]
	v_mov_b32_e32 v11, v5
.LBB14_7:                               ;   in Loop: Header=BB14_3 Depth=1
	s_or_b64 exec, exec, s[4:5]
	v_pk_mov_b32 v[16:17], 0, 0
	v_cmp_lt_i32_e64 s[4:5], 2, v7
	v_pk_mov_b32 v[14:15], v[16:17], v[16:17] op_sel:[0,1]
	s_and_saveexec_b64 s[6:7], s[4:5]
	s_cbranch_execz .LBB14_9
; %bb.8:                                ;   in Loop: Header=BB14_3 Depth=1
	s_waitcnt vmcnt(0)
	v_add_u32_e32 v4, 2, v0
	v_mul_hi_u32 v12, v4, v3
	v_mul_lo_u32 v13, v12, s56
	v_sub_u32_e32 v13, v4, v13
	v_add_u32_e32 v14, 1, v12
	v_cmp_le_u32_e32 vcc, s56, v13
	v_cndmask_b32_e32 v12, v12, v14, vcc
	v_subrev_u32_e32 v14, s56, v13
	v_cndmask_b32_e32 v13, v13, v14, vcc
	v_add_u32_e32 v14, 1, v12
	v_cmp_le_u32_e32 vcc, s56, v13
	v_cndmask_b32_e32 v12, v12, v14, vcc
	v_mul_lo_u32 v13, v12, s56
	v_sub_u32_e32 v4, v4, v13
	v_mul_lo_u32 v4, v4, s15
	v_mad_u64_u32 v[14:15], s[42:43], v12, s14, v[4:5]
	v_mov_b32_e32 v15, v5
.LBB14_9:                               ;   in Loop: Header=BB14_3 Depth=1
	s_or_b64 exec, exec, s[6:7]
	v_cmp_lt_i32_e32 vcc, 3, v7
	s_and_saveexec_b64 s[42:43], vcc
	s_cbranch_execz .LBB14_11
; %bb.10:                               ;   in Loop: Header=BB14_3 Depth=1
	s_waitcnt vmcnt(0)
	v_add_u32_e32 v4, 3, v0
	v_mul_hi_u32 v12, v4, v3
	v_mul_lo_u32 v13, v12, s56
	v_sub_u32_e32 v13, v4, v13
	v_add_u32_e32 v16, 1, v12
	v_cmp_le_u32_e64 s[6:7], s56, v13
	v_cndmask_b32_e64 v12, v12, v16, s[6:7]
	v_subrev_u32_e32 v16, s56, v13
	v_cndmask_b32_e64 v13, v13, v16, s[6:7]
	v_add_u32_e32 v16, 1, v12
	v_cmp_le_u32_e64 s[6:7], s56, v13
	v_cndmask_b32_e64 v12, v12, v16, s[6:7]
	v_mul_lo_u32 v13, v12, s56
	v_sub_u32_e32 v4, v4, v13
	v_mul_lo_u32 v4, v4, s15
	v_mad_u64_u32 v[16:17], s[6:7], v12, s14, v[4:5]
	v_mov_b32_e32 v17, v5
.LBB14_11:                              ;   in Loop: Header=BB14_3 Depth=1
	s_or_b64 exec, exec, s[42:43]
	s_waitcnt vmcnt(0)
	v_add_u32_e32 v4, s58, v35
	v_cndmask_b32_e32 v4, 0, v4, vcc
	v_lshlrev_b64 v[12:13], 2, v[4:5]
	v_mov_b32_e32 v4, s17
	v_add_co_u32_e32 v12, vcc, s16, v12
	v_addc_co_u32_e32 v13, vcc, v4, v13, vcc
	global_load_dword v4, v[12:13], off
	s_andn2_b64 vcc, exec, s[22:23]
	v_pk_mov_b32 v[12:13], s[10:11], s[10:11] op_sel:[0,1]
	v_pk_mov_b32 v[18:19], s[8:9], s[8:9] op_sel:[0,1]
	s_cbranch_vccnz .LBB14_13
; %bb.12:                               ;   in Loop: Header=BB14_3 Depth=1
	v_pk_mov_b32 v[12:13], s[10:11], s[10:11] op_sel:[0,1]
	flat_load_dwordx2 v[12:13], v[12:13]
	v_pk_mov_b32 v[18:19], s[8:9], s[8:9] op_sel:[0,1]
	flat_load_dwordx2 v[18:19], v[18:19]
	v_mov_b32_e32 v20, s19
	s_waitcnt vmcnt(0) lgkmcnt(0)
	v_add_co_u32_e32 v12, vcc, s18, v12
	v_addc_co_u32_e32 v13, vcc, v13, v20, vcc
.LBB14_13:                              ;   in Loop: Header=BB14_3 Depth=1
	v_alignbit_b32 v28, v13, v12, 2
	v_lshrrev_b32_e32 v29, 2, v13
	v_xor_b32_e32 v20, v6, v18
	v_and_b32_e32 v36, 3, v12
	v_mad_u64_u32 v[12:13], s[6:7], v28, s62, 0
	v_xor_b32_e32 v20, v20, v29
	v_xor_b32_e32 v13, v13, v19
	v_add_u32_e32 v41, 0xbb67ae85, v19
	v_mad_u64_u32 v[20:21], s[6:7], v20, s62, 0
	v_mad_u64_u32 v[22:23], s[6:7], v13, s57, 0
	v_xor_b32_e32 v21, v41, v21
	v_add_u32_e32 v40, 0x9e3779b9, v18
	v_xor_b32_e32 v13, v2, v23
	v_xor_b32_e32 v21, v21, v12
	v_xor_b32_e32 v13, v13, v40
	v_add_u32_e32 v42, 0x3c6ef372, v18
	v_mad_u64_u32 v[24:25], s[6:7], v21, s57, 0
	v_add_u32_e32 v43, 0x76cf5d0a, v19
	v_mad_u64_u32 v[12:13], s[6:7], v13, s62, 0
	v_xor_b32_e32 v21, v42, v25
	v_xor_b32_e32 v21, v21, v22
	v_xor_b32_e32 v13, v43, v13
	v_xor_b32_e32 v13, v13, v20
	v_add_u32_e32 v45, 0x32370b8f, v19
	v_mad_u64_u32 v[20:21], s[6:7], v21, s62, 0
	v_add_u32_e32 v44, 0xdaa66d2b, v18
	v_mad_u64_u32 v[22:23], s[6:7], v13, s57, 0
	v_xor_b32_e32 v21, v45, v21
	;; [unrolled: 8-line block ×5, first 2 shown]
	v_xor_b32_e32 v21, v21, v22
	v_xor_b32_e32 v13, v51, v13
	;; [unrolled: 1-line block ×3, first 2 shown]
	v_add_u32_e32 v53, 0x1fd5c5a3, v19
	v_mad_u64_u32 v[20:21], s[6:7], v21, s62, 0
	v_xor_b32_e32 v21, v53, v21
	v_xor_b32_e32 v12, v21, v12
	v_add_u32_e32 v52, 0x5384540f, v18
	v_mad_u64_u32 v[26:27], s[6:7], v13, s57, 0
	v_add_co_u32_e32 v38, vcc, s63, v18
	v_mad_u64_u32 v[22:23], s[6:7], v12, s57, 0
	v_xor_b32_e32 v13, v52, v27
	v_xor_b32_e32 v12, v38, v23
	;; [unrolled: 1-line block ×4, first 2 shown]
	v_mad_u64_u32 v[24:25], s[6:7], v13, s62, 0
	v_mad_u64_u32 v[12:13], s[6:7], v12, s62, 0
	v_add_u32_e32 v39, 0x96a522ad, v19
	v_xor_b32_e32 v13, v13, v24
	v_xor_b32_e32 v37, v39, v13
	v_add_co_u32_e32 v13, vcc, 1, v28
	v_cndmask_b32_e64 v24, 0, 1, vcc
	v_addc_co_u32_e32 v30, vcc, 0, v29, vcc
	v_cmp_eq_u32_e32 vcc, 0, v30
	v_cndmask_b32_e32 v24, 0, v24, vcc
	v_add_u32_e32 v28, v24, v1
	v_cmp_eq_u32_e32 vcc, 0, v28
	v_mad_u64_u32 v[26:27], s[6:7], v13, s62, 0
	v_mad_u64_u32 v[28:29], s[6:7], v28, s57, 0
	v_add_u32_e32 v23, 0x8ff34781, v18
	v_cndmask_b32_e32 v24, 0, v24, vcc
	v_xor_b32_e32 v13, v29, v18
	v_xor_b32_e32 v18, v27, v19
	;; [unrolled: 1-line block ×4, first 2 shown]
	v_mad_u64_u32 v[30:31], s[6:7], v24, s57, 0
	v_add_u32_e32 v21, 0xdb3d7428, v19
	v_mad_u64_u32 v[18:19], s[6:7], v13, s62, 0
	v_xor_b32_e32 v13, v40, v31
	v_xor_b32_e32 v13, v13, v28
	v_xor_b32_e32 v19, v41, v19
	v_xor_b32_e32 v19, v19, v26
	v_mad_u64_u32 v[26:27], s[6:7], v13, s62, 0
	v_mad_u64_u32 v[28:29], s[6:7], v19, s57, 0
	v_xor_b32_e32 v19, v43, v27
	v_xor_b32_e32 v13, v42, v29
	v_xor_b32_e32 v24, v19, v18
	v_xor_b32_e32 v13, v13, v30
	v_mad_u64_u32 v[30:31], s[6:7], v24, s57, 0
	;; [unrolled: 6-line block ×7, first 2 shown]
	v_xor_b32_e32 v13, v21, v29
	v_xor_b32_e32 v13, v13, v18
	v_mad_u64_u32 v[30:31], s[6:7], v19, s57, 0
	v_mad_u64_u32 v[18:19], s[6:7], v13, s57, 0
	v_xor_b32_e32 v13, v19, v30
	v_xor_b32_e32 v13, v23, v13
	v_cmp_lt_i32_e32 vcc, 1, v36
                                        ; implicit-def: $vgpr27
	s_and_saveexec_b64 s[6:7], vcc
	s_xor_b64 s[6:7], exec, s[6:7]
	s_cbranch_execz .LBB14_19
; %bb.14:                               ;   in Loop: Header=BB14_3 Depth=1
	v_cmp_lt_i32_e32 vcc, 2, v36
                                        ; implicit-def: $vgpr27
	s_and_saveexec_b64 s[42:43], vcc
	s_xor_b64 s[42:43], exec, s[42:43]
; %bb.15:                               ;   in Loop: Header=BB14_3 Depth=1
	v_xor_b32_e32 v19, v38, v31
	v_xor_b32_e32 v19, v19, v26
	v_mul_hi_u32 v19, v19, s62
	v_xor_b32_e32 v19, v19, v28
	v_xor_b32_e32 v27, v39, v19
                                        ; implicit-def: $vgpr37
; %bb.16:                               ;   in Loop: Header=BB14_3 Depth=1
	s_andn2_saveexec_b64 s[42:43], s[42:43]
; %bb.17:                               ;   in Loop: Header=BB14_3 Depth=1
	v_mov_b32_e32 v27, v18
	v_mov_b32_e32 v18, v13
	;; [unrolled: 1-line block ×4, first 2 shown]
; %bb.18:                               ;   in Loop: Header=BB14_3 Depth=1
	s_or_b64 exec, exec, s[42:43]
                                        ; implicit-def: $vgpr20_vgpr21
                                        ; implicit-def: $vgpr22_vgpr23
                                        ; implicit-def: $vgpr36
                                        ; implicit-def: $vgpr37
                                        ; implicit-def: $vgpr24_vgpr25
                                        ; implicit-def: $vgpr21
                                        ; implicit-def: $vgpr23
.LBB14_19:                              ;   in Loop: Header=BB14_3 Depth=1
	s_andn2_saveexec_b64 s[6:7], s[6:7]
	s_cbranch_execz .LBB14_23
; %bb.20:                               ;   in Loop: Header=BB14_3 Depth=1
	v_xor_b32_e32 v18, v21, v25
	v_xor_b32_e32 v18, v18, v20
	v_mad_u64_u32 v[20:21], s[42:43], v18, s57, 0
	v_xor_b32_e32 v18, v21, v22
	v_xor_b32_e32 v19, v23, v18
	v_cmp_eq_u32_e32 vcc, 1, v36
	v_mov_b32_e32 v27, v12
	v_mov_b32_e32 v18, v37
	;; [unrolled: 1-line block ×3, first 2 shown]
	s_and_saveexec_b64 s[42:43], vcc
; %bb.21:                               ;   in Loop: Header=BB14_3 Depth=1
	v_mov_b32_e32 v27, v13
	v_mov_b32_e32 v18, v12
	;; [unrolled: 1-line block ×4, first 2 shown]
; %bb.22:                               ;   in Loop: Header=BB14_3 Depth=1
	s_or_b64 exec, exec, s[42:43]
	v_mov_b32_e32 v12, v19
	v_mov_b32_e32 v13, v21
.LBB14_23:                              ;   in Loop: Header=BB14_3 Depth=1
	s_or_b64 exec, exec, s[6:7]
	v_min_i32_e32 v19, 4, v7
	v_cmp_lt_i32_e32 vcc, 2, v19
	s_mov_b64 s[42:43], 0
	s_mov_b64 s[54:55], 0
                                        ; implicit-def: $sgpr6_sgpr7
                                        ; implicit-def: $sgpr44_sgpr45
                                        ; implicit-def: $sgpr46_sgpr47
	s_and_saveexec_b64 s[48:49], vcc
	s_xor_b64 s[48:49], exec, s[48:49]
	s_cbranch_execz .LBB14_33
; %bb.24:                               ;   in Loop: Header=BB14_3 Depth=1
	v_cmp_lt_i32_e32 vcc, 3, v19
	s_mov_b64 s[46:47], -1
                                        ; implicit-def: $sgpr6_sgpr7
                                        ; implicit-def: $sgpr50_sgpr51
	s_and_saveexec_b64 s[44:45], vcc
	s_cbranch_execz .LBB14_28
; %bb.25:                               ;   in Loop: Header=BB14_3 Depth=1
	s_waitcnt vmcnt(0)
	v_cmp_le_f32_e32 vcc, 0, v4
	v_cmp_ge_f32_e64 s[6:7], 1.0, v4
	s_and_b64 s[52:53], vcc, s[6:7]
	s_mov_b64 s[6:7], 0
	s_mov_b64 s[46:47], 0
	s_and_saveexec_b64 s[50:51], s[52:53]
	s_cbranch_execz .LBB14_27
; %bb.26:                               ;   in Loop: Header=BB14_3 Depth=1
	v_cvt_f32_u32_e32 v20, v27
	v_mov_b32_e32 v21, 0x2f800000
	v_mov_b32_e32 v22, s13
	v_add_co_u32_e32 v16, vcc, s12, v16
	v_fmac_f32_e32 v21, 0x2f800000, v20
	v_addc_co_u32_e32 v17, vcc, v22, v17, vcc
	v_cmp_le_f32_e32 vcc, v21, v4
	s_mov_b64 s[46:47], exec
	v_cndmask_b32_e64 v4, 0, 1, vcc
	global_store_byte v[16:17], v4, off
.LBB14_27:                              ;   in Loop: Header=BB14_3 Depth=1
	s_or_b64 exec, exec, s[50:51]
	s_mov_b64 s[50:51], -1
	s_orn2_b64 s[46:47], s[46:47], exec
.LBB14_28:                              ;   in Loop: Header=BB14_3 Depth=1
	s_or_b64 exec, exec, s[44:45]
	s_mov_b64 s[52:53], 0
	s_mov_b64 s[54:55], s[6:7]
	s_and_saveexec_b64 s[44:45], s[46:47]
	s_cbranch_execz .LBB14_32
; %bb.29:                               ;   in Loop: Header=BB14_3 Depth=1
	s_waitcnt vmcnt(0)
	v_add_u32_e32 v4, s58, v34
	v_cndmask_b32_e64 v4, 0, v4, s[4:5]
	v_lshlrev_b64 v[16:17], 2, v[4:5]
	v_mov_b32_e32 v4, s17
	v_add_co_u32_e32 v16, vcc, s16, v16
	v_addc_co_u32_e32 v17, vcc, v4, v17, vcc
	global_load_dword v4, v[16:17], off
	s_waitcnt vmcnt(0)
	v_cmp_le_f32_e32 vcc, 0, v4
	v_cmp_ge_f32_e64 s[4:5], 1.0, v4
	s_and_b64 s[46:47], vcc, s[4:5]
	s_mov_b64 s[4:5], 0
	s_and_saveexec_b64 s[52:53], s[46:47]
	s_xor_b64 s[46:47], exec, s[52:53]
	s_cbranch_execz .LBB14_31
; %bb.30:                               ;   in Loop: Header=BB14_3 Depth=1
	v_cvt_f32_u32_e32 v16, v18
	v_mov_b32_e32 v17, 0x2f800000
	v_mov_b32_e32 v18, s13
	v_add_co_u32_e32 v14, vcc, s12, v14
	v_fmac_f32_e32 v17, 0x2f800000, v16
	v_addc_co_u32_e32 v15, vcc, v18, v15, vcc
	v_cmp_le_f32_e32 vcc, v17, v4
	v_cndmask_b32_e64 v4, 0, 1, vcc
	s_mov_b64 s[4:5], exec
	global_store_byte v[14:15], v4, off
.LBB14_31:                              ;   in Loop: Header=BB14_3 Depth=1
	s_or_b64 exec, exec, s[46:47]
	s_andn2_b64 s[54:55], s[6:7], exec
	s_or_b64 s[6:7], s[6:7], exec
	s_andn2_b64 s[50:51], s[50:51], exec
	s_and_b64 s[52:53], s[4:5], exec
.LBB14_32:                              ;   in Loop: Header=BB14_3 Depth=1
	s_or_b64 exec, exec, s[44:45]
	s_and_b64 s[46:47], s[54:55], exec
	s_and_b64 s[44:45], s[6:7], exec
	;; [unrolled: 1-line block ×4, first 2 shown]
.LBB14_33:                              ;   in Loop: Header=BB14_3 Depth=1
	s_andn2_saveexec_b64 s[4:5], s[48:49]
; %bb.34:                               ;   in Loop: Header=BB14_3 Depth=1
	v_cmp_lt_i32_e32 vcc, 1, v19
	s_andn2_b64 s[48:49], s[54:55], exec
	s_and_b64 s[50:51], vcc, exec
	s_mov_b64 s[42:43], exec
	s_andn2_b64 s[46:47], s[46:47], exec
	s_andn2_b64 s[44:45], s[44:45], exec
	;; [unrolled: 1-line block ×3, first 2 shown]
	s_or_b64 s[54:55], s[48:49], s[50:51]
; %bb.35:                               ;   in Loop: Header=BB14_3 Depth=1
	s_or_b64 exec, exec, s[4:5]
	s_mov_b64 s[4:5], 0
	s_mov_b64 s[50:51], 0
	;; [unrolled: 1-line block ×3, first 2 shown]
	s_and_saveexec_b64 s[52:53], s[54:55]
	s_cbranch_execnz .LBB14_38
; %bb.36:                               ;   in Loop: Header=BB14_3 Depth=1
	s_or_b64 exec, exec, s[52:53]
	s_and_saveexec_b64 s[2:3], s[42:43]
	s_cbranch_execnz .LBB14_41
.LBB14_37:                              ;   in Loop: Header=BB14_3 Depth=1
	s_or_b64 exec, exec, s[2:3]
	s_and_saveexec_b64 s[2:3], s[50:51]
	s_cbranch_execnz .LBB14_42
	s_branch .LBB14_45
.LBB14_38:                              ;   in Loop: Header=BB14_3 Depth=1
	s_waitcnt vmcnt(0)
	v_add_u32_e32 v4, s58, v33
	v_cndmask_b32_e64 v4, 0, v4, s[2:3]
	v_lshlrev_b64 v[14:15], 2, v[4:5]
	v_mov_b32_e32 v4, s17
	v_add_co_u32_e32 v14, vcc, s16, v14
	v_addc_co_u32_e32 v15, vcc, v4, v15, vcc
	global_load_dword v4, v[14:15], off
	s_waitcnt vmcnt(0)
	v_cmp_le_f32_e32 vcc, 0, v4
	v_cmp_ge_f32_e64 s[2:3], 1.0, v4
	s_and_b64 s[48:49], vcc, s[2:3]
	s_mov_b64 s[2:3], 0
	s_and_saveexec_b64 s[50:51], s[48:49]
	s_xor_b64 s[48:49], exec, s[50:51]
	s_cbranch_execz .LBB14_40
; %bb.39:                               ;   in Loop: Header=BB14_3 Depth=1
	v_cvt_f32_u32_e32 v13, v13
	v_mov_b32_e32 v14, 0x2f800000
	v_mov_b32_e32 v15, s13
	v_add_co_u32_e32 v10, vcc, s12, v10
	v_fmac_f32_e32 v14, 0x2f800000, v13
	v_addc_co_u32_e32 v11, vcc, v15, v11, vcc
	v_cmp_le_f32_e32 vcc, v14, v4
	v_cndmask_b32_e64 v4, 0, 1, vcc
	s_mov_b64 s[2:3], exec
	global_store_byte v[10:11], v4, off
.LBB14_40:                              ;   in Loop: Header=BB14_3 Depth=1
	s_or_b64 exec, exec, s[48:49]
	s_andn2_b64 s[48:49], s[46:47], exec
	s_or_b64 s[46:47], s[46:47], exec
	s_andn2_b64 s[44:45], s[44:45], exec
	s_andn2_b64 s[6:7], s[6:7], exec
	s_and_b64 s[50:51], s[2:3], exec
	s_andn2_b64 s[42:43], s[42:43], exec
	s_or_b64 exec, exec, s[52:53]
	s_and_saveexec_b64 s[2:3], s[42:43]
	s_cbranch_execz .LBB14_37
.LBB14_41:                              ;   in Loop: Header=BB14_3 Depth=1
	v_cmp_eq_u32_e32 vcc, 1, v19
	s_andn2_b64 s[42:43], s[50:51], exec
	s_and_b64 s[50:51], vcc, exec
	s_mov_b64 s[4:5], exec
	s_andn2_b64 s[48:49], s[48:49], exec
	s_andn2_b64 s[46:47], s[46:47], exec
	;; [unrolled: 1-line block ×4, first 2 shown]
	s_or_b64 s[50:51], s[42:43], s[50:51]
	s_or_b64 exec, exec, s[2:3]
	s_and_saveexec_b64 s[2:3], s[50:51]
	s_cbranch_execz .LBB14_45
.LBB14_42:                              ;   in Loop: Header=BB14_3 Depth=1
	s_waitcnt vmcnt(0)
	v_add_u32_e32 v4, s58, v32
	v_cndmask_b32_e64 v4, 0, v4, s[0:1]
	v_lshlrev_b64 v[10:11], 2, v[4:5]
	v_mov_b32_e32 v4, s17
	v_add_co_u32_e32 v10, vcc, s16, v10
	v_addc_co_u32_e32 v11, vcc, v4, v11, vcc
	global_load_dword v4, v[10:11], off
	s_waitcnt vmcnt(0)
	v_cmp_le_f32_e32 vcc, 0, v4
	v_cmp_ge_f32_e64 s[0:1], 1.0, v4
	s_and_b64 s[50:51], vcc, s[0:1]
	s_mov_b64 s[0:1], 0
	s_and_saveexec_b64 s[42:43], s[50:51]
	s_cbranch_execz .LBB14_44
; %bb.43:                               ;   in Loop: Header=BB14_3 Depth=1
	v_cvt_f32_u32_e32 v10, v12
	v_mov_b32_e32 v11, 0x2f800000
	v_mov_b32_e32 v12, s13
	v_add_co_u32_e32 v8, vcc, s12, v8
	v_fmac_f32_e32 v11, 0x2f800000, v10
	v_addc_co_u32_e32 v9, vcc, v12, v9, vcc
	v_cmp_le_f32_e32 vcc, v11, v4
	s_mov_b64 s[0:1], exec
	v_cndmask_b32_e64 v4, 0, 1, vcc
	global_store_byte v[8:9], v4, off
.LBB14_44:                              ;   in Loop: Header=BB14_3 Depth=1
	s_or_b64 exec, exec, s[42:43]
	s_andn2_b64 s[4:5], s[4:5], exec
	s_and_b64 s[0:1], s[0:1], exec
	s_or_b64 s[48:49], s[48:49], exec
	s_andn2_b64 s[46:47], s[46:47], exec
	s_andn2_b64 s[44:45], s[44:45], exec
	;; [unrolled: 1-line block ×3, first 2 shown]
	s_or_b64 s[4:5], s[4:5], s[0:1]
.LBB14_45:                              ;   in Loop: Header=BB14_3 Depth=1
	s_or_b64 exec, exec, s[2:3]
	s_andn2_b64 s[2:3], s[40:41], exec
	s_and_b64 s[40:41], s[48:49], exec
	s_or_b64 s[40:41], s[2:3], s[40:41]
	s_andn2_b64 s[2:3], s[38:39], exec
	s_and_b64 s[38:39], s[46:47], exec
	s_or_b64 s[38:39], s[2:3], s[38:39]
	;; [unrolled: 3-line block ×3, first 2 shown]
	s_andn2_b64 s[2:3], s[34:35], exec
	s_and_b64 s[6:7], s[6:7], exec
	s_mov_b64 s[0:1], -1
	s_or_b64 s[34:35], s[2:3], s[6:7]
	s_and_saveexec_b64 s[2:3], s[4:5]
	s_cbranch_execz .LBB14_2
; %bb.46:                               ;   in Loop: Header=BB14_3 Depth=1
	v_add_u32_e32 v0, s59, v0
	v_cmp_le_u32_e32 vcc, s33, v0
	v_subrev_u32_e32 v7, s59, v7
	s_add_i32 s58, s58, s61
	s_andn2_b64 s[40:41], s[40:41], exec
	s_andn2_b64 s[38:39], s[38:39], exec
	;; [unrolled: 1-line block ×4, first 2 shown]
	s_orn2_b64 s[0:1], vcc, exec
	s_branch .LBB14_2
.LBB14_47:
	s_or_b64 exec, exec, s[24:25]
	s_xor_b64 s[6:7], s[30:31], -1
	s_xor_b64 s[8:9], s[28:29], -1
	;; [unrolled: 1-line block ×3, first 2 shown]
	s_mov_b64 s[2:3], 0
	s_and_saveexec_b64 s[4:5], s[0:1]
	s_xor_b64 s[0:1], exec, s[4:5]
	s_cbranch_execnz .LBB14_52
; %bb.48:
	s_andn2_saveexec_b64 s[0:1], s[0:1]
	s_cbranch_execnz .LBB14_60
.LBB14_49:
	s_or_b64 exec, exec, s[0:1]
	s_and_b64 exec, exec, s[2:3]
.LBB14_50:
	; divergent unreachable
.LBB14_51:
	s_endpgm
.LBB14_52:
	s_mov_b64 s[4:5], 0
	s_and_saveexec_b64 s[2:3], s[8:9]
	s_xor_b64 s[2:3], exec, s[2:3]
	s_cbranch_execz .LBB14_58
; %bb.53:
	s_and_saveexec_b64 s[8:9], s[6:7]
	s_xor_b64 s[6:7], exec, s[8:9]
	s_cbranch_execz .LBB14_56
; %bb.54:
	s_and_saveexec_b64 s[8:9], s[20:21]
	s_xor_b64 s[8:9], exec, s[8:9]
	s_cbranch_execnz .LBB14_63
.LBB14_55:
	s_or_b64 exec, exec, s[8:9]
	s_and_b64 s[4:5], s[4:5], exec
.LBB14_56:
	s_andn2_saveexec_b64 s[6:7], s[6:7]
	s_cbranch_execnz .LBB14_62
.LBB14_57:
	s_or_b64 exec, exec, s[6:7]
	s_and_b64 s[4:5], s[4:5], exec
.LBB14_58:
	s_andn2_saveexec_b64 s[2:3], s[2:3]
	s_cbranch_execnz .LBB14_61
.LBB14_59:
	s_or_b64 exec, exec, s[2:3]
	s_and_b64 s[2:3], s[4:5], exec
	s_andn2_saveexec_b64 s[0:1], s[0:1]
	s_cbranch_execz .LBB14_49
.LBB14_60:
	s_or_b64 s[2:3], s[2:3], exec
	s_trap 2
	s_or_b64 exec, exec, s[0:1]
	s_and_b64 exec, exec, s[2:3]
	s_cbranch_execnz .LBB14_50
	s_branch .LBB14_51
.LBB14_61:
	s_or_b64 s[4:5], s[4:5], exec
	s_trap 2
	s_branch .LBB14_59
.LBB14_62:
	s_trap 2
	s_or_b64 s[4:5], s[4:5], exec
	s_branch .LBB14_57
.LBB14_63:
	s_mov_b64 s[4:5], exec
	s_trap 2
	s_branch .LBB14_55
	.section	.rodata,"a",@progbits
	.p2align	6, 0x0
	.amdhsa_kernel _ZN2at4cuda12_GLOBAL__N_121kernelPointwiseApply2IZNS_6native9templates4cuda28bernoulli_tensor_cuda_kernelIhfEEvRKNS_10TensorBaseES9_NS_15PhiloxCudaStateEEUliRhSB_SB_SB_RKfSD_SD_SD_E_hSC_jLi2ELi1ELi4ELi512ELi2EEEvNS0_6detail10TensorInfoIT0_T2_EENSG_IT1_SI_EESI_T_
		.amdhsa_group_segment_fixed_size 0
		.amdhsa_private_segment_fixed_size 0
		.amdhsa_kernarg_size 728
		.amdhsa_user_sgpr_count 6
		.amdhsa_user_sgpr_private_segment_buffer 1
		.amdhsa_user_sgpr_dispatch_ptr 0
		.amdhsa_user_sgpr_queue_ptr 0
		.amdhsa_user_sgpr_kernarg_segment_ptr 1
		.amdhsa_user_sgpr_dispatch_id 0
		.amdhsa_user_sgpr_flat_scratch_init 0
		.amdhsa_user_sgpr_kernarg_preload_length 0
		.amdhsa_user_sgpr_kernarg_preload_offset 0
		.amdhsa_user_sgpr_private_segment_size 0
		.amdhsa_uses_dynamic_stack 0
		.amdhsa_system_sgpr_private_segment_wavefront_offset 0
		.amdhsa_system_sgpr_workgroup_id_x 1
		.amdhsa_system_sgpr_workgroup_id_y 0
		.amdhsa_system_sgpr_workgroup_id_z 0
		.amdhsa_system_sgpr_workgroup_info 0
		.amdhsa_system_vgpr_workitem_id 0
		.amdhsa_next_free_vgpr 54
		.amdhsa_next_free_sgpr 64
		.amdhsa_accum_offset 56
		.amdhsa_reserve_vcc 1
		.amdhsa_reserve_flat_scratch 0
		.amdhsa_float_round_mode_32 0
		.amdhsa_float_round_mode_16_64 0
		.amdhsa_float_denorm_mode_32 3
		.amdhsa_float_denorm_mode_16_64 3
		.amdhsa_dx10_clamp 1
		.amdhsa_ieee_mode 1
		.amdhsa_fp16_overflow 0
		.amdhsa_tg_split 0
		.amdhsa_exception_fp_ieee_invalid_op 0
		.amdhsa_exception_fp_denorm_src 0
		.amdhsa_exception_fp_ieee_div_zero 0
		.amdhsa_exception_fp_ieee_overflow 0
		.amdhsa_exception_fp_ieee_underflow 0
		.amdhsa_exception_fp_ieee_inexact 0
		.amdhsa_exception_int_div_zero 0
	.end_amdhsa_kernel
	.section	.text._ZN2at4cuda12_GLOBAL__N_121kernelPointwiseApply2IZNS_6native9templates4cuda28bernoulli_tensor_cuda_kernelIhfEEvRKNS_10TensorBaseES9_NS_15PhiloxCudaStateEEUliRhSB_SB_SB_RKfSD_SD_SD_E_hSC_jLi2ELi1ELi4ELi512ELi2EEEvNS0_6detail10TensorInfoIT0_T2_EENSG_IT1_SI_EESI_T_,"axG",@progbits,_ZN2at4cuda12_GLOBAL__N_121kernelPointwiseApply2IZNS_6native9templates4cuda28bernoulli_tensor_cuda_kernelIhfEEvRKNS_10TensorBaseES9_NS_15PhiloxCudaStateEEUliRhSB_SB_SB_RKfSD_SD_SD_E_hSC_jLi2ELi1ELi4ELi512ELi2EEEvNS0_6detail10TensorInfoIT0_T2_EENSG_IT1_SI_EESI_T_,comdat
.Lfunc_end14:
	.size	_ZN2at4cuda12_GLOBAL__N_121kernelPointwiseApply2IZNS_6native9templates4cuda28bernoulli_tensor_cuda_kernelIhfEEvRKNS_10TensorBaseES9_NS_15PhiloxCudaStateEEUliRhSB_SB_SB_RKfSD_SD_SD_E_hSC_jLi2ELi1ELi4ELi512ELi2EEEvNS0_6detail10TensorInfoIT0_T2_EENSG_IT1_SI_EESI_T_, .Lfunc_end14-_ZN2at4cuda12_GLOBAL__N_121kernelPointwiseApply2IZNS_6native9templates4cuda28bernoulli_tensor_cuda_kernelIhfEEvRKNS_10TensorBaseES9_NS_15PhiloxCudaStateEEUliRhSB_SB_SB_RKfSD_SD_SD_E_hSC_jLi2ELi1ELi4ELi512ELi2EEEvNS0_6detail10TensorInfoIT0_T2_EENSG_IT1_SI_EESI_T_
                                        ; -- End function
	.section	.AMDGPU.csdata,"",@progbits
; Kernel info:
; codeLenInByte = 3024
; NumSgprs: 68
; NumVgprs: 54
; NumAgprs: 0
; TotalNumVgprs: 54
; ScratchSize: 0
; MemoryBound: 0
; FloatMode: 240
; IeeeMode: 1
; LDSByteSize: 0 bytes/workgroup (compile time only)
; SGPRBlocks: 8
; VGPRBlocks: 6
; NumSGPRsForWavesPerEU: 68
; NumVGPRsForWavesPerEU: 54
; AccumOffset: 56
; Occupancy: 8
; WaveLimiterHint : 1
; COMPUTE_PGM_RSRC2:SCRATCH_EN: 0
; COMPUTE_PGM_RSRC2:USER_SGPR: 6
; COMPUTE_PGM_RSRC2:TRAP_HANDLER: 0
; COMPUTE_PGM_RSRC2:TGID_X_EN: 1
; COMPUTE_PGM_RSRC2:TGID_Y_EN: 0
; COMPUTE_PGM_RSRC2:TGID_Z_EN: 0
; COMPUTE_PGM_RSRC2:TIDIG_COMP_CNT: 0
; COMPUTE_PGM_RSRC3_GFX90A:ACCUM_OFFSET: 13
; COMPUTE_PGM_RSRC3_GFX90A:TG_SPLIT: 0
	.section	.text._ZN2at4cuda12_GLOBAL__N_121kernelPointwiseApply2IZNS_6native9templates4cuda28bernoulli_tensor_cuda_kernelIhfEEvRKNS_10TensorBaseES9_NS_15PhiloxCudaStateEEUliRhSB_SB_SB_RKfSD_SD_SD_E_hSC_jLi2ELi2ELi4ELi512ELi2EEEvNS0_6detail10TensorInfoIT0_T2_EENSG_IT1_SI_EESI_T_,"axG",@progbits,_ZN2at4cuda12_GLOBAL__N_121kernelPointwiseApply2IZNS_6native9templates4cuda28bernoulli_tensor_cuda_kernelIhfEEvRKNS_10TensorBaseES9_NS_15PhiloxCudaStateEEUliRhSB_SB_SB_RKfSD_SD_SD_E_hSC_jLi2ELi2ELi4ELi512ELi2EEEvNS0_6detail10TensorInfoIT0_T2_EENSG_IT1_SI_EESI_T_,comdat
	.globl	_ZN2at4cuda12_GLOBAL__N_121kernelPointwiseApply2IZNS_6native9templates4cuda28bernoulli_tensor_cuda_kernelIhfEEvRKNS_10TensorBaseES9_NS_15PhiloxCudaStateEEUliRhSB_SB_SB_RKfSD_SD_SD_E_hSC_jLi2ELi2ELi4ELi512ELi2EEEvNS0_6detail10TensorInfoIT0_T2_EENSG_IT1_SI_EESI_T_ ; -- Begin function _ZN2at4cuda12_GLOBAL__N_121kernelPointwiseApply2IZNS_6native9templates4cuda28bernoulli_tensor_cuda_kernelIhfEEvRKNS_10TensorBaseES9_NS_15PhiloxCudaStateEEUliRhSB_SB_SB_RKfSD_SD_SD_E_hSC_jLi2ELi2ELi4ELi512ELi2EEEvNS0_6detail10TensorInfoIT0_T2_EENSG_IT1_SI_EESI_T_
	.p2align	8
	.type	_ZN2at4cuda12_GLOBAL__N_121kernelPointwiseApply2IZNS_6native9templates4cuda28bernoulli_tensor_cuda_kernelIhfEEvRKNS_10TensorBaseES9_NS_15PhiloxCudaStateEEUliRhSB_SB_SB_RKfSD_SD_SD_E_hSC_jLi2ELi2ELi4ELi512ELi2EEEvNS0_6detail10TensorInfoIT0_T2_EENSG_IT1_SI_EESI_T_,@function
_ZN2at4cuda12_GLOBAL__N_121kernelPointwiseApply2IZNS_6native9templates4cuda28bernoulli_tensor_cuda_kernelIhfEEvRKNS_10TensorBaseES9_NS_15PhiloxCudaStateEEUliRhSB_SB_SB_RKfSD_SD_SD_E_hSC_jLi2ELi2ELi4ELi512ELi2EEEvNS0_6detail10TensorInfoIT0_T2_EENSG_IT1_SI_EESI_T_: ; @_ZN2at4cuda12_GLOBAL__N_121kernelPointwiseApply2IZNS_6native9templates4cuda28bernoulli_tensor_cuda_kernelIhfEEvRKNS_10TensorBaseES9_NS_15PhiloxCudaStateEEUliRhSB_SB_SB_RKfSD_SD_SD_E_hSC_jLi2ELi2ELi4ELi512ELi2EEEvNS0_6detail10TensorInfoIT0_T2_EENSG_IT1_SI_EESI_T_
; %bb.0:
	s_load_dword s2, s[4:5], 0x1e4
	s_load_dword s33, s[4:5], 0x1b0
	s_add_u32 s0, s4, 0x1d8
	s_addc_u32 s1, s5, 0
	s_waitcnt lgkmcnt(0)
	s_and_b32 s18, s2, 0xffff
	s_mul_i32 s6, s6, s18
	v_add_u32_e32 v1, s6, v0
	v_lshlrev_b32_e32 v0, 2, v1
	v_cmp_gt_u32_e32 vcc, s33, v0
	s_and_saveexec_b64 s[2:3], vcc
	s_cbranch_execz .LBB15_59
; %bb.1:
	s_load_dwordx2 s[2:3], s[4:5], 0x0
	s_load_dword s54, s[4:5], 0xc
	s_load_dwordx2 s[6:7], s[4:5], 0x6c
	s_load_dwordx2 s[12:13], s[4:5], 0xd8
	s_load_dword s19, s[0:1], 0x0
	s_load_dword s20, s[4:5], 0x1d0
	s_load_dword s55, s[4:5], 0xe4
	s_load_dwordx2 s[14:15], s[4:5], 0x144
	s_load_dwordx2 s[16:17], s[4:5], 0x1c8
	s_load_dwordx4 s[8:11], s[4:5], 0x1b8
	s_waitcnt lgkmcnt(0)
	v_cvt_f32_u32_e32 v4, s54
	v_cvt_f32_u32_e32 v7, s55
	s_mov_b32 s56, 0xcd9e8d57
	v_mad_u64_u32 v[2:3], s[0:1], v1, s56, 0
	v_rcp_iflag_f32_e32 v4, v4
	v_mov_b32_e32 v6, v3
	s_bitcmp1_b32 s20, 0
	s_cselect_b64 s[4:5], -1, 0
	v_mul_f32_e32 v3, 0x4f7ffffe, v4
	v_rcp_iflag_f32_e32 v4, v7
	v_cvt_u32_f32_e32 v3, v3
	s_sub_i32 s58, 0, s54
	s_sub_i32 s59, 0, s55
	v_mul_f32_e32 v4, 0x4f7ffffe, v4
	v_cvt_u32_f32_e32 v4, v4
	v_mul_lo_u32 v7, s58, v3
	v_mul_hi_u32 v7, v3, v7
	v_add_u32_e32 v3, v3, v7
	v_mul_lo_u32 v7, s59, v4
	s_mul_i32 s19, s19, s18
	v_mul_hi_u32 v7, v4, v7
	v_mov_b32_e32 v5, 0
	s_lshl_b32 s57, s19, 2
	v_add_u32_e32 v7, v4, v7
	v_sub_u32_e32 v36, s33, v0
	s_mov_b64 s[20:21], 0
	s_mov_b32 s60, 0xd2511f53
	s_mov_b32 s61, 0xf1bbcdc8
                                        ; implicit-def: $sgpr22_sgpr23
                                        ; implicit-def: $sgpr24_sgpr25
                                        ; implicit-def: $sgpr26_sgpr27
                                        ; implicit-def: $sgpr18_sgpr19
                                        ; implicit-def: $sgpr28_sgpr29
                                        ; implicit-def: $sgpr30_sgpr31
                                        ; implicit-def: $sgpr34_sgpr35
                                        ; implicit-def: $sgpr36_sgpr37
	s_branch .LBB15_3
.LBB15_2:                               ;   in Loop: Header=BB15_3 Depth=1
	s_or_b64 exec, exec, s[38:39]
	s_and_b64 s[0:1], exec, s[0:1]
	s_or_b64 s[20:21], s[0:1], s[20:21]
	s_andn2_b64 s[0:1], s[18:19], exec
	s_and_b64 s[18:19], s[36:37], exec
	s_or_b64 s[18:19], s[0:1], s[18:19]
	s_andn2_b64 s[0:1], s[26:27], exec
	s_and_b64 s[26:27], s[34:35], exec
	;; [unrolled: 3-line block ×4, first 2 shown]
	s_or_b64 s[22:23], s[0:1], s[22:23]
	s_andn2_b64 exec, exec, s[20:21]
	s_cbranch_execz .LBB15_55
.LBB15_3:                               ; =>This Inner Loop Header: Depth=1
	v_cmp_lt_i32_e32 vcc, 0, v36
	v_mov_b32_e32 v8, 0
	s_and_saveexec_b64 s[38:39], vcc
	s_cbranch_execz .LBB15_5
; %bb.4:                                ;   in Loop: Header=BB15_3 Depth=1
	v_mul_hi_u32 v4, v3, v0
	v_not_b32_e32 v10, v4
	s_waitcnt vmcnt(0)
	v_mad_u64_u32 v[8:9], s[0:1], s58, v4, v[0:1]
	v_add_u32_e32 v9, 1, v4
	v_cmp_le_u32_e64 s[0:1], s54, v8
	v_mad_u64_u32 v[10:11], s[40:41], s54, v10, v[0:1]
	v_cndmask_b32_e64 v4, v4, v9, s[0:1]
	v_cndmask_b32_e64 v8, v8, v10, s[0:1]
	v_add_u32_e32 v9, 1, v4
	v_cmp_le_u32_e64 s[0:1], s54, v8
	v_cndmask_b32_e64 v10, v4, v9, s[0:1]
	v_mad_u64_u32 v[8:9], s[0:1], s58, v10, v[0:1]
	v_mul_lo_u32 v4, v8, s7
	v_mad_u64_u32 v[8:9], s[0:1], v10, s6, v[4:5]
.LBB15_5:                               ;   in Loop: Header=BB15_3 Depth=1
	s_or_b64 exec, exec, s[38:39]
	v_mov_b32_e32 v4, 0
	s_and_saveexec_b64 s[0:1], vcc
	s_cbranch_execz .LBB15_7
; %bb.6:                                ;   in Loop: Header=BB15_3 Depth=1
	v_mul_hi_u32 v4, v7, v0
	s_waitcnt vmcnt(0)
	v_not_b32_e32 v9, v4
	v_mad_u64_u32 v[10:11], s[38:39], s59, v4, v[0:1]
	v_add_u32_e32 v11, 1, v4
	v_cmp_le_u32_e32 vcc, s55, v10
	v_mad_u64_u32 v[12:13], s[38:39], s55, v9, v[0:1]
	v_cndmask_b32_e32 v4, v4, v11, vcc
	v_cndmask_b32_e32 v9, v10, v12, vcc
	v_add_u32_e32 v10, 1, v4
	v_cmp_le_u32_e32 vcc, s55, v9
	v_cndmask_b32_e32 v9, v4, v10, vcc
	v_mad_u64_u32 v[10:11], s[38:39], s59, v9, v[0:1]
	v_mul_lo_u32 v4, v10, s15
	v_mad_u64_u32 v[10:11], s[38:39], v9, s14, v[4:5]
	v_mov_b32_e32 v4, v10
.LBB15_7:                               ;   in Loop: Header=BB15_3 Depth=1
	s_or_b64 exec, exec, s[0:1]
	v_pk_mov_b32 v[12:13], 0, 0
	s_waitcnt vmcnt(0)
	v_add_u32_e32 v9, 1, v0
	v_cmp_lt_i32_e32 vcc, 1, v36
	v_pk_mov_b32 v[10:11], v[12:13], v[12:13] op_sel:[0,1]
	s_and_saveexec_b64 s[38:39], vcc
	s_cbranch_execz .LBB15_9
; %bb.8:                                ;   in Loop: Header=BB15_3 Depth=1
	v_mul_hi_u32 v10, v9, v3
	v_mul_lo_u32 v11, v10, s54
	v_sub_u32_e32 v11, v9, v11
	v_add_u32_e32 v14, 1, v10
	v_cmp_le_u32_e64 s[0:1], s54, v11
	v_cndmask_b32_e64 v10, v10, v14, s[0:1]
	v_subrev_u32_e32 v14, s54, v11
	v_cndmask_b32_e64 v11, v11, v14, s[0:1]
	v_add_u32_e32 v14, 1, v10
	v_cmp_le_u32_e64 s[0:1], s54, v11
	v_cndmask_b32_e64 v11, v10, v14, s[0:1]
	v_mul_lo_u32 v10, v11, s54
	v_sub_u32_e32 v10, v9, v10
	v_mul_lo_u32 v10, v10, s7
	v_mad_u64_u32 v[10:11], s[0:1], v11, s6, v[10:11]
	v_mov_b32_e32 v11, v5
.LBB15_9:                               ;   in Loop: Header=BB15_3 Depth=1
	s_or_b64 exec, exec, s[38:39]
	s_and_saveexec_b64 s[0:1], vcc
	s_cbranch_execz .LBB15_11
; %bb.10:                               ;   in Loop: Header=BB15_3 Depth=1
	v_mul_hi_u32 v12, v9, v7
	v_mul_lo_u32 v13, v12, s55
	v_sub_u32_e32 v13, v9, v13
	v_add_u32_e32 v14, 1, v12
	v_cmp_le_u32_e32 vcc, s55, v13
	v_cndmask_b32_e32 v12, v12, v14, vcc
	v_subrev_u32_e32 v14, s55, v13
	v_cndmask_b32_e32 v13, v13, v14, vcc
	v_add_u32_e32 v14, 1, v12
	v_cmp_le_u32_e32 vcc, s55, v13
	v_cndmask_b32_e32 v13, v12, v14, vcc
	v_mul_lo_u32 v12, v13, s55
	v_sub_u32_e32 v9, v9, v12
	v_mul_lo_u32 v12, v9, s15
	v_mad_u64_u32 v[12:13], s[38:39], v13, s14, v[12:13]
	v_mov_b32_e32 v13, v5
.LBB15_11:                              ;   in Loop: Header=BB15_3 Depth=1
	s_or_b64 exec, exec, s[0:1]
	v_pk_mov_b32 v[18:19], 0, 0
	v_add_u32_e32 v9, 2, v0
	v_cmp_lt_i32_e32 vcc, 2, v36
	v_pk_mov_b32 v[16:17], v[18:19], v[18:19] op_sel:[0,1]
	s_and_saveexec_b64 s[38:39], vcc
	s_cbranch_execz .LBB15_13
; %bb.12:                               ;   in Loop: Header=BB15_3 Depth=1
	v_mul_hi_u32 v14, v9, v3
	v_mul_lo_u32 v15, v14, s54
	v_sub_u32_e32 v15, v9, v15
	v_add_u32_e32 v16, 1, v14
	v_cmp_le_u32_e64 s[0:1], s54, v15
	v_cndmask_b32_e64 v14, v14, v16, s[0:1]
	v_subrev_u32_e32 v16, s54, v15
	v_cndmask_b32_e64 v15, v15, v16, s[0:1]
	v_add_u32_e32 v16, 1, v14
	v_cmp_le_u32_e64 s[0:1], s54, v15
	v_cndmask_b32_e64 v15, v14, v16, s[0:1]
	v_mul_lo_u32 v14, v15, s54
	v_sub_u32_e32 v14, v9, v14
	v_mul_lo_u32 v14, v14, s7
	v_mad_u64_u32 v[16:17], s[0:1], v15, s6, v[14:15]
	v_mov_b32_e32 v17, v5
.LBB15_13:                              ;   in Loop: Header=BB15_3 Depth=1
	s_or_b64 exec, exec, s[38:39]
	s_and_saveexec_b64 s[0:1], vcc
	s_cbranch_execz .LBB15_15
; %bb.14:                               ;   in Loop: Header=BB15_3 Depth=1
	v_mul_hi_u32 v14, v9, v7
	v_mul_lo_u32 v15, v14, s55
	v_sub_u32_e32 v15, v9, v15
	v_add_u32_e32 v18, 1, v14
	v_cmp_le_u32_e32 vcc, s55, v15
	v_cndmask_b32_e32 v14, v14, v18, vcc
	v_subrev_u32_e32 v18, s55, v15
	v_cndmask_b32_e32 v15, v15, v18, vcc
	v_add_u32_e32 v18, 1, v14
	v_cmp_le_u32_e32 vcc, s55, v15
	v_cndmask_b32_e32 v15, v14, v18, vcc
	v_mul_lo_u32 v14, v15, s55
	v_sub_u32_e32 v9, v9, v14
	v_mul_lo_u32 v14, v9, s15
	v_mad_u64_u32 v[18:19], s[38:39], v15, s14, v[14:15]
	v_mov_b32_e32 v19, v5
.LBB15_15:                              ;   in Loop: Header=BB15_3 Depth=1
	s_or_b64 exec, exec, s[0:1]
	v_pk_mov_b32 v[14:15], 0, 0
	v_add_u32_e32 v9, 3, v0
	v_cmp_lt_i32_e32 vcc, 3, v36
	v_pk_mov_b32 v[20:21], v[14:15], v[14:15] op_sel:[0,1]
	s_and_saveexec_b64 s[38:39], vcc
	s_cbranch_execz .LBB15_17
; %bb.16:                               ;   in Loop: Header=BB15_3 Depth=1
	v_mul_hi_u32 v20, v9, v3
	v_mul_lo_u32 v21, v20, s54
	v_sub_u32_e32 v21, v9, v21
	v_add_u32_e32 v22, 1, v20
	v_cmp_le_u32_e64 s[0:1], s54, v21
	v_cndmask_b32_e64 v20, v20, v22, s[0:1]
	v_subrev_u32_e32 v22, s54, v21
	v_cndmask_b32_e64 v21, v21, v22, s[0:1]
	v_add_u32_e32 v22, 1, v20
	v_cmp_le_u32_e64 s[0:1], s54, v21
	v_cndmask_b32_e64 v21, v20, v22, s[0:1]
	v_mul_lo_u32 v20, v21, s54
	v_sub_u32_e32 v20, v9, v20
	v_mul_lo_u32 v20, v20, s7
	v_mad_u64_u32 v[20:21], s[0:1], v21, s6, v[20:21]
	v_mov_b32_e32 v21, v5
.LBB15_17:                              ;   in Loop: Header=BB15_3 Depth=1
	s_or_b64 exec, exec, s[38:39]
	s_and_saveexec_b64 s[0:1], vcc
	s_cbranch_execz .LBB15_19
; %bb.18:                               ;   in Loop: Header=BB15_3 Depth=1
	v_mul_hi_u32 v14, v9, v7
	v_mul_lo_u32 v15, v14, s55
	v_sub_u32_e32 v15, v9, v15
	v_add_u32_e32 v22, 1, v14
	v_cmp_le_u32_e32 vcc, s55, v15
	v_cndmask_b32_e32 v14, v14, v22, vcc
	v_subrev_u32_e32 v22, s55, v15
	v_cndmask_b32_e32 v15, v15, v22, vcc
	v_add_u32_e32 v22, 1, v14
	v_cmp_le_u32_e32 vcc, s55, v15
	v_cndmask_b32_e32 v15, v14, v22, vcc
	v_mul_lo_u32 v14, v15, s55
	v_sub_u32_e32 v9, v9, v14
	v_mul_lo_u32 v14, v9, s15
	v_mad_u64_u32 v[14:15], s[38:39], v15, s14, v[14:15]
	v_mov_b32_e32 v15, v5
.LBB15_19:                              ;   in Loop: Header=BB15_3 Depth=1
	s_or_b64 exec, exec, s[0:1]
	v_lshlrev_b64 v[14:15], 2, v[14:15]
	v_mov_b32_e32 v9, s13
	v_add_co_u32_e32 v14, vcc, s12, v14
	v_addc_co_u32_e32 v15, vcc, v9, v15, vcc
	global_load_dword v9, v[14:15], off
	s_andn2_b64 vcc, exec, s[4:5]
	v_pk_mov_b32 v[14:15], s[10:11], s[10:11] op_sel:[0,1]
	v_pk_mov_b32 v[22:23], s[8:9], s[8:9] op_sel:[0,1]
	s_cbranch_vccnz .LBB15_21
; %bb.20:                               ;   in Loop: Header=BB15_3 Depth=1
	v_pk_mov_b32 v[14:15], s[10:11], s[10:11] op_sel:[0,1]
	flat_load_dwordx2 v[14:15], v[14:15]
	v_pk_mov_b32 v[22:23], s[8:9], s[8:9] op_sel:[0,1]
	flat_load_dwordx2 v[22:23], v[22:23]
	v_mov_b32_e32 v24, s17
	s_waitcnt vmcnt(0) lgkmcnt(0)
	v_add_co_u32_e32 v14, vcc, s16, v14
	v_addc_co_u32_e32 v15, vcc, v15, v24, vcc
.LBB15_21:                              ;   in Loop: Header=BB15_3 Depth=1
	v_alignbit_b32 v32, v15, v14, 2
	v_lshrrev_b32_e32 v33, 2, v15
	v_xor_b32_e32 v24, v6, v22
	v_and_b32_e32 v37, 3, v14
	v_mad_u64_u32 v[14:15], s[0:1], v32, s60, 0
	v_xor_b32_e32 v24, v24, v33
	v_xor_b32_e32 v15, v15, v23
	v_add_u32_e32 v42, 0xbb67ae85, v23
	v_mad_u64_u32 v[24:25], s[0:1], v24, s60, 0
	v_mad_u64_u32 v[26:27], s[0:1], v15, s56, 0
	v_xor_b32_e32 v25, v42, v25
	v_add_u32_e32 v41, 0x9e3779b9, v22
	v_xor_b32_e32 v15, v2, v27
	v_xor_b32_e32 v25, v25, v14
	v_xor_b32_e32 v15, v15, v41
	v_add_u32_e32 v43, 0x3c6ef372, v22
	v_mad_u64_u32 v[28:29], s[0:1], v25, s56, 0
	v_add_u32_e32 v44, 0x76cf5d0a, v23
	v_mad_u64_u32 v[14:15], s[0:1], v15, s60, 0
	v_xor_b32_e32 v25, v43, v29
	v_xor_b32_e32 v25, v25, v26
	v_xor_b32_e32 v15, v44, v15
	v_xor_b32_e32 v15, v15, v24
	v_add_u32_e32 v46, 0x32370b8f, v23
	v_mad_u64_u32 v[24:25], s[0:1], v25, s60, 0
	v_add_u32_e32 v45, 0xdaa66d2b, v22
	v_mad_u64_u32 v[26:27], s[0:1], v15, s56, 0
	v_xor_b32_e32 v25, v46, v25
	;; [unrolled: 8-line block ×5, first 2 shown]
	v_xor_b32_e32 v25, v25, v26
	v_xor_b32_e32 v15, v52, v15
	;; [unrolled: 1-line block ×3, first 2 shown]
	v_add_u32_e32 v54, 0x1fd5c5a3, v23
	v_mad_u64_u32 v[24:25], s[0:1], v25, s60, 0
	v_xor_b32_e32 v25, v54, v25
	v_xor_b32_e32 v14, v25, v14
	v_add_u32_e32 v53, 0x5384540f, v22
	v_mad_u64_u32 v[30:31], s[0:1], v15, s56, 0
	v_add_co_u32_e32 v39, vcc, s61, v22
	v_mad_u64_u32 v[26:27], s[0:1], v14, s56, 0
	v_xor_b32_e32 v15, v53, v31
	v_xor_b32_e32 v14, v39, v27
	;; [unrolled: 1-line block ×4, first 2 shown]
	v_mad_u64_u32 v[28:29], s[0:1], v15, s60, 0
	v_mad_u64_u32 v[14:15], s[0:1], v14, s60, 0
	v_add_u32_e32 v40, 0x96a522ad, v23
	v_xor_b32_e32 v15, v15, v28
	v_xor_b32_e32 v38, v40, v15
	v_add_co_u32_e32 v15, vcc, 1, v32
	v_cndmask_b32_e64 v28, 0, 1, vcc
	v_addc_co_u32_e32 v34, vcc, 0, v33, vcc
	v_cmp_eq_u32_e32 vcc, 0, v34
	v_cndmask_b32_e32 v28, 0, v28, vcc
	v_add_u32_e32 v32, v28, v1
	v_cmp_eq_u32_e32 vcc, 0, v32
	v_mad_u64_u32 v[30:31], s[0:1], v15, s60, 0
	v_mad_u64_u32 v[32:33], s[0:1], v32, s56, 0
	v_add_u32_e32 v27, 0x8ff34781, v22
	v_cndmask_b32_e32 v28, 0, v28, vcc
	v_xor_b32_e32 v15, v33, v22
	v_xor_b32_e32 v22, v31, v23
	v_xor_b32_e32 v28, v28, v22
	v_xor_b32_e32 v15, v34, v15
	v_mad_u64_u32 v[34:35], s[0:1], v28, s56, 0
	v_add_u32_e32 v25, 0xdb3d7428, v23
	v_mad_u64_u32 v[22:23], s[0:1], v15, s60, 0
	v_xor_b32_e32 v15, v41, v35
	v_xor_b32_e32 v15, v15, v32
	v_xor_b32_e32 v23, v42, v23
	v_xor_b32_e32 v23, v23, v30
	v_mad_u64_u32 v[30:31], s[0:1], v15, s60, 0
	v_mad_u64_u32 v[32:33], s[0:1], v23, s56, 0
	v_xor_b32_e32 v23, v44, v31
	v_xor_b32_e32 v15, v43, v33
	v_xor_b32_e32 v28, v23, v22
	v_xor_b32_e32 v15, v15, v34
	v_mad_u64_u32 v[34:35], s[0:1], v28, s56, 0
	v_mad_u64_u32 v[22:23], s[0:1], v15, s60, 0
	v_xor_b32_e32 v15, v45, v35
	v_xor_b32_e32 v15, v15, v32
	v_xor_b32_e32 v23, v46, v23
	v_xor_b32_e32 v23, v23, v30
	v_mad_u64_u32 v[30:31], s[0:1], v15, s60, 0
	v_mad_u64_u32 v[32:33], s[0:1], v23, s56, 0
	v_xor_b32_e32 v23, v48, v31
	v_xor_b32_e32 v15, v47, v33
	v_xor_b32_e32 v28, v23, v22
	v_xor_b32_e32 v15, v15, v34
	v_mad_u64_u32 v[34:35], s[0:1], v28, s56, 0
	v_mad_u64_u32 v[22:23], s[0:1], v15, s60, 0
	v_xor_b32_e32 v15, v49, v35
	v_xor_b32_e32 v15, v15, v32
	v_xor_b32_e32 v23, v50, v23
	v_xor_b32_e32 v23, v23, v30
	v_mad_u64_u32 v[32:33], s[0:1], v15, s60, 0
	v_mad_u64_u32 v[42:43], s[0:1], v23, s56, 0
	v_xor_b32_e32 v23, v52, v33
	v_xor_b32_e32 v15, v51, v43
	v_xor_b32_e32 v28, v23, v22
	v_xor_b32_e32 v15, v15, v34
	v_mad_u64_u32 v[30:31], s[0:1], v28, s56, 0
	v_mad_u64_u32 v[22:23], s[0:1], v15, s60, 0
	v_xor_b32_e32 v15, v53, v31
	v_xor_b32_e32 v15, v15, v42
	v_xor_b32_e32 v23, v54, v23
	v_xor_b32_e32 v23, v23, v32
	v_mad_u64_u32 v[32:33], s[0:1], v15, s60, 0
	v_xor_b32_e32 v15, v25, v33
	v_xor_b32_e32 v15, v15, v22
	v_mad_u64_u32 v[34:35], s[0:1], v23, s56, 0
	v_mad_u64_u32 v[22:23], s[0:1], v15, s56, 0
	v_xor_b32_e32 v15, v23, v34
	v_xor_b32_e32 v15, v27, v15
	v_cmp_lt_i32_e32 vcc, 1, v37
                                        ; implicit-def: $vgpr31
	s_and_saveexec_b64 s[0:1], vcc
	s_xor_b64 s[0:1], exec, s[0:1]
	s_cbranch_execz .LBB15_27
; %bb.22:                               ;   in Loop: Header=BB15_3 Depth=1
	v_cmp_lt_i32_e32 vcc, 2, v37
                                        ; implicit-def: $vgpr31
	s_and_saveexec_b64 s[38:39], vcc
	s_xor_b64 s[38:39], exec, s[38:39]
; %bb.23:                               ;   in Loop: Header=BB15_3 Depth=1
	v_xor_b32_e32 v23, v39, v35
	v_xor_b32_e32 v23, v23, v30
	v_mul_hi_u32 v23, v23, s60
	v_xor_b32_e32 v23, v23, v32
	v_xor_b32_e32 v31, v40, v23
                                        ; implicit-def: $vgpr38
; %bb.24:                               ;   in Loop: Header=BB15_3 Depth=1
	s_andn2_saveexec_b64 s[38:39], s[38:39]
; %bb.25:                               ;   in Loop: Header=BB15_3 Depth=1
	v_mov_b32_e32 v31, v22
	v_mov_b32_e32 v22, v15
	;; [unrolled: 1-line block ×4, first 2 shown]
; %bb.26:                               ;   in Loop: Header=BB15_3 Depth=1
	s_or_b64 exec, exec, s[38:39]
                                        ; implicit-def: $vgpr24_vgpr25
                                        ; implicit-def: $vgpr26_vgpr27
                                        ; implicit-def: $vgpr37
                                        ; implicit-def: $vgpr38
                                        ; implicit-def: $vgpr28_vgpr29
                                        ; implicit-def: $vgpr25
                                        ; implicit-def: $vgpr27
.LBB15_27:                              ;   in Loop: Header=BB15_3 Depth=1
	s_andn2_saveexec_b64 s[0:1], s[0:1]
	s_cbranch_execz .LBB15_31
; %bb.28:                               ;   in Loop: Header=BB15_3 Depth=1
	v_xor_b32_e32 v22, v25, v29
	v_xor_b32_e32 v22, v22, v24
	v_mad_u64_u32 v[24:25], s[38:39], v22, s56, 0
	v_xor_b32_e32 v22, v25, v26
	v_xor_b32_e32 v23, v27, v22
	v_cmp_eq_u32_e32 vcc, 1, v37
	v_mov_b32_e32 v31, v14
	v_mov_b32_e32 v22, v38
	;; [unrolled: 1-line block ×3, first 2 shown]
	s_and_saveexec_b64 s[38:39], vcc
; %bb.29:                               ;   in Loop: Header=BB15_3 Depth=1
	v_mov_b32_e32 v31, v15
	v_mov_b32_e32 v22, v14
	;; [unrolled: 1-line block ×4, first 2 shown]
; %bb.30:                               ;   in Loop: Header=BB15_3 Depth=1
	s_or_b64 exec, exec, s[38:39]
	v_mov_b32_e32 v14, v23
	v_mov_b32_e32 v15, v25
.LBB15_31:                              ;   in Loop: Header=BB15_3 Depth=1
	s_or_b64 exec, exec, s[0:1]
	v_min_i32_e32 v23, 4, v36
	v_cmp_lt_i32_e32 vcc, 2, v23
	s_mov_b64 s[38:39], 0
	s_mov_b64 s[52:53], 0
                                        ; implicit-def: $sgpr40_sgpr41
                                        ; implicit-def: $sgpr42_sgpr43
                                        ; implicit-def: $sgpr44_sgpr45
	s_and_saveexec_b64 s[0:1], vcc
	s_xor_b64 s[46:47], exec, s[0:1]
	s_cbranch_execz .LBB15_41
; %bb.32:                               ;   in Loop: Header=BB15_3 Depth=1
	v_cmp_lt_i32_e32 vcc, 3, v23
	s_mov_b64 s[44:45], -1
                                        ; implicit-def: $sgpr40_sgpr41
                                        ; implicit-def: $sgpr48_sgpr49
	s_and_saveexec_b64 s[42:43], vcc
	s_cbranch_execz .LBB15_36
; %bb.33:                               ;   in Loop: Header=BB15_3 Depth=1
	s_waitcnt vmcnt(0)
	v_cmp_le_f32_e32 vcc, 0, v9
	v_cmp_ge_f32_e64 s[0:1], 1.0, v9
	s_and_b64 s[48:49], vcc, s[0:1]
	s_mov_b64 s[40:41], 0
	s_mov_b64 s[0:1], 0
	s_and_saveexec_b64 s[44:45], s[48:49]
	s_cbranch_execz .LBB15_35
; %bb.34:                               ;   in Loop: Header=BB15_3 Depth=1
	v_cvt_f32_u32_e32 v24, v31
	v_mov_b32_e32 v25, 0x2f800000
	v_mov_b32_e32 v26, s3
	v_add_co_u32_e32 v20, vcc, s2, v20
	v_fmac_f32_e32 v25, 0x2f800000, v24
	v_addc_co_u32_e32 v21, vcc, v26, v21, vcc
	v_cmp_le_f32_e32 vcc, v25, v9
	s_mov_b64 s[0:1], exec
	v_cndmask_b32_e64 v9, 0, 1, vcc
	global_store_byte v[20:21], v9, off
.LBB15_35:                              ;   in Loop: Header=BB15_3 Depth=1
	s_or_b64 exec, exec, s[44:45]
	s_mov_b64 s[48:49], -1
	s_orn2_b64 s[44:45], s[0:1], exec
.LBB15_36:                              ;   in Loop: Header=BB15_3 Depth=1
	s_or_b64 exec, exec, s[42:43]
	s_mov_b64 s[0:1], 0
	s_mov_b64 s[50:51], s[40:41]
	s_and_saveexec_b64 s[42:43], s[44:45]
	s_cbranch_execz .LBB15_40
; %bb.37:                               ;   in Loop: Header=BB15_3 Depth=1
	v_lshlrev_b64 v[18:19], 2, v[18:19]
	s_waitcnt vmcnt(0)
	v_mov_b32_e32 v9, s13
	v_add_co_u32_e32 v18, vcc, s12, v18
	v_addc_co_u32_e32 v19, vcc, v9, v19, vcc
	global_load_dword v9, v[18:19], off
	s_waitcnt vmcnt(0)
	v_cmp_le_f32_e32 vcc, 0, v9
	v_cmp_ge_f32_e64 s[0:1], 1.0, v9
	s_and_b64 s[44:45], vcc, s[0:1]
	s_mov_b64 s[0:1], 0
	s_and_saveexec_b64 s[50:51], s[44:45]
	s_xor_b64 s[44:45], exec, s[50:51]
	s_cbranch_execz .LBB15_39
; %bb.38:                               ;   in Loop: Header=BB15_3 Depth=1
	v_cvt_f32_u32_e32 v18, v22
	v_mov_b32_e32 v19, 0x2f800000
	v_mov_b32_e32 v20, s3
	v_add_co_u32_e32 v16, vcc, s2, v16
	v_fmac_f32_e32 v19, 0x2f800000, v18
	v_addc_co_u32_e32 v17, vcc, v20, v17, vcc
	v_cmp_le_f32_e32 vcc, v19, v9
	v_cndmask_b32_e64 v9, 0, 1, vcc
	s_mov_b64 s[0:1], exec
	global_store_byte v[16:17], v9, off
.LBB15_39:                              ;   in Loop: Header=BB15_3 Depth=1
	s_or_b64 exec, exec, s[44:45]
	s_andn2_b64 s[50:51], s[40:41], exec
	s_or_b64 s[40:41], s[40:41], exec
	s_andn2_b64 s[48:49], s[48:49], exec
	s_and_b64 s[0:1], s[0:1], exec
.LBB15_40:                              ;   in Loop: Header=BB15_3 Depth=1
	s_or_b64 exec, exec, s[42:43]
	s_and_b64 s[44:45], s[50:51], exec
	s_and_b64 s[42:43], s[40:41], exec
	;; [unrolled: 1-line block ×4, first 2 shown]
.LBB15_41:                              ;   in Loop: Header=BB15_3 Depth=1
	s_andn2_saveexec_b64 s[0:1], s[46:47]
; %bb.42:                               ;   in Loop: Header=BB15_3 Depth=1
	v_cmp_lt_i32_e32 vcc, 1, v23
	s_andn2_b64 s[46:47], s[52:53], exec
	s_and_b64 s[48:49], vcc, exec
	s_mov_b64 s[38:39], exec
	s_andn2_b64 s[44:45], s[44:45], exec
	s_andn2_b64 s[42:43], s[42:43], exec
	;; [unrolled: 1-line block ×3, first 2 shown]
	s_or_b64 s[52:53], s[46:47], s[48:49]
; %bb.43:                               ;   in Loop: Header=BB15_3 Depth=1
	s_or_b64 exec, exec, s[0:1]
	s_mov_b64 s[46:47], 0
	s_mov_b64 s[0:1], 0
	;; [unrolled: 1-line block ×3, first 2 shown]
	s_and_saveexec_b64 s[50:51], s[52:53]
	s_cbranch_execnz .LBB15_46
; %bb.44:                               ;   in Loop: Header=BB15_3 Depth=1
	s_or_b64 exec, exec, s[50:51]
	s_and_saveexec_b64 s[50:51], s[38:39]
	s_cbranch_execnz .LBB15_49
.LBB15_45:                              ;   in Loop: Header=BB15_3 Depth=1
	s_or_b64 exec, exec, s[50:51]
	s_and_saveexec_b64 s[38:39], s[0:1]
	s_cbranch_execnz .LBB15_50
	s_branch .LBB15_53
.LBB15_46:                              ;   in Loop: Header=BB15_3 Depth=1
	v_lshlrev_b64 v[12:13], 2, v[12:13]
	s_waitcnt vmcnt(0)
	v_mov_b32_e32 v9, s13
	v_add_co_u32_e32 v12, vcc, s12, v12
	v_addc_co_u32_e32 v13, vcc, v9, v13, vcc
	global_load_dword v9, v[12:13], off
	s_waitcnt vmcnt(0)
	v_cmp_le_f32_e32 vcc, 0, v9
	v_cmp_ge_f32_e64 s[0:1], 1.0, v9
	s_and_b64 s[48:49], vcc, s[0:1]
	s_mov_b64 s[0:1], 0
	s_and_saveexec_b64 s[52:53], s[48:49]
	s_xor_b64 s[48:49], exec, s[52:53]
	s_cbranch_execz .LBB15_48
; %bb.47:                               ;   in Loop: Header=BB15_3 Depth=1
	v_cvt_f32_u32_e32 v12, v15
	v_mov_b32_e32 v13, 0x2f800000
	v_mov_b32_e32 v15, s3
	v_add_co_u32_e32 v10, vcc, s2, v10
	v_fmac_f32_e32 v13, 0x2f800000, v12
	v_addc_co_u32_e32 v11, vcc, v15, v11, vcc
	v_cmp_le_f32_e32 vcc, v13, v9
	v_cndmask_b32_e64 v9, 0, 1, vcc
	s_mov_b64 s[0:1], exec
	global_store_byte v[10:11], v9, off
.LBB15_48:                              ;   in Loop: Header=BB15_3 Depth=1
	s_or_b64 exec, exec, s[48:49]
	s_andn2_b64 s[48:49], s[44:45], exec
	s_or_b64 s[44:45], s[44:45], exec
	s_andn2_b64 s[42:43], s[42:43], exec
	s_andn2_b64 s[40:41], s[40:41], exec
	s_and_b64 s[0:1], s[0:1], exec
	s_andn2_b64 s[38:39], s[38:39], exec
	s_or_b64 exec, exec, s[50:51]
	s_and_saveexec_b64 s[50:51], s[38:39]
	s_cbranch_execz .LBB15_45
.LBB15_49:                              ;   in Loop: Header=BB15_3 Depth=1
	v_cmp_eq_u32_e32 vcc, 1, v23
	s_andn2_b64 s[0:1], s[0:1], exec
	s_and_b64 s[38:39], vcc, exec
	s_mov_b64 s[46:47], exec
	s_andn2_b64 s[48:49], s[48:49], exec
	s_andn2_b64 s[44:45], s[44:45], exec
	;; [unrolled: 1-line block ×4, first 2 shown]
	s_or_b64 s[0:1], s[0:1], s[38:39]
	s_or_b64 exec, exec, s[50:51]
	s_and_saveexec_b64 s[38:39], s[0:1]
	s_cbranch_execz .LBB15_53
.LBB15_50:                              ;   in Loop: Header=BB15_3 Depth=1
	v_lshlrev_b64 v[10:11], 2, v[4:5]
	v_mov_b32_e32 v4, s13
	v_add_co_u32_e32 v10, vcc, s12, v10
	v_addc_co_u32_e32 v11, vcc, v4, v11, vcc
	global_load_dword v4, v[10:11], off
	s_waitcnt vmcnt(0)
	v_cmp_le_f32_e32 vcc, 0, v4
	v_cmp_ge_f32_e64 s[0:1], 1.0, v4
	s_and_b64 s[52:53], vcc, s[0:1]
	s_mov_b64 s[0:1], 0
	s_and_saveexec_b64 s[50:51], s[52:53]
	s_cbranch_execz .LBB15_52
; %bb.51:                               ;   in Loop: Header=BB15_3 Depth=1
	v_cvt_f32_u32_e32 v9, v14
	v_mov_b32_e32 v10, 0x2f800000
	s_mov_b64 s[0:1], exec
	v_fmac_f32_e32 v10, 0x2f800000, v9
	v_cmp_le_f32_e32 vcc, v10, v4
	v_cndmask_b32_e64 v4, 0, 1, vcc
	global_store_byte v8, v4, s[2:3]
.LBB15_52:                              ;   in Loop: Header=BB15_3 Depth=1
	s_or_b64 exec, exec, s[50:51]
	s_andn2_b64 s[46:47], s[46:47], exec
	s_and_b64 s[0:1], s[0:1], exec
	s_or_b64 s[48:49], s[48:49], exec
	s_andn2_b64 s[44:45], s[44:45], exec
	s_andn2_b64 s[42:43], s[42:43], exec
	;; [unrolled: 1-line block ×3, first 2 shown]
	s_or_b64 s[46:47], s[46:47], s[0:1]
.LBB15_53:                              ;   in Loop: Header=BB15_3 Depth=1
	s_or_b64 exec, exec, s[38:39]
	s_andn2_b64 s[36:37], s[36:37], exec
	s_and_b64 s[38:39], s[48:49], exec
	s_or_b64 s[36:37], s[36:37], s[38:39]
	s_andn2_b64 s[34:35], s[34:35], exec
	s_and_b64 s[38:39], s[44:45], exec
	s_or_b64 s[34:35], s[34:35], s[38:39]
	;; [unrolled: 3-line block ×3, first 2 shown]
	s_andn2_b64 s[28:29], s[28:29], exec
	s_and_b64 s[38:39], s[40:41], exec
	s_mov_b64 s[0:1], -1
	s_or_b64 s[28:29], s[28:29], s[38:39]
	s_and_saveexec_b64 s[38:39], s[46:47]
	s_cbranch_execz .LBB15_2
; %bb.54:                               ;   in Loop: Header=BB15_3 Depth=1
	v_add_u32_e32 v0, s57, v0
	v_cmp_le_u32_e32 vcc, s33, v0
	v_subrev_u32_e32 v36, s57, v36
	s_andn2_b64 s[36:37], s[36:37], exec
	s_andn2_b64 s[34:35], s[34:35], exec
	s_andn2_b64 s[30:31], s[30:31], exec
	s_andn2_b64 s[28:29], s[28:29], exec
	s_orn2_b64 s[0:1], vcc, exec
	s_branch .LBB15_2
.LBB15_55:
	s_or_b64 exec, exec, s[20:21]
	s_xor_b64 s[6:7], s[26:27], -1
	s_xor_b64 s[8:9], s[24:25], -1
	;; [unrolled: 1-line block ×3, first 2 shown]
	s_mov_b64 s[2:3], 0
	s_and_saveexec_b64 s[4:5], s[0:1]
	s_xor_b64 s[0:1], exec, s[4:5]
	s_cbranch_execnz .LBB15_60
; %bb.56:
	s_andn2_saveexec_b64 s[0:1], s[0:1]
	s_cbranch_execnz .LBB15_68
.LBB15_57:
	s_or_b64 exec, exec, s[0:1]
	s_and_b64 exec, exec, s[2:3]
.LBB15_58:
	; divergent unreachable
.LBB15_59:
	s_endpgm
.LBB15_60:
	s_mov_b64 s[4:5], 0
	s_and_saveexec_b64 s[2:3], s[8:9]
	s_xor_b64 s[2:3], exec, s[2:3]
	s_cbranch_execz .LBB15_66
; %bb.61:
	s_and_saveexec_b64 s[8:9], s[6:7]
	s_xor_b64 s[6:7], exec, s[8:9]
	s_cbranch_execz .LBB15_64
; %bb.62:
	s_and_saveexec_b64 s[8:9], s[18:19]
	s_xor_b64 s[8:9], exec, s[8:9]
	s_cbranch_execnz .LBB15_71
.LBB15_63:
	s_or_b64 exec, exec, s[8:9]
	s_and_b64 s[4:5], s[4:5], exec
.LBB15_64:
	s_andn2_saveexec_b64 s[6:7], s[6:7]
	s_cbranch_execnz .LBB15_70
.LBB15_65:
	s_or_b64 exec, exec, s[6:7]
	s_and_b64 s[4:5], s[4:5], exec
.LBB15_66:
	s_andn2_saveexec_b64 s[2:3], s[2:3]
	s_cbranch_execnz .LBB15_69
.LBB15_67:
	s_or_b64 exec, exec, s[2:3]
	s_and_b64 s[2:3], s[4:5], exec
	s_andn2_saveexec_b64 s[0:1], s[0:1]
	s_cbranch_execz .LBB15_57
.LBB15_68:
	s_or_b64 s[2:3], s[2:3], exec
	s_trap 2
	s_or_b64 exec, exec, s[0:1]
	s_and_b64 exec, exec, s[2:3]
	s_cbranch_execnz .LBB15_58
	s_branch .LBB15_59
.LBB15_69:
	s_or_b64 s[4:5], s[4:5], exec
	s_trap 2
	s_branch .LBB15_67
.LBB15_70:
	s_trap 2
	s_or_b64 s[4:5], s[4:5], exec
	s_branch .LBB15_65
.LBB15_71:
	s_mov_b64 s[4:5], exec
	s_trap 2
	s_branch .LBB15_63
	.section	.rodata,"a",@progbits
	.p2align	6, 0x0
	.amdhsa_kernel _ZN2at4cuda12_GLOBAL__N_121kernelPointwiseApply2IZNS_6native9templates4cuda28bernoulli_tensor_cuda_kernelIhfEEvRKNS_10TensorBaseES9_NS_15PhiloxCudaStateEEUliRhSB_SB_SB_RKfSD_SD_SD_E_hSC_jLi2ELi2ELi4ELi512ELi2EEEvNS0_6detail10TensorInfoIT0_T2_EENSG_IT1_SI_EESI_T_
		.amdhsa_group_segment_fixed_size 0
		.amdhsa_private_segment_fixed_size 0
		.amdhsa_kernarg_size 728
		.amdhsa_user_sgpr_count 6
		.amdhsa_user_sgpr_private_segment_buffer 1
		.amdhsa_user_sgpr_dispatch_ptr 0
		.amdhsa_user_sgpr_queue_ptr 0
		.amdhsa_user_sgpr_kernarg_segment_ptr 1
		.amdhsa_user_sgpr_dispatch_id 0
		.amdhsa_user_sgpr_flat_scratch_init 0
		.amdhsa_user_sgpr_kernarg_preload_length 0
		.amdhsa_user_sgpr_kernarg_preload_offset 0
		.amdhsa_user_sgpr_private_segment_size 0
		.amdhsa_uses_dynamic_stack 0
		.amdhsa_system_sgpr_private_segment_wavefront_offset 0
		.amdhsa_system_sgpr_workgroup_id_x 1
		.amdhsa_system_sgpr_workgroup_id_y 0
		.amdhsa_system_sgpr_workgroup_id_z 0
		.amdhsa_system_sgpr_workgroup_info 0
		.amdhsa_system_vgpr_workitem_id 0
		.amdhsa_next_free_vgpr 55
		.amdhsa_next_free_sgpr 62
		.amdhsa_accum_offset 56
		.amdhsa_reserve_vcc 1
		.amdhsa_reserve_flat_scratch 0
		.amdhsa_float_round_mode_32 0
		.amdhsa_float_round_mode_16_64 0
		.amdhsa_float_denorm_mode_32 3
		.amdhsa_float_denorm_mode_16_64 3
		.amdhsa_dx10_clamp 1
		.amdhsa_ieee_mode 1
		.amdhsa_fp16_overflow 0
		.amdhsa_tg_split 0
		.amdhsa_exception_fp_ieee_invalid_op 0
		.amdhsa_exception_fp_denorm_src 0
		.amdhsa_exception_fp_ieee_div_zero 0
		.amdhsa_exception_fp_ieee_overflow 0
		.amdhsa_exception_fp_ieee_underflow 0
		.amdhsa_exception_fp_ieee_inexact 0
		.amdhsa_exception_int_div_zero 0
	.end_amdhsa_kernel
	.section	.text._ZN2at4cuda12_GLOBAL__N_121kernelPointwiseApply2IZNS_6native9templates4cuda28bernoulli_tensor_cuda_kernelIhfEEvRKNS_10TensorBaseES9_NS_15PhiloxCudaStateEEUliRhSB_SB_SB_RKfSD_SD_SD_E_hSC_jLi2ELi2ELi4ELi512ELi2EEEvNS0_6detail10TensorInfoIT0_T2_EENSG_IT1_SI_EESI_T_,"axG",@progbits,_ZN2at4cuda12_GLOBAL__N_121kernelPointwiseApply2IZNS_6native9templates4cuda28bernoulli_tensor_cuda_kernelIhfEEvRKNS_10TensorBaseES9_NS_15PhiloxCudaStateEEUliRhSB_SB_SB_RKfSD_SD_SD_E_hSC_jLi2ELi2ELi4ELi512ELi2EEEvNS0_6detail10TensorInfoIT0_T2_EENSG_IT1_SI_EESI_T_,comdat
.Lfunc_end15:
	.size	_ZN2at4cuda12_GLOBAL__N_121kernelPointwiseApply2IZNS_6native9templates4cuda28bernoulli_tensor_cuda_kernelIhfEEvRKNS_10TensorBaseES9_NS_15PhiloxCudaStateEEUliRhSB_SB_SB_RKfSD_SD_SD_E_hSC_jLi2ELi2ELi4ELi512ELi2EEEvNS0_6detail10TensorInfoIT0_T2_EENSG_IT1_SI_EESI_T_, .Lfunc_end15-_ZN2at4cuda12_GLOBAL__N_121kernelPointwiseApply2IZNS_6native9templates4cuda28bernoulli_tensor_cuda_kernelIhfEEvRKNS_10TensorBaseES9_NS_15PhiloxCudaStateEEUliRhSB_SB_SB_RKfSD_SD_SD_E_hSC_jLi2ELi2ELi4ELi512ELi2EEEvNS0_6detail10TensorInfoIT0_T2_EENSG_IT1_SI_EESI_T_
                                        ; -- End function
	.section	.AMDGPU.csdata,"",@progbits
; Kernel info:
; codeLenInByte = 3412
; NumSgprs: 66
; NumVgprs: 55
; NumAgprs: 0
; TotalNumVgprs: 55
; ScratchSize: 0
; MemoryBound: 0
; FloatMode: 240
; IeeeMode: 1
; LDSByteSize: 0 bytes/workgroup (compile time only)
; SGPRBlocks: 8
; VGPRBlocks: 6
; NumSGPRsForWavesPerEU: 66
; NumVGPRsForWavesPerEU: 55
; AccumOffset: 56
; Occupancy: 8
; WaveLimiterHint : 1
; COMPUTE_PGM_RSRC2:SCRATCH_EN: 0
; COMPUTE_PGM_RSRC2:USER_SGPR: 6
; COMPUTE_PGM_RSRC2:TRAP_HANDLER: 0
; COMPUTE_PGM_RSRC2:TGID_X_EN: 1
; COMPUTE_PGM_RSRC2:TGID_Y_EN: 0
; COMPUTE_PGM_RSRC2:TGID_Z_EN: 0
; COMPUTE_PGM_RSRC2:TIDIG_COMP_CNT: 0
; COMPUTE_PGM_RSRC3_GFX90A:ACCUM_OFFSET: 13
; COMPUTE_PGM_RSRC3_GFX90A:TG_SPLIT: 0
	.section	.text._ZN2at4cuda12_GLOBAL__N_121kernelPointwiseApply2IZNS_6native9templates4cuda28bernoulli_tensor_cuda_kernelIhfEEvRKNS_10TensorBaseES9_NS_15PhiloxCudaStateEEUliRhSB_SB_SB_RKfSD_SD_SD_E_hSC_jLi2ELin1ELi4ELi512ELi2EEEvNS0_6detail10TensorInfoIT0_T2_EENSG_IT1_SI_EESI_T_,"axG",@progbits,_ZN2at4cuda12_GLOBAL__N_121kernelPointwiseApply2IZNS_6native9templates4cuda28bernoulli_tensor_cuda_kernelIhfEEvRKNS_10TensorBaseES9_NS_15PhiloxCudaStateEEUliRhSB_SB_SB_RKfSD_SD_SD_E_hSC_jLi2ELin1ELi4ELi512ELi2EEEvNS0_6detail10TensorInfoIT0_T2_EENSG_IT1_SI_EESI_T_,comdat
	.globl	_ZN2at4cuda12_GLOBAL__N_121kernelPointwiseApply2IZNS_6native9templates4cuda28bernoulli_tensor_cuda_kernelIhfEEvRKNS_10TensorBaseES9_NS_15PhiloxCudaStateEEUliRhSB_SB_SB_RKfSD_SD_SD_E_hSC_jLi2ELin1ELi4ELi512ELi2EEEvNS0_6detail10TensorInfoIT0_T2_EENSG_IT1_SI_EESI_T_ ; -- Begin function _ZN2at4cuda12_GLOBAL__N_121kernelPointwiseApply2IZNS_6native9templates4cuda28bernoulli_tensor_cuda_kernelIhfEEvRKNS_10TensorBaseES9_NS_15PhiloxCudaStateEEUliRhSB_SB_SB_RKfSD_SD_SD_E_hSC_jLi2ELin1ELi4ELi512ELi2EEEvNS0_6detail10TensorInfoIT0_T2_EENSG_IT1_SI_EESI_T_
	.p2align	8
	.type	_ZN2at4cuda12_GLOBAL__N_121kernelPointwiseApply2IZNS_6native9templates4cuda28bernoulli_tensor_cuda_kernelIhfEEvRKNS_10TensorBaseES9_NS_15PhiloxCudaStateEEUliRhSB_SB_SB_RKfSD_SD_SD_E_hSC_jLi2ELin1ELi4ELi512ELi2EEEvNS0_6detail10TensorInfoIT0_T2_EENSG_IT1_SI_EESI_T_,@function
_ZN2at4cuda12_GLOBAL__N_121kernelPointwiseApply2IZNS_6native9templates4cuda28bernoulli_tensor_cuda_kernelIhfEEvRKNS_10TensorBaseES9_NS_15PhiloxCudaStateEEUliRhSB_SB_SB_RKfSD_SD_SD_E_hSC_jLi2ELin1ELi4ELi512ELi2EEEvNS0_6detail10TensorInfoIT0_T2_EENSG_IT1_SI_EESI_T_: ; @_ZN2at4cuda12_GLOBAL__N_121kernelPointwiseApply2IZNS_6native9templates4cuda28bernoulli_tensor_cuda_kernelIhfEEvRKNS_10TensorBaseES9_NS_15PhiloxCudaStateEEUliRhSB_SB_SB_RKfSD_SD_SD_E_hSC_jLi2ELin1ELi4ELi512ELi2EEEvNS0_6detail10TensorInfoIT0_T2_EENSG_IT1_SI_EESI_T_
; %bb.0:
	s_load_dword s2, s[4:5], 0x1e4
	s_load_dword s33, s[4:5], 0x1b0
	s_add_u32 s0, s4, 0x1d8
	s_addc_u32 s1, s5, 0
	s_waitcnt lgkmcnt(0)
	s_and_b32 s2, s2, 0xffff
	s_mul_i32 s6, s6, s2
	v_add_u32_e32 v5, s6, v0
	v_lshlrev_b32_e32 v34, 2, v5
	v_cmp_gt_u32_e32 vcc, s33, v34
	s_and_saveexec_b64 s[6:7], vcc
	s_cbranch_execz .LBB16_73
; %bb.1:
	s_load_dword s3, s[0:1], 0x0
	s_load_dwordx2 s[6:7], s[4:5], 0x1c8
	s_load_dwordx4 s[8:11], s[4:5], 0x1b8
	s_load_dword s20, s[4:5], 0x1a8
	s_load_dwordx2 s[12:13], s[4:5], 0x0
	s_load_dword s54, s[4:5], 0xc
	s_waitcnt lgkmcnt(0)
	s_mul_i32 s21, s3, s2
	s_load_dword s2, s[4:5], 0x1d0
	s_load_dword s55, s[4:5], 0x144
	s_add_u32 s18, s4, 0xd8
	s_addc_u32 s19, s5, 0
	v_cvt_f32_u32_e32 v0, s54
	s_cmp_gt_i32 s20, 1
	s_mov_b32 s56, 0xcd9e8d57
	s_cselect_b64 s[0:1], -1, 0
	v_rcp_iflag_f32_e32 v2, v0
	s_waitcnt lgkmcnt(0)
	s_bitcmp1_b32 s2, 0
	v_mad_u64_u32 v[0:1], s[2:3], v5, s56, 0
	v_mul_f32_e32 v2, 0x4f7ffffe, v2
	v_cvt_u32_f32_e32 v2, v2
	s_load_dwordx2 s[14:15], s[4:5], 0x6c
	s_load_dwordx2 s[16:17], s[4:5], 0xd8
	s_cselect_b64 s[4:5], -1, 0
	s_sub_i32 s2, 0, s54
	s_mov_b32 s3, 0
	v_mov_b32_e32 v4, v1
	v_mul_lo_u32 v1, s2, v2
	s_add_i32 s2, s20, -1
	s_lshl_b32 s57, s21, 2
	s_add_i32 s58, s20, 1
	s_lshl_b64 s[2:3], s[2:3], 2
	s_add_u32 s2, s2, s18
	s_addc_u32 s3, s3, s19
	v_mul_hi_u32 v1, v2, v1
	s_add_u32 s20, s2, 8
	v_mov_b32_e32 v3, 0
	v_add_u32_e32 v1, v2, v1
	s_addc_u32 s21, s3, 0
	s_mov_b64 s[22:23], 0
	v_cndmask_b32_e64 v35, 0, 1, s[0:1]
	s_mov_b32 s59, 0xd2511f53
	s_mov_b32 s60, 0xf1bbcdc8
                                        ; implicit-def: $sgpr24_sgpr25
                                        ; implicit-def: $sgpr26_sgpr27
                                        ; implicit-def: $sgpr28_sgpr29
                                        ; implicit-def: $sgpr18_sgpr19
                                        ; implicit-def: $sgpr30_sgpr31
                                        ; implicit-def: $sgpr34_sgpr35
                                        ; implicit-def: $sgpr36_sgpr37
                                        ; implicit-def: $sgpr38_sgpr39
	s_branch .LBB16_3
.LBB16_2:                               ;   in Loop: Header=BB16_3 Depth=1
	s_or_b64 exec, exec, s[2:3]
	s_and_b64 s[0:1], exec, s[0:1]
	s_or_b64 s[22:23], s[0:1], s[22:23]
	s_andn2_b64 s[0:1], s[18:19], exec
	s_and_b64 s[2:3], s[38:39], exec
	s_or_b64 s[18:19], s[0:1], s[2:3]
	s_andn2_b64 s[0:1], s[28:29], exec
	s_and_b64 s[2:3], s[36:37], exec
	s_or_b64 s[28:29], s[0:1], s[2:3]
	s_andn2_b64 s[0:1], s[26:27], exec
	s_and_b64 s[2:3], s[34:35], exec
	s_or_b64 s[26:27], s[0:1], s[2:3]
	s_andn2_b64 s[0:1], s[24:25], exec
	s_and_b64 s[2:3], s[30:31], exec
	s_or_b64 s[24:25], s[0:1], s[2:3]
	s_andn2_b64 exec, exec, s[22:23]
	s_cbranch_execz .LBB16_69
.LBB16_3:                               ; =>This Loop Header: Depth=1
                                        ;     Child Loop BB16_8 Depth 2
                                        ;     Child Loop BB16_15 Depth 2
	;; [unrolled: 1-line block ×4, first 2 shown]
	v_sub_u32_e32 v36, s33, v34
	v_cmp_lt_i32_e32 vcc, 0, v36
	v_mov_b32_e32 v6, 0
	s_and_saveexec_b64 s[2:3], vcc
	s_cbranch_execz .LBB16_5
; %bb.4:                                ;   in Loop: Header=BB16_3 Depth=1
	v_mul_hi_u32 v2, v34, v1
	v_mul_lo_u32 v6, v2, s54
	v_sub_u32_e32 v6, v34, v6
	v_add_u32_e32 v7, 1, v2
	v_cmp_le_u32_e64 s[0:1], s54, v6
	v_cndmask_b32_e64 v2, v2, v7, s[0:1]
	v_subrev_u32_e32 v7, s54, v6
	v_cndmask_b32_e64 v6, v6, v7, s[0:1]
	v_add_u32_e32 v7, 1, v2
	v_cmp_le_u32_e64 s[0:1], s54, v6
	v_cndmask_b32_e64 v6, v2, v7, s[0:1]
	v_mul_lo_u32 v2, v6, s54
	v_sub_u32_e32 v2, v34, v2
	s_waitcnt lgkmcnt(0)
	v_mul_lo_u32 v2, v2, s15
	v_mad_u64_u32 v[6:7], s[0:1], v6, s14, v[2:3]
.LBB16_5:                               ;   in Loop: Header=BB16_3 Depth=1
	s_or_b64 exec, exec, s[2:3]
	v_mov_b32_e32 v8, 0
	v_cmp_ne_u32_e64 s[0:1], 1, v35
	s_and_saveexec_b64 s[2:3], vcc
	s_cbranch_execz .LBB16_10
; %bb.6:                                ;   in Loop: Header=BB16_3 Depth=1
	s_and_b64 vcc, exec, s[0:1]
	v_mov_b32_e32 v8, 0
	v_mov_b32_e32 v2, v34
	s_cbranch_vccnz .LBB16_9
; %bb.7:                                ;   in Loop: Header=BB16_3 Depth=1
	v_mov_b32_e32 v8, 0
	s_mov_b64 s[40:41], s[20:21]
	s_mov_b32 s42, s58
	v_mov_b32_e32 v2, v34
.LBB16_8:                               ;   Parent Loop BB16_3 Depth=1
                                        ; =>  This Inner Loop Header: Depth=2
	s_load_dword s43, s[40:41], 0x0
	s_load_dword s44, s[40:41], 0x64
	v_mov_b32_e32 v7, v2
	s_add_i32 s42, s42, -1
	s_waitcnt lgkmcnt(0)
	v_cvt_f32_u32_e32 v2, s43
	s_sub_i32 s45, 0, s43
	s_add_u32 s40, s40, -4
	s_addc_u32 s41, s41, -1
	v_rcp_iflag_f32_e32 v2, v2
	s_cmp_gt_u32 s42, 2
	v_mul_f32_e32 v2, 0x4f7ffffe, v2
	v_cvt_u32_f32_e32 v2, v2
	s_waitcnt vmcnt(0)
	v_mul_lo_u32 v9, s45, v2
	v_mul_hi_u32 v9, v2, v9
	v_add_u32_e32 v2, v2, v9
	v_mul_hi_u32 v2, v7, v2
	v_mul_lo_u32 v9, v2, s43
	v_sub_u32_e32 v9, v7, v9
	v_add_u32_e32 v10, 1, v2
	v_cmp_le_u32_e32 vcc, s43, v9
	v_cndmask_b32_e32 v2, v2, v10, vcc
	v_subrev_u32_e32 v10, s43, v9
	v_cndmask_b32_e32 v9, v9, v10, vcc
	v_add_u32_e32 v10, 1, v2
	v_cmp_le_u32_e32 vcc, s43, v9
	v_cndmask_b32_e32 v2, v2, v10, vcc
	v_mul_lo_u32 v9, v2, s43
	v_sub_u32_e32 v7, v7, v9
	v_mad_u64_u32 v[8:9], s[44:45], s44, v7, v[8:9]
	s_cbranch_scc1 .LBB16_8
.LBB16_9:                               ;   in Loop: Header=BB16_3 Depth=1
	s_waitcnt vmcnt(0)
	v_mad_u64_u32 v[8:9], s[40:41], s55, v2, v[8:9]
.LBB16_10:                              ;   in Loop: Header=BB16_3 Depth=1
	s_or_b64 exec, exec, s[2:3]
	v_or_b32_e32 v7, 1, v34
	v_cmp_lt_i32_e32 vcc, 1, v36
	v_mov_b32_e32 v2, 0
	v_mov_b32_e32 v10, 0
	s_and_saveexec_b64 s[40:41], vcc
	s_cbranch_execz .LBB16_12
; %bb.11:                               ;   in Loop: Header=BB16_3 Depth=1
	s_waitcnt vmcnt(0)
	v_mul_hi_u32 v9, v7, v1
	v_mul_lo_u32 v10, v9, s54
	v_sub_u32_e32 v10, v7, v10
	v_add_u32_e32 v11, 1, v9
	v_cmp_le_u32_e64 s[2:3], s54, v10
	v_cndmask_b32_e64 v9, v9, v11, s[2:3]
	v_subrev_u32_e32 v11, s54, v10
	v_cndmask_b32_e64 v10, v10, v11, s[2:3]
	v_add_u32_e32 v11, 1, v9
	v_cmp_le_u32_e64 s[2:3], s54, v10
	v_cndmask_b32_e64 v9, v9, v11, s[2:3]
	v_mul_lo_u32 v10, v9, s54
	v_sub_u32_e32 v10, v7, v10
	s_waitcnt lgkmcnt(0)
	v_mul_lo_u32 v10, v10, s15
	v_mad_u64_u32 v[10:11], s[2:3], v9, s14, v[10:11]
.LBB16_12:                              ;   in Loop: Header=BB16_3 Depth=1
	s_or_b64 exec, exec, s[40:41]
	s_and_saveexec_b64 s[2:3], vcc
	s_cbranch_execz .LBB16_17
; %bb.13:                               ;   in Loop: Header=BB16_3 Depth=1
	s_and_b64 vcc, exec, s[0:1]
	v_mov_b32_e32 v12, 0
	s_cbranch_vccnz .LBB16_16
; %bb.14:                               ;   in Loop: Header=BB16_3 Depth=1
	v_mov_b32_e32 v12, 0
	s_mov_b64 s[40:41], s[20:21]
	s_mov_b32 s42, s58
.LBB16_15:                              ;   Parent Loop BB16_3 Depth=1
                                        ; =>  This Inner Loop Header: Depth=2
	s_load_dword s43, s[40:41], 0x0
	s_load_dword s44, s[40:41], 0x64
	v_mov_b32_e32 v2, v7
	s_add_i32 s42, s42, -1
	s_waitcnt lgkmcnt(0)
	v_cvt_f32_u32_e32 v7, s43
	s_sub_i32 s45, 0, s43
	s_add_u32 s40, s40, -4
	s_addc_u32 s41, s41, -1
	v_rcp_iflag_f32_e32 v7, v7
	s_cmp_gt_u32 s42, 2
	v_mul_f32_e32 v7, 0x4f7ffffe, v7
	v_cvt_u32_f32_e32 v7, v7
	s_waitcnt vmcnt(0)
	v_mul_lo_u32 v9, s45, v7
	v_mul_hi_u32 v9, v7, v9
	v_add_u32_e32 v7, v7, v9
	v_mul_hi_u32 v7, v2, v7
	v_mul_lo_u32 v9, v7, s43
	v_sub_u32_e32 v9, v2, v9
	v_add_u32_e32 v11, 1, v7
	v_cmp_le_u32_e32 vcc, s43, v9
	v_cndmask_b32_e32 v7, v7, v11, vcc
	v_subrev_u32_e32 v11, s43, v9
	v_cndmask_b32_e32 v9, v9, v11, vcc
	v_add_u32_e32 v11, 1, v7
	v_cmp_le_u32_e32 vcc, s43, v9
	v_cndmask_b32_e32 v7, v7, v11, vcc
	v_mul_lo_u32 v9, v7, s43
	v_sub_u32_e32 v2, v2, v9
	v_mad_u64_u32 v[12:13], s[44:45], s44, v2, v[12:13]
	s_cbranch_scc1 .LBB16_15
.LBB16_16:                              ;   in Loop: Header=BB16_3 Depth=1
	v_mad_u64_u32 v[12:13], s[40:41], s55, v7, v[12:13]
	v_mov_b32_e32 v2, v12
.LBB16_17:                              ;   in Loop: Header=BB16_3 Depth=1
	s_or_b64 exec, exec, s[2:3]
	v_or_b32_e32 v7, 2, v34
	v_cmp_lt_i32_e32 vcc, 2, v36
	v_mov_b32_e32 v12, 0
	s_and_saveexec_b64 s[40:41], vcc
	s_cbranch_execz .LBB16_19
; %bb.18:                               ;   in Loop: Header=BB16_3 Depth=1
	s_waitcnt vmcnt(0)
	v_mul_hi_u32 v9, v7, v1
	v_mul_lo_u32 v11, v9, s54
	v_sub_u32_e32 v11, v7, v11
	v_add_u32_e32 v12, 1, v9
	v_cmp_le_u32_e64 s[2:3], s54, v11
	v_cndmask_b32_e64 v9, v9, v12, s[2:3]
	v_subrev_u32_e32 v12, s54, v11
	v_cndmask_b32_e64 v11, v11, v12, s[2:3]
	v_add_u32_e32 v12, 1, v9
	v_cmp_le_u32_e64 s[2:3], s54, v11
	v_cndmask_b32_e64 v9, v9, v12, s[2:3]
	v_mul_lo_u32 v11, v9, s54
	v_sub_u32_e32 v11, v7, v11
	s_waitcnt lgkmcnt(0)
	v_mul_lo_u32 v12, v11, s15
	v_mad_u64_u32 v[12:13], s[2:3], v9, s14, v[12:13]
.LBB16_19:                              ;   in Loop: Header=BB16_3 Depth=1
	s_or_b64 exec, exec, s[40:41]
	v_pk_mov_b32 v[14:15], 0, 0
	s_and_saveexec_b64 s[2:3], vcc
	s_cbranch_execz .LBB16_24
; %bb.20:                               ;   in Loop: Header=BB16_3 Depth=1
	s_and_b64 vcc, exec, s[0:1]
	v_mov_b32_e32 v14, 0
	s_cbranch_vccnz .LBB16_23
; %bb.21:                               ;   in Loop: Header=BB16_3 Depth=1
	v_mov_b32_e32 v14, 0
	s_mov_b64 s[40:41], s[20:21]
	s_mov_b32 s42, s58
.LBB16_22:                              ;   Parent Loop BB16_3 Depth=1
                                        ; =>  This Inner Loop Header: Depth=2
	s_load_dword s43, s[40:41], 0x0
	s_load_dword s44, s[40:41], 0x64
	s_waitcnt vmcnt(0)
	v_mov_b32_e32 v9, v7
	s_add_i32 s42, s42, -1
	s_waitcnt lgkmcnt(0)
	v_cvt_f32_u32_e32 v7, s43
	s_sub_i32 s45, 0, s43
	s_add_u32 s40, s40, -4
	s_addc_u32 s41, s41, -1
	v_rcp_iflag_f32_e32 v7, v7
	s_cmp_gt_u32 s42, 2
	v_mul_f32_e32 v7, 0x4f7ffffe, v7
	v_cvt_u32_f32_e32 v7, v7
	v_mul_lo_u32 v11, s45, v7
	v_mul_hi_u32 v11, v7, v11
	v_add_u32_e32 v7, v7, v11
	v_mul_hi_u32 v7, v9, v7
	v_mul_lo_u32 v11, v7, s43
	v_sub_u32_e32 v11, v9, v11
	v_add_u32_e32 v13, 1, v7
	v_cmp_le_u32_e32 vcc, s43, v11
	v_cndmask_b32_e32 v7, v7, v13, vcc
	v_subrev_u32_e32 v13, s43, v11
	v_cndmask_b32_e32 v11, v11, v13, vcc
	v_add_u32_e32 v13, 1, v7
	v_cmp_le_u32_e32 vcc, s43, v11
	v_cndmask_b32_e32 v7, v7, v13, vcc
	v_mul_lo_u32 v11, v7, s43
	v_sub_u32_e32 v9, v9, v11
	v_mad_u64_u32 v[14:15], s[44:45], s44, v9, v[14:15]
	s_cbranch_scc1 .LBB16_22
.LBB16_23:                              ;   in Loop: Header=BB16_3 Depth=1
	v_mad_u64_u32 v[14:15], s[40:41], s55, v7, v[14:15]
	v_mov_b32_e32 v15, v3
.LBB16_24:                              ;   in Loop: Header=BB16_3 Depth=1
	s_or_b64 exec, exec, s[2:3]
	v_pk_mov_b32 v[16:17], 0, 0
	v_or_b32_e32 v7, 3, v34
	v_cmp_lt_i32_e32 vcc, 3, v36
	v_pk_mov_b32 v[18:19], v[16:17], v[16:17] op_sel:[0,1]
	s_and_saveexec_b64 s[40:41], vcc
	s_cbranch_execz .LBB16_26
; %bb.25:                               ;   in Loop: Header=BB16_3 Depth=1
	s_waitcnt vmcnt(0)
	v_mul_hi_u32 v9, v7, v1
	v_mul_lo_u32 v11, v9, s54
	v_sub_u32_e32 v11, v7, v11
	v_add_u32_e32 v13, 1, v9
	v_cmp_le_u32_e64 s[2:3], s54, v11
	v_cndmask_b32_e64 v9, v9, v13, s[2:3]
	v_subrev_u32_e32 v13, s54, v11
	v_cndmask_b32_e64 v11, v11, v13, s[2:3]
	v_add_u32_e32 v13, 1, v9
	v_cmp_le_u32_e64 s[2:3], s54, v11
	v_cndmask_b32_e64 v9, v9, v13, s[2:3]
	v_mul_lo_u32 v11, v9, s54
	v_sub_u32_e32 v11, v7, v11
	s_waitcnt lgkmcnt(0)
	v_mul_lo_u32 v18, v11, s15
	v_mad_u64_u32 v[18:19], s[2:3], v9, s14, v[18:19]
	v_mov_b32_e32 v19, v3
.LBB16_26:                              ;   in Loop: Header=BB16_3 Depth=1
	s_or_b64 exec, exec, s[40:41]
	s_and_saveexec_b64 s[2:3], vcc
	s_cbranch_execz .LBB16_31
; %bb.27:                               ;   in Loop: Header=BB16_3 Depth=1
	s_and_b64 vcc, exec, s[0:1]
	v_mov_b32_e32 v16, 0
	s_cbranch_vccnz .LBB16_30
; %bb.28:                               ;   in Loop: Header=BB16_3 Depth=1
	v_mov_b32_e32 v16, 0
	s_mov_b64 s[0:1], s[20:21]
	s_mov_b32 s40, s58
.LBB16_29:                              ;   Parent Loop BB16_3 Depth=1
                                        ; =>  This Inner Loop Header: Depth=2
	s_load_dword s41, s[0:1], 0x0
	s_load_dword s42, s[0:1], 0x64
	s_waitcnt vmcnt(0)
	v_mov_b32_e32 v9, v7
	s_add_i32 s40, s40, -1
	s_waitcnt lgkmcnt(0)
	v_cvt_f32_u32_e32 v7, s41
	s_sub_i32 s43, 0, s41
	s_add_u32 s0, s0, -4
	s_addc_u32 s1, s1, -1
	v_rcp_iflag_f32_e32 v7, v7
	s_cmp_gt_u32 s40, 2
	v_mul_f32_e32 v7, 0x4f7ffffe, v7
	v_cvt_u32_f32_e32 v7, v7
	v_mul_lo_u32 v11, s43, v7
	v_mul_hi_u32 v11, v7, v11
	v_add_u32_e32 v7, v7, v11
	v_mul_hi_u32 v7, v9, v7
	v_mul_lo_u32 v11, v7, s41
	v_sub_u32_e32 v11, v9, v11
	v_add_u32_e32 v13, 1, v7
	v_cmp_le_u32_e32 vcc, s41, v11
	v_cndmask_b32_e32 v7, v7, v13, vcc
	v_subrev_u32_e32 v13, s41, v11
	v_cndmask_b32_e32 v11, v11, v13, vcc
	v_add_u32_e32 v13, 1, v7
	v_cmp_le_u32_e32 vcc, s41, v11
	v_cndmask_b32_e32 v7, v7, v13, vcc
	v_mul_lo_u32 v11, v7, s41
	v_sub_u32_e32 v9, v9, v11
	v_mad_u64_u32 v[16:17], s[42:43], s42, v9, v[16:17]
	s_cbranch_scc1 .LBB16_29
.LBB16_30:                              ;   in Loop: Header=BB16_3 Depth=1
	v_mad_u64_u32 v[16:17], s[0:1], s55, v7, v[16:17]
	v_mov_b32_e32 v17, v3
.LBB16_31:                              ;   in Loop: Header=BB16_3 Depth=1
	s_or_b64 exec, exec, s[2:3]
	v_lshlrev_b64 v[16:17], 2, v[16:17]
	s_waitcnt lgkmcnt(0)
	v_mov_b32_e32 v7, s17
	v_add_co_u32_e32 v16, vcc, s16, v16
	v_addc_co_u32_e32 v17, vcc, v7, v17, vcc
	global_load_dword v9, v[16:17], off
	s_andn2_b64 vcc, exec, s[4:5]
	v_pk_mov_b32 v[16:17], s[10:11], s[10:11] op_sel:[0,1]
	v_pk_mov_b32 v[20:21], s[8:9], s[8:9] op_sel:[0,1]
	s_cbranch_vccnz .LBB16_33
; %bb.32:                               ;   in Loop: Header=BB16_3 Depth=1
	v_pk_mov_b32 v[16:17], s[10:11], s[10:11] op_sel:[0,1]
	flat_load_dwordx2 v[16:17], v[16:17]
	v_pk_mov_b32 v[20:21], s[8:9], s[8:9] op_sel:[0,1]
	flat_load_dwordx2 v[20:21], v[20:21]
	v_mov_b32_e32 v7, s7
	s_waitcnt vmcnt(0) lgkmcnt(0)
	v_add_co_u32_e32 v16, vcc, s6, v16
	v_addc_co_u32_e32 v17, vcc, v17, v7, vcc
.LBB16_33:                              ;   in Loop: Header=BB16_3 Depth=1
	v_alignbit_b32 v7, v17, v16, 2
	v_lshrrev_b32_e32 v13, 2, v17
	v_xor_b32_e32 v22, v4, v20
	v_and_b32_e32 v11, 3, v16
	v_mad_u64_u32 v[16:17], s[0:1], v7, s59, 0
	v_xor_b32_e32 v22, v22, v13
	v_xor_b32_e32 v17, v17, v21
	v_add_u32_e32 v40, 0xbb67ae85, v21
	v_mad_u64_u32 v[22:23], s[0:1], v22, s59, 0
	v_mad_u64_u32 v[24:25], s[0:1], v17, s56, 0
	v_xor_b32_e32 v23, v40, v23
	v_add_u32_e32 v39, 0x9e3779b9, v20
	v_xor_b32_e32 v17, v0, v25
	v_xor_b32_e32 v23, v23, v16
	v_xor_b32_e32 v17, v17, v39
	v_add_u32_e32 v41, 0x3c6ef372, v20
	v_mad_u64_u32 v[26:27], s[0:1], v23, s56, 0
	v_add_u32_e32 v42, 0x76cf5d0a, v21
	v_mad_u64_u32 v[16:17], s[0:1], v17, s59, 0
	v_xor_b32_e32 v23, v41, v27
	v_xor_b32_e32 v23, v23, v24
	v_xor_b32_e32 v17, v42, v17
	v_xor_b32_e32 v17, v17, v22
	v_add_u32_e32 v44, 0x32370b8f, v21
	v_mad_u64_u32 v[22:23], s[0:1], v23, s59, 0
	v_add_u32_e32 v43, 0xdaa66d2b, v20
	v_mad_u64_u32 v[24:25], s[0:1], v17, s56, 0
	v_xor_b32_e32 v23, v44, v23
	;; [unrolled: 8-line block ×5, first 2 shown]
	v_xor_b32_e32 v23, v23, v24
	v_xor_b32_e32 v17, v50, v17
	;; [unrolled: 1-line block ×3, first 2 shown]
	v_add_u32_e32 v52, 0x1fd5c5a3, v21
	v_mad_u64_u32 v[22:23], s[0:1], v23, s59, 0
	v_xor_b32_e32 v23, v52, v23
	v_xor_b32_e32 v16, v23, v16
	v_add_u32_e32 v51, 0x5384540f, v20
	v_mad_u64_u32 v[28:29], s[0:1], v17, s56, 0
	v_add_co_u32_e32 v37, vcc, s60, v20
	v_mad_u64_u32 v[24:25], s[0:1], v16, s56, 0
	v_xor_b32_e32 v17, v51, v29
	v_xor_b32_e32 v16, v37, v25
	;; [unrolled: 1-line block ×4, first 2 shown]
	v_mad_u64_u32 v[26:27], s[0:1], v17, s59, 0
	v_mad_u64_u32 v[16:17], s[0:1], v16, s59, 0
	v_add_co_u32_e32 v7, vcc, 1, v7
	v_xor_b32_e32 v17, v17, v26
	v_cndmask_b32_e64 v26, 0, 1, vcc
	v_addc_co_u32_e32 v13, vcc, 0, v13, vcc
	v_cmp_eq_u32_e32 vcc, 0, v13
	v_cndmask_b32_e32 v26, 0, v26, vcc
	v_add_u32_e32 v30, v26, v5
	v_cmp_eq_u32_e32 vcc, 0, v30
	v_mad_u64_u32 v[30:31], s[0:1], v30, s56, 0
	v_mad_u64_u32 v[28:29], s[0:1], v7, s59, 0
	v_xor_b32_e32 v7, v31, v20
	v_cndmask_b32_e32 v26, 0, v26, vcc
	v_xor_b32_e32 v7, v13, v7
	v_xor_b32_e32 v13, v29, v21
	;; [unrolled: 1-line block ×3, first 2 shown]
	v_mad_u64_u32 v[32:33], s[0:1], v13, s56, 0
	v_add_u32_e32 v23, 0xdb3d7428, v21
	v_add_u32_e32 v25, 0x8ff34781, v20
	;; [unrolled: 1-line block ×3, first 2 shown]
	v_mad_u64_u32 v[20:21], s[0:1], v7, s59, 0
	v_xor_b32_e32 v7, v39, v33
	v_xor_b32_e32 v7, v7, v30
	v_xor_b32_e32 v13, v40, v21
	v_xor_b32_e32 v13, v13, v28
	v_mad_u64_u32 v[28:29], s[0:1], v7, s59, 0
	v_mad_u64_u32 v[30:31], s[0:1], v13, s56, 0
	v_xor_b32_e32 v13, v42, v29
	v_xor_b32_e32 v7, v41, v31
	v_xor_b32_e32 v13, v13, v20
	v_xor_b32_e32 v7, v7, v32
	v_mad_u64_u32 v[32:33], s[0:1], v13, s56, 0
	v_mad_u64_u32 v[20:21], s[0:1], v7, s59, 0
	v_xor_b32_e32 v7, v43, v33
	v_xor_b32_e32 v7, v7, v30
	v_xor_b32_e32 v13, v44, v21
	v_xor_b32_e32 v13, v13, v28
	v_mad_u64_u32 v[28:29], s[0:1], v7, s59, 0
	v_mad_u64_u32 v[30:31], s[0:1], v13, s56, 0
	v_xor_b32_e32 v13, v46, v29
	v_xor_b32_e32 v7, v45, v31
	v_xor_b32_e32 v13, v13, v20
	v_xor_b32_e32 v7, v7, v32
	v_mad_u64_u32 v[32:33], s[0:1], v13, s56, 0
	v_mad_u64_u32 v[20:21], s[0:1], v7, s59, 0
	v_xor_b32_e32 v7, v47, v33
	v_xor_b32_e32 v7, v7, v30
	v_xor_b32_e32 v13, v48, v21
	v_xor_b32_e32 v13, v13, v28
	v_mad_u64_u32 v[30:31], s[0:1], v7, s59, 0
	v_mad_u64_u32 v[40:41], s[0:1], v13, s56, 0
	v_xor_b32_e32 v13, v50, v31
	v_xor_b32_e32 v7, v49, v41
	v_xor_b32_e32 v13, v13, v20
	v_xor_b32_e32 v7, v7, v32
	v_mad_u64_u32 v[28:29], s[0:1], v13, s56, 0
	v_mad_u64_u32 v[20:21], s[0:1], v7, s59, 0
	v_xor_b32_e32 v7, v51, v29
	v_xor_b32_e32 v7, v7, v40
	v_xor_b32_e32 v13, v52, v21
	v_xor_b32_e32 v13, v13, v30
	v_mad_u64_u32 v[30:31], s[0:1], v7, s59, 0
	v_xor_b32_e32 v7, v23, v31
	v_xor_b32_e32 v7, v7, v20
	v_mad_u64_u32 v[32:33], s[0:1], v13, s56, 0
	v_mad_u64_u32 v[20:21], s[0:1], v7, s56, 0
	v_xor_b32_e32 v7, v21, v32
	v_xor_b32_e32 v17, v38, v17
	;; [unrolled: 1-line block ×3, first 2 shown]
	v_cmp_lt_i32_e32 vcc, 1, v11
                                        ; implicit-def: $vgpr13
	s_and_saveexec_b64 s[0:1], vcc
	s_xor_b64 s[0:1], exec, s[0:1]
	s_cbranch_execz .LBB16_39
; %bb.34:                               ;   in Loop: Header=BB16_3 Depth=1
	v_cmp_lt_i32_e32 vcc, 2, v11
                                        ; implicit-def: $vgpr13
	s_and_saveexec_b64 s[2:3], vcc
	s_xor_b64 s[2:3], exec, s[2:3]
; %bb.35:                               ;   in Loop: Header=BB16_3 Depth=1
	v_xor_b32_e32 v11, v37, v33
	v_xor_b32_e32 v11, v11, v28
	v_mul_hi_u32 v11, v11, s59
	v_xor_b32_e32 v11, v11, v30
	v_xor_b32_e32 v13, v38, v11
                                        ; implicit-def: $vgpr17
; %bb.36:                               ;   in Loop: Header=BB16_3 Depth=1
	s_andn2_saveexec_b64 s[2:3], s[2:3]
; %bb.37:                               ;   in Loop: Header=BB16_3 Depth=1
	v_mov_b32_e32 v13, v20
	v_mov_b32_e32 v20, v7
	;; [unrolled: 1-line block ×4, first 2 shown]
; %bb.38:                               ;   in Loop: Header=BB16_3 Depth=1
	s_or_b64 exec, exec, s[2:3]
                                        ; implicit-def: $vgpr22_vgpr23
                                        ; implicit-def: $vgpr24_vgpr25
                                        ; implicit-def: $vgpr11
                                        ; implicit-def: $vgpr17
                                        ; implicit-def: $vgpr26_vgpr27
                                        ; implicit-def: $vgpr23
                                        ; implicit-def: $vgpr25
.LBB16_39:                              ;   in Loop: Header=BB16_3 Depth=1
	s_andn2_saveexec_b64 s[0:1], s[0:1]
	s_cbranch_execz .LBB16_43
; %bb.40:                               ;   in Loop: Header=BB16_3 Depth=1
	v_xor_b32_e32 v13, v23, v27
	v_xor_b32_e32 v13, v13, v22
	v_mad_u64_u32 v[22:23], s[2:3], v13, s56, 0
	v_xor_b32_e32 v13, v23, v24
	v_xor_b32_e32 v21, v25, v13
	v_cmp_eq_u32_e32 vcc, 1, v11
	v_mov_b32_e32 v13, v16
	v_mov_b32_e32 v20, v17
	;; [unrolled: 1-line block ×3, first 2 shown]
	s_and_saveexec_b64 s[2:3], vcc
; %bb.41:                               ;   in Loop: Header=BB16_3 Depth=1
	v_mov_b32_e32 v13, v7
	v_mov_b32_e32 v20, v16
	v_mov_b32_e32 v11, v17
	v_mov_b32_e32 v21, v22
; %bb.42:                               ;   in Loop: Header=BB16_3 Depth=1
	s_or_b64 exec, exec, s[2:3]
	v_mov_b32_e32 v16, v21
	v_mov_b32_e32 v7, v11
.LBB16_43:                              ;   in Loop: Header=BB16_3 Depth=1
	s_or_b64 exec, exec, s[0:1]
	v_min_i32_e32 v11, 4, v36
	v_cmp_lt_i32_e32 vcc, 2, v11
	s_mov_b64 s[2:3], 0
	s_mov_b64 s[50:51], 0
	;; [unrolled: 1-line block ×3, first 2 shown]
                                        ; implicit-def: $sgpr42_sgpr43
                                        ; implicit-def: $sgpr44_sgpr45
                                        ; implicit-def: $sgpr46_sgpr47
	s_and_saveexec_b64 s[0:1], vcc
	s_xor_b64 s[48:49], exec, s[0:1]
	s_cbranch_execz .LBB16_55
; %bb.44:                               ;   in Loop: Header=BB16_3 Depth=1
	v_cmp_lt_i32_e32 vcc, 3, v11
	s_mov_b64 s[0:1], -1
	s_mov_b64 s[52:53], 0
                                        ; implicit-def: $sgpr40_sgpr41
                                        ; implicit-def: $sgpr42_sgpr43
	s_and_saveexec_b64 s[44:45], vcc
	s_cbranch_execz .LBB16_50
; %bb.45:                               ;   in Loop: Header=BB16_3 Depth=1
	v_cmp_eq_u32_e32 vcc, 4, v11
	s_mov_b64 s[0:1], 0
	s_mov_b64 s[52:53], -1
                                        ; implicit-def: $sgpr40_sgpr41
                                        ; implicit-def: $sgpr42_sgpr43
	s_and_saveexec_b64 s[46:47], vcc
	s_cbranch_execz .LBB16_49
; %bb.46:                               ;   in Loop: Header=BB16_3 Depth=1
	s_waitcnt vmcnt(0)
	v_cmp_le_f32_e32 vcc, 0, v9
	v_cmp_ge_f32_e64 s[0:1], 1.0, v9
	s_and_b64 s[52:53], vcc, s[0:1]
	s_mov_b64 s[40:41], 0
	s_mov_b64 s[0:1], 0
	s_and_saveexec_b64 s[42:43], s[52:53]
	s_cbranch_execz .LBB16_48
; %bb.47:                               ;   in Loop: Header=BB16_3 Depth=1
	v_cvt_f32_u32_e32 v13, v13
	v_mov_b32_e32 v17, 0x2f800000
	v_mov_b32_e32 v21, s13
	v_add_co_u32_e32 v18, vcc, s12, v18
	v_fmac_f32_e32 v17, 0x2f800000, v13
	v_addc_co_u32_e32 v19, vcc, v21, v19, vcc
	v_cmp_le_f32_e32 vcc, v17, v9
	s_mov_b64 s[0:1], exec
	v_cndmask_b32_e64 v9, 0, 1, vcc
	global_store_byte v[18:19], v9, off
.LBB16_48:                              ;   in Loop: Header=BB16_3 Depth=1
	s_or_b64 exec, exec, s[42:43]
	s_mov_b64 s[42:43], -1
	s_xor_b64 s[52:53], exec, -1
	s_and_b64 s[0:1], s[0:1], exec
.LBB16_49:                              ;   in Loop: Header=BB16_3 Depth=1
	s_or_b64 exec, exec, s[46:47]
	s_and_b64 s[52:53], s[52:53], exec
	s_orn2_b64 s[0:1], s[0:1], exec
.LBB16_50:                              ;   in Loop: Header=BB16_3 Depth=1
	s_or_b64 exec, exec, s[44:45]
	s_mov_b64 s[46:47], s[40:41]
	s_and_saveexec_b64 s[44:45], s[0:1]
	s_cbranch_execz .LBB16_54
; %bb.51:                               ;   in Loop: Header=BB16_3 Depth=1
	v_lshlrev_b64 v[14:15], 2, v[14:15]
	s_waitcnt vmcnt(0)
	v_mov_b32_e32 v9, s17
	v_add_co_u32_e32 v14, vcc, s16, v14
	v_addc_co_u32_e32 v15, vcc, v9, v15, vcc
	global_load_dword v9, v[14:15], off
	s_waitcnt vmcnt(0)
	v_cmp_le_f32_e32 vcc, 0, v9
	v_cmp_ge_f32_e64 s[0:1], 1.0, v9
	s_and_b64 s[46:47], vcc, s[0:1]
	s_mov_b64 s[0:1], 0
	s_and_saveexec_b64 s[50:51], s[46:47]
	s_xor_b64 s[46:47], exec, s[50:51]
	s_cbranch_execz .LBB16_53
; %bb.52:                               ;   in Loop: Header=BB16_3 Depth=1
	v_cvt_f32_u32_e32 v13, v20
	v_mov_b32_e32 v14, 0x2f800000
	s_mov_b64 s[0:1], exec
	v_fmac_f32_e32 v14, 0x2f800000, v13
	v_cmp_le_f32_e32 vcc, v14, v9
	v_cndmask_b32_e64 v9, 0, 1, vcc
	global_store_byte v12, v9, s[12:13]
.LBB16_53:                              ;   in Loop: Header=BB16_3 Depth=1
	s_or_b64 exec, exec, s[46:47]
	s_andn2_b64 s[46:47], s[40:41], exec
	s_or_b64 s[40:41], s[40:41], exec
	s_andn2_b64 s[42:43], s[42:43], exec
	s_and_b64 s[50:51], s[0:1], exec
.LBB16_54:                              ;   in Loop: Header=BB16_3 Depth=1
	s_or_b64 exec, exec, s[44:45]
	s_and_b64 s[46:47], s[46:47], exec
	s_and_b64 s[44:45], s[40:41], exec
	;; [unrolled: 1-line block ×5, first 2 shown]
.LBB16_55:                              ;   in Loop: Header=BB16_3 Depth=1
	s_andn2_saveexec_b64 s[0:1], s[48:49]
; %bb.56:                               ;   in Loop: Header=BB16_3 Depth=1
	v_cmp_lt_i32_e32 vcc, 1, v11
	s_andn2_b64 s[48:49], s[50:51], exec
	s_and_b64 s[50:51], vcc, exec
	s_mov_b64 s[2:3], exec
	s_andn2_b64 s[46:47], s[46:47], exec
	s_andn2_b64 s[44:45], s[44:45], exec
	;; [unrolled: 1-line block ×3, first 2 shown]
	s_or_b64 s[50:51], s[48:49], s[50:51]
; %bb.57:                               ;   in Loop: Header=BB16_3 Depth=1
	s_or_b64 exec, exec, s[0:1]
	s_mov_b64 s[0:1], 0
	s_mov_b64 s[48:49], s[46:47]
	s_and_saveexec_b64 s[52:53], s[50:51]
	s_cbranch_execnz .LBB16_60
; %bb.58:                               ;   in Loop: Header=BB16_3 Depth=1
	s_or_b64 exec, exec, s[52:53]
	s_and_saveexec_b64 s[50:51], s[2:3]
	s_cbranch_execnz .LBB16_63
.LBB16_59:                              ;   in Loop: Header=BB16_3 Depth=1
	s_or_b64 exec, exec, s[50:51]
	s_and_saveexec_b64 s[2:3], s[0:1]
	s_cbranch_execnz .LBB16_64
	s_branch .LBB16_67
.LBB16_60:                              ;   in Loop: Header=BB16_3 Depth=1
	v_lshlrev_b64 v[12:13], 2, v[2:3]
	v_mov_b32_e32 v2, s17
	v_add_co_u32_e32 v12, vcc, s16, v12
	v_addc_co_u32_e32 v13, vcc, v2, v13, vcc
	global_load_dword v2, v[12:13], off
	s_waitcnt vmcnt(0)
	v_cmp_le_f32_e32 vcc, 0, v2
	v_cmp_ge_f32_e64 s[0:1], 1.0, v2
	s_and_b64 s[48:49], vcc, s[0:1]
	s_mov_b64 s[0:1], 0
	s_and_saveexec_b64 s[50:51], s[48:49]
	s_xor_b64 s[48:49], exec, s[50:51]
	s_cbranch_execz .LBB16_62
; %bb.61:                               ;   in Loop: Header=BB16_3 Depth=1
	v_cvt_f32_u32_e32 v7, v7
	v_mov_b32_e32 v9, 0x2f800000
	s_mov_b64 s[0:1], exec
	v_fmac_f32_e32 v9, 0x2f800000, v7
	v_cmp_le_f32_e32 vcc, v9, v2
	v_cndmask_b32_e64 v2, 0, 1, vcc
	global_store_byte v10, v2, s[12:13]
.LBB16_62:                              ;   in Loop: Header=BB16_3 Depth=1
	s_or_b64 exec, exec, s[48:49]
	s_andn2_b64 s[48:49], s[46:47], exec
	s_or_b64 s[46:47], s[46:47], exec
	s_andn2_b64 s[44:45], s[44:45], exec
	s_andn2_b64 s[42:43], s[42:43], exec
	s_and_b64 s[0:1], s[0:1], exec
	s_andn2_b64 s[2:3], s[2:3], exec
	s_or_b64 exec, exec, s[52:53]
	s_and_saveexec_b64 s[50:51], s[2:3]
	s_cbranch_execz .LBB16_59
.LBB16_63:                              ;   in Loop: Header=BB16_3 Depth=1
	v_cmp_eq_u32_e32 vcc, 1, v11
	s_andn2_b64 s[0:1], s[0:1], exec
	s_and_b64 s[2:3], vcc, exec
	s_andn2_b64 s[48:49], s[48:49], exec
	s_andn2_b64 s[46:47], s[46:47], exec
	;; [unrolled: 1-line block ×4, first 2 shown]
	s_or_b64 s[40:41], s[40:41], exec
	s_or_b64 s[0:1], s[0:1], s[2:3]
	s_or_b64 exec, exec, s[50:51]
	s_and_saveexec_b64 s[2:3], s[0:1]
	s_cbranch_execz .LBB16_67
.LBB16_64:                              ;   in Loop: Header=BB16_3 Depth=1
	s_waitcnt vmcnt(0)
	v_mov_b32_e32 v9, v3
	v_lshlrev_b64 v[8:9], 2, v[8:9]
	v_mov_b32_e32 v2, s17
	v_add_co_u32_e32 v8, vcc, s16, v8
	v_addc_co_u32_e32 v9, vcc, v2, v9, vcc
	global_load_dword v2, v[8:9], off
	s_waitcnt vmcnt(0)
	v_cmp_le_f32_e32 vcc, 0, v2
	v_cmp_ge_f32_e64 s[0:1], 1.0, v2
	s_and_b64 s[52:53], vcc, s[0:1]
	s_mov_b64 s[0:1], 0
	s_and_saveexec_b64 s[50:51], s[52:53]
	s_cbranch_execz .LBB16_66
; %bb.65:                               ;   in Loop: Header=BB16_3 Depth=1
	v_cvt_f32_u32_e32 v7, v16
	v_mov_b32_e32 v8, 0x2f800000
	s_mov_b64 s[0:1], exec
	v_fmac_f32_e32 v8, 0x2f800000, v7
	v_cmp_le_f32_e32 vcc, v8, v2
	v_cndmask_b32_e64 v2, 0, 1, vcc
	global_store_byte v6, v2, s[12:13]
.LBB16_66:                              ;   in Loop: Header=BB16_3 Depth=1
	s_or_b64 exec, exec, s[50:51]
	s_andn2_b64 s[40:41], s[40:41], exec
	s_and_b64 s[0:1], s[0:1], exec
	s_or_b64 s[48:49], s[48:49], exec
	s_andn2_b64 s[46:47], s[46:47], exec
	s_andn2_b64 s[44:45], s[44:45], exec
	;; [unrolled: 1-line block ×3, first 2 shown]
	s_or_b64 s[40:41], s[40:41], s[0:1]
.LBB16_67:                              ;   in Loop: Header=BB16_3 Depth=1
	s_or_b64 exec, exec, s[2:3]
	s_andn2_b64 s[2:3], s[38:39], exec
	s_and_b64 s[38:39], s[48:49], exec
	s_or_b64 s[38:39], s[2:3], s[38:39]
	s_andn2_b64 s[2:3], s[36:37], exec
	s_and_b64 s[36:37], s[46:47], exec
	s_or_b64 s[36:37], s[2:3], s[36:37]
	;; [unrolled: 3-line block ×3, first 2 shown]
	s_andn2_b64 s[2:3], s[30:31], exec
	s_and_b64 s[30:31], s[42:43], exec
	s_mov_b64 s[0:1], -1
	s_or_b64 s[30:31], s[2:3], s[30:31]
	s_and_saveexec_b64 s[2:3], s[40:41]
	s_cbranch_execz .LBB16_2
; %bb.68:                               ;   in Loop: Header=BB16_3 Depth=1
	v_add_u32_e32 v34, s57, v34
	v_cmp_le_u32_e32 vcc, s33, v34
	s_andn2_b64 s[38:39], s[38:39], exec
	s_andn2_b64 s[36:37], s[36:37], exec
	;; [unrolled: 1-line block ×4, first 2 shown]
	s_orn2_b64 s[0:1], vcc, exec
	s_branch .LBB16_2
.LBB16_69:
	s_or_b64 exec, exec, s[22:23]
	s_xor_b64 s[6:7], s[28:29], -1
	s_xor_b64 s[8:9], s[26:27], -1
	;; [unrolled: 1-line block ×3, first 2 shown]
	s_mov_b64 s[2:3], 0
	s_and_saveexec_b64 s[4:5], s[0:1]
	s_xor_b64 s[0:1], exec, s[4:5]
	s_cbranch_execnz .LBB16_74
; %bb.70:
	s_andn2_saveexec_b64 s[0:1], s[0:1]
	s_cbranch_execnz .LBB16_82
.LBB16_71:
	s_or_b64 exec, exec, s[0:1]
	s_and_b64 exec, exec, s[2:3]
.LBB16_72:
	; divergent unreachable
.LBB16_73:
	s_endpgm
.LBB16_74:
	s_mov_b64 s[4:5], 0
	s_and_saveexec_b64 s[2:3], s[8:9]
	s_xor_b64 s[2:3], exec, s[2:3]
	s_cbranch_execz .LBB16_80
; %bb.75:
	s_and_saveexec_b64 s[8:9], s[6:7]
	s_xor_b64 s[6:7], exec, s[8:9]
	s_cbranch_execz .LBB16_78
; %bb.76:
	s_and_saveexec_b64 s[8:9], s[18:19]
	s_xor_b64 s[8:9], exec, s[8:9]
	s_cbranch_execnz .LBB16_85
.LBB16_77:
	s_or_b64 exec, exec, s[8:9]
	s_and_b64 s[4:5], s[4:5], exec
.LBB16_78:
	s_andn2_saveexec_b64 s[6:7], s[6:7]
	s_cbranch_execnz .LBB16_84
.LBB16_79:
	s_or_b64 exec, exec, s[6:7]
	s_and_b64 s[4:5], s[4:5], exec
.LBB16_80:
	s_andn2_saveexec_b64 s[2:3], s[2:3]
	s_cbranch_execnz .LBB16_83
.LBB16_81:
	s_or_b64 exec, exec, s[2:3]
	s_and_b64 s[2:3], s[4:5], exec
	s_andn2_saveexec_b64 s[0:1], s[0:1]
	s_cbranch_execz .LBB16_71
.LBB16_82:
	s_or_b64 s[2:3], s[2:3], exec
	s_trap 2
	s_or_b64 exec, exec, s[0:1]
	s_and_b64 exec, exec, s[2:3]
	s_cbranch_execnz .LBB16_72
	s_branch .LBB16_73
.LBB16_83:
	s_or_b64 s[4:5], s[4:5], exec
	s_trap 2
	s_branch .LBB16_81
.LBB16_84:
	s_trap 2
	s_or_b64 s[4:5], s[4:5], exec
	s_branch .LBB16_79
.LBB16_85:
	s_mov_b64 s[4:5], exec
	s_trap 2
	s_branch .LBB16_77
	.section	.rodata,"a",@progbits
	.p2align	6, 0x0
	.amdhsa_kernel _ZN2at4cuda12_GLOBAL__N_121kernelPointwiseApply2IZNS_6native9templates4cuda28bernoulli_tensor_cuda_kernelIhfEEvRKNS_10TensorBaseES9_NS_15PhiloxCudaStateEEUliRhSB_SB_SB_RKfSD_SD_SD_E_hSC_jLi2ELin1ELi4ELi512ELi2EEEvNS0_6detail10TensorInfoIT0_T2_EENSG_IT1_SI_EESI_T_
		.amdhsa_group_segment_fixed_size 0
		.amdhsa_private_segment_fixed_size 0
		.amdhsa_kernarg_size 728
		.amdhsa_user_sgpr_count 6
		.amdhsa_user_sgpr_private_segment_buffer 1
		.amdhsa_user_sgpr_dispatch_ptr 0
		.amdhsa_user_sgpr_queue_ptr 0
		.amdhsa_user_sgpr_kernarg_segment_ptr 1
		.amdhsa_user_sgpr_dispatch_id 0
		.amdhsa_user_sgpr_flat_scratch_init 0
		.amdhsa_user_sgpr_kernarg_preload_length 0
		.amdhsa_user_sgpr_kernarg_preload_offset 0
		.amdhsa_user_sgpr_private_segment_size 0
		.amdhsa_uses_dynamic_stack 0
		.amdhsa_system_sgpr_private_segment_wavefront_offset 0
		.amdhsa_system_sgpr_workgroup_id_x 1
		.amdhsa_system_sgpr_workgroup_id_y 0
		.amdhsa_system_sgpr_workgroup_id_z 0
		.amdhsa_system_sgpr_workgroup_info 0
		.amdhsa_system_vgpr_workitem_id 0
		.amdhsa_next_free_vgpr 53
		.amdhsa_next_free_sgpr 61
		.amdhsa_accum_offset 56
		.amdhsa_reserve_vcc 1
		.amdhsa_reserve_flat_scratch 0
		.amdhsa_float_round_mode_32 0
		.amdhsa_float_round_mode_16_64 0
		.amdhsa_float_denorm_mode_32 3
		.amdhsa_float_denorm_mode_16_64 3
		.amdhsa_dx10_clamp 1
		.amdhsa_ieee_mode 1
		.amdhsa_fp16_overflow 0
		.amdhsa_tg_split 0
		.amdhsa_exception_fp_ieee_invalid_op 0
		.amdhsa_exception_fp_denorm_src 0
		.amdhsa_exception_fp_ieee_div_zero 0
		.amdhsa_exception_fp_ieee_overflow 0
		.amdhsa_exception_fp_ieee_underflow 0
		.amdhsa_exception_fp_ieee_inexact 0
		.amdhsa_exception_int_div_zero 0
	.end_amdhsa_kernel
	.section	.text._ZN2at4cuda12_GLOBAL__N_121kernelPointwiseApply2IZNS_6native9templates4cuda28bernoulli_tensor_cuda_kernelIhfEEvRKNS_10TensorBaseES9_NS_15PhiloxCudaStateEEUliRhSB_SB_SB_RKfSD_SD_SD_E_hSC_jLi2ELin1ELi4ELi512ELi2EEEvNS0_6detail10TensorInfoIT0_T2_EENSG_IT1_SI_EESI_T_,"axG",@progbits,_ZN2at4cuda12_GLOBAL__N_121kernelPointwiseApply2IZNS_6native9templates4cuda28bernoulli_tensor_cuda_kernelIhfEEvRKNS_10TensorBaseES9_NS_15PhiloxCudaStateEEUliRhSB_SB_SB_RKfSD_SD_SD_E_hSC_jLi2ELin1ELi4ELi512ELi2EEEvNS0_6detail10TensorInfoIT0_T2_EENSG_IT1_SI_EESI_T_,comdat
.Lfunc_end16:
	.size	_ZN2at4cuda12_GLOBAL__N_121kernelPointwiseApply2IZNS_6native9templates4cuda28bernoulli_tensor_cuda_kernelIhfEEvRKNS_10TensorBaseES9_NS_15PhiloxCudaStateEEUliRhSB_SB_SB_RKfSD_SD_SD_E_hSC_jLi2ELin1ELi4ELi512ELi2EEEvNS0_6detail10TensorInfoIT0_T2_EENSG_IT1_SI_EESI_T_, .Lfunc_end16-_ZN2at4cuda12_GLOBAL__N_121kernelPointwiseApply2IZNS_6native9templates4cuda28bernoulli_tensor_cuda_kernelIhfEEvRKNS_10TensorBaseES9_NS_15PhiloxCudaStateEEUliRhSB_SB_SB_RKfSD_SD_SD_E_hSC_jLi2ELin1ELi4ELi512ELi2EEEvNS0_6detail10TensorInfoIT0_T2_EENSG_IT1_SI_EESI_T_
                                        ; -- End function
	.section	.AMDGPU.csdata,"",@progbits
; Kernel info:
; codeLenInByte = 3928
; NumSgprs: 65
; NumVgprs: 53
; NumAgprs: 0
; TotalNumVgprs: 53
; ScratchSize: 0
; MemoryBound: 0
; FloatMode: 240
; IeeeMode: 1
; LDSByteSize: 0 bytes/workgroup (compile time only)
; SGPRBlocks: 8
; VGPRBlocks: 6
; NumSGPRsForWavesPerEU: 65
; NumVGPRsForWavesPerEU: 53
; AccumOffset: 56
; Occupancy: 8
; WaveLimiterHint : 1
; COMPUTE_PGM_RSRC2:SCRATCH_EN: 0
; COMPUTE_PGM_RSRC2:USER_SGPR: 6
; COMPUTE_PGM_RSRC2:TRAP_HANDLER: 0
; COMPUTE_PGM_RSRC2:TGID_X_EN: 1
; COMPUTE_PGM_RSRC2:TGID_Y_EN: 0
; COMPUTE_PGM_RSRC2:TGID_Z_EN: 0
; COMPUTE_PGM_RSRC2:TIDIG_COMP_CNT: 0
; COMPUTE_PGM_RSRC3_GFX90A:ACCUM_OFFSET: 13
; COMPUTE_PGM_RSRC3_GFX90A:TG_SPLIT: 0
	.section	.text._ZN2at4cuda12_GLOBAL__N_121kernelPointwiseApply2IZNS_6native9templates4cuda28bernoulli_tensor_cuda_kernelIhfEEvRKNS_10TensorBaseES9_NS_15PhiloxCudaStateEEUliRhSB_SB_SB_RKfSD_SD_SD_E_hSC_jLin1ELi1ELi4ELi512ELi2EEEvNS0_6detail10TensorInfoIT0_T2_EENSG_IT1_SI_EESI_T_,"axG",@progbits,_ZN2at4cuda12_GLOBAL__N_121kernelPointwiseApply2IZNS_6native9templates4cuda28bernoulli_tensor_cuda_kernelIhfEEvRKNS_10TensorBaseES9_NS_15PhiloxCudaStateEEUliRhSB_SB_SB_RKfSD_SD_SD_E_hSC_jLin1ELi1ELi4ELi512ELi2EEEvNS0_6detail10TensorInfoIT0_T2_EENSG_IT1_SI_EESI_T_,comdat
	.globl	_ZN2at4cuda12_GLOBAL__N_121kernelPointwiseApply2IZNS_6native9templates4cuda28bernoulli_tensor_cuda_kernelIhfEEvRKNS_10TensorBaseES9_NS_15PhiloxCudaStateEEUliRhSB_SB_SB_RKfSD_SD_SD_E_hSC_jLin1ELi1ELi4ELi512ELi2EEEvNS0_6detail10TensorInfoIT0_T2_EENSG_IT1_SI_EESI_T_ ; -- Begin function _ZN2at4cuda12_GLOBAL__N_121kernelPointwiseApply2IZNS_6native9templates4cuda28bernoulli_tensor_cuda_kernelIhfEEvRKNS_10TensorBaseES9_NS_15PhiloxCudaStateEEUliRhSB_SB_SB_RKfSD_SD_SD_E_hSC_jLin1ELi1ELi4ELi512ELi2EEEvNS0_6detail10TensorInfoIT0_T2_EENSG_IT1_SI_EESI_T_
	.p2align	8
	.type	_ZN2at4cuda12_GLOBAL__N_121kernelPointwiseApply2IZNS_6native9templates4cuda28bernoulli_tensor_cuda_kernelIhfEEvRKNS_10TensorBaseES9_NS_15PhiloxCudaStateEEUliRhSB_SB_SB_RKfSD_SD_SD_E_hSC_jLin1ELi1ELi4ELi512ELi2EEEvNS0_6detail10TensorInfoIT0_T2_EENSG_IT1_SI_EESI_T_,@function
_ZN2at4cuda12_GLOBAL__N_121kernelPointwiseApply2IZNS_6native9templates4cuda28bernoulli_tensor_cuda_kernelIhfEEvRKNS_10TensorBaseES9_NS_15PhiloxCudaStateEEUliRhSB_SB_SB_RKfSD_SD_SD_E_hSC_jLin1ELi1ELi4ELi512ELi2EEEvNS0_6detail10TensorInfoIT0_T2_EENSG_IT1_SI_EESI_T_: ; @_ZN2at4cuda12_GLOBAL__N_121kernelPointwiseApply2IZNS_6native9templates4cuda28bernoulli_tensor_cuda_kernelIhfEEvRKNS_10TensorBaseES9_NS_15PhiloxCudaStateEEUliRhSB_SB_SB_RKfSD_SD_SD_E_hSC_jLin1ELi1ELi4ELi512ELi2EEEvNS0_6detail10TensorInfoIT0_T2_EENSG_IT1_SI_EESI_T_
; %bb.0:
	s_load_dword s2, s[4:5], 0x1e4
	s_load_dword s33, s[4:5], 0x1b0
	s_add_u32 s0, s4, 0x1d8
	s_addc_u32 s1, s5, 0
	s_waitcnt lgkmcnt(0)
	s_and_b32 s2, s2, 0xffff
	s_mul_i32 s6, s6, s2
	v_add_u32_e32 v5, s6, v0
	v_lshlrev_b32_e32 v30, 2, v5
	v_cmp_gt_u32_e32 vcc, s33, v30
	s_and_saveexec_b64 s[6:7], vcc
	s_cbranch_execz .LBB17_65
; %bb.1:
	s_load_dword s3, s[0:1], 0x0
	s_load_dword s62, s[4:5], 0x144
	s_load_dwordx4 s[12:15], s[4:5], 0x1b8
	s_load_dwordx2 s[10:11], s[4:5], 0xd8
	s_load_dword s6, s[4:5], 0xd0
	s_waitcnt lgkmcnt(0)
	s_mul_i32 s7, s3, s2
	s_load_dwordx2 s[16:17], s[4:5], 0x1c8
	s_load_dword s2, s[4:5], 0x1d0
	s_load_dword s63, s[4:5], 0x6c
	s_mov_b32 s64, 0xcd9e8d57
	s_load_dwordx2 s[20:21], s[4:5], 0x0
	s_cmp_gt_i32 s6, 1
	s_cselect_b64 s[0:1], -1, 0
	s_waitcnt lgkmcnt(0)
	s_bitcmp1_b32 s2, 0
	v_mad_u64_u32 v[0:1], s[2:3], v5, s64, 0
	s_cselect_b64 s[22:23], -1, 0
	s_add_i32 s2, s6, -1
	s_mov_b32 s3, 0
	s_lshl_b32 s65, s7, 2
	s_add_i32 s66, s6, 1
	s_lshl_b64 s[2:3], s[2:3], 2
	s_add_u32 s2, s2, s4
	s_addc_u32 s3, s3, s5
	v_mov_b32_e32 v4, v1
	s_add_u32 s24, s2, 8
	v_cndmask_b32_e64 v1, 0, 1, s[0:1]
	v_mov_b32_e32 v3, 0
	s_addc_u32 s25, s3, 0
	s_mov_b64 s[26:27], 0
	s_mov_b32 s67, 0xd2511f53
	v_cmp_ne_u32_e64 s[0:1], 1, v1
	s_mov_b32 s68, 0xf1bbcdc8
                                        ; implicit-def: $sgpr28_sgpr29
                                        ; implicit-def: $sgpr30_sgpr31
                                        ; implicit-def: $sgpr34_sgpr35
                                        ; implicit-def: $sgpr18_sgpr19
                                        ; implicit-def: $sgpr36_sgpr37
                                        ; implicit-def: $sgpr38_sgpr39
                                        ; implicit-def: $sgpr40_sgpr41
                                        ; implicit-def: $sgpr42_sgpr43
	s_branch .LBB17_3
.LBB17_2:                               ;   in Loop: Header=BB17_3 Depth=1
	s_or_b64 exec, exec, s[4:5]
	s_and_b64 s[2:3], exec, s[2:3]
	s_or_b64 s[26:27], s[2:3], s[26:27]
	s_andn2_b64 s[2:3], s[18:19], exec
	s_and_b64 s[4:5], s[42:43], exec
	s_or_b64 s[18:19], s[2:3], s[4:5]
	s_andn2_b64 s[2:3], s[34:35], exec
	s_and_b64 s[4:5], s[40:41], exec
	;; [unrolled: 3-line block ×4, first 2 shown]
	s_or_b64 s[28:29], s[2:3], s[4:5]
	s_andn2_b64 exec, exec, s[26:27]
	s_cbranch_execz .LBB17_61
.LBB17_3:                               ; =>This Loop Header: Depth=1
                                        ;     Child Loop BB17_6 Depth 2
                                        ;     Child Loop BB17_11 Depth 2
	;; [unrolled: 1-line block ×4, first 2 shown]
	v_sub_u32_e32 v1, s33, v30
	v_cmp_lt_i32_e64 s[2:3], 0, v1
	v_mov_b32_e32 v6, 0
	s_and_saveexec_b64 s[4:5], s[2:3]
	s_cbranch_execz .LBB17_8
; %bb.4:                                ;   in Loop: Header=BB17_3 Depth=1
	s_and_b64 vcc, exec, s[0:1]
	v_mov_b32_e32 v6, 0
	s_waitcnt vmcnt(0)
	v_mov_b32_e32 v2, v30
	s_cbranch_vccnz .LBB17_7
; %bb.5:                                ;   in Loop: Header=BB17_3 Depth=1
	v_mov_b32_e32 v6, 0
	s_mov_b64 s[6:7], s[24:25]
	s_mov_b32 s8, s66
	v_mov_b32_e32 v2, v30
.LBB17_6:                               ;   Parent Loop BB17_3 Depth=1
                                        ; =>  This Inner Loop Header: Depth=2
	s_load_dword s9, s[6:7], 0x0
	s_load_dword s44, s[6:7], 0x64
	v_mov_b32_e32 v7, v2
	s_add_i32 s8, s8, -1
	s_waitcnt lgkmcnt(0)
	v_cvt_f32_u32_e32 v2, s9
	s_sub_i32 s45, 0, s9
	s_add_u32 s6, s6, -4
	s_addc_u32 s7, s7, -1
	v_rcp_iflag_f32_e32 v2, v2
	s_cmp_gt_u32 s8, 2
	v_mul_f32_e32 v2, 0x4f7ffffe, v2
	v_cvt_u32_f32_e32 v2, v2
	v_mul_lo_u32 v8, s45, v2
	v_mul_hi_u32 v8, v2, v8
	v_add_u32_e32 v2, v2, v8
	v_mul_hi_u32 v2, v7, v2
	v_mul_lo_u32 v8, v2, s9
	v_sub_u32_e32 v8, v7, v8
	v_add_u32_e32 v9, 1, v2
	v_cmp_le_u32_e32 vcc, s9, v8
	v_cndmask_b32_e32 v2, v2, v9, vcc
	v_subrev_u32_e32 v9, s9, v8
	v_cndmask_b32_e32 v8, v8, v9, vcc
	v_add_u32_e32 v9, 1, v2
	v_cmp_le_u32_e32 vcc, s9, v8
	v_cndmask_b32_e32 v2, v2, v9, vcc
	v_mul_lo_u32 v8, v2, s9
	v_sub_u32_e32 v7, v7, v8
	v_mad_u64_u32 v[6:7], s[44:45], s44, v7, v[6:7]
	s_cbranch_scc1 .LBB17_6
.LBB17_7:                               ;   in Loop: Header=BB17_3 Depth=1
	v_mad_u64_u32 v[6:7], s[6:7], s63, v2, v[6:7]
.LBB17_8:                               ;   in Loop: Header=BB17_3 Depth=1
	s_or_b64 exec, exec, s[4:5]
	v_cmp_lt_i32_e64 s[4:5], 1, v1
	v_pk_mov_b32 v[8:9], 0, 0
	s_and_saveexec_b64 s[6:7], s[4:5]
	s_cbranch_execz .LBB17_13
; %bb.9:                                ;   in Loop: Header=BB17_3 Depth=1
	s_waitcnt vmcnt(0)
	v_or_b32_e32 v2, 1, v30
	s_and_b64 vcc, exec, s[0:1]
	v_mov_b32_e32 v8, 0
	s_cbranch_vccnz .LBB17_12
; %bb.10:                               ;   in Loop: Header=BB17_3 Depth=1
	v_mov_b32_e32 v8, 0
	s_mov_b64 s[8:9], s[24:25]
	s_mov_b32 s44, s66
.LBB17_11:                              ;   Parent Loop BB17_3 Depth=1
                                        ; =>  This Inner Loop Header: Depth=2
	s_load_dword s45, s[8:9], 0x0
	s_load_dword s46, s[8:9], 0x64
	v_mov_b32_e32 v7, v2
	s_add_i32 s44, s44, -1
	s_waitcnt lgkmcnt(0)
	v_cvt_f32_u32_e32 v2, s45
	s_sub_i32 s47, 0, s45
	s_add_u32 s8, s8, -4
	s_addc_u32 s9, s9, -1
	v_rcp_iflag_f32_e32 v2, v2
	s_cmp_gt_u32 s44, 2
	v_mul_f32_e32 v2, 0x4f7ffffe, v2
	v_cvt_u32_f32_e32 v2, v2
	v_mul_lo_u32 v9, s47, v2
	v_mul_hi_u32 v9, v2, v9
	v_add_u32_e32 v2, v2, v9
	v_mul_hi_u32 v2, v7, v2
	v_mul_lo_u32 v9, v2, s45
	v_sub_u32_e32 v9, v7, v9
	v_add_u32_e32 v10, 1, v2
	v_cmp_le_u32_e32 vcc, s45, v9
	v_cndmask_b32_e32 v2, v2, v10, vcc
	v_subrev_u32_e32 v10, s45, v9
	v_cndmask_b32_e32 v9, v9, v10, vcc
	v_add_u32_e32 v10, 1, v2
	v_cmp_le_u32_e32 vcc, s45, v9
	v_cndmask_b32_e32 v2, v2, v10, vcc
	v_mul_lo_u32 v9, v2, s45
	v_sub_u32_e32 v7, v7, v9
	v_mad_u64_u32 v[8:9], s[46:47], s46, v7, v[8:9]
	s_cbranch_scc1 .LBB17_11
.LBB17_12:                              ;   in Loop: Header=BB17_3 Depth=1
	v_mad_u64_u32 v[8:9], s[8:9], s63, v2, v[8:9]
	v_mov_b32_e32 v9, v3
.LBB17_13:                              ;   in Loop: Header=BB17_3 Depth=1
	s_or_b64 exec, exec, s[6:7]
	v_cmp_lt_i32_e64 s[6:7], 2, v1
	v_pk_mov_b32 v[10:11], 0, 0
	s_and_saveexec_b64 s[8:9], s[6:7]
	s_cbranch_execz .LBB17_18
; %bb.14:                               ;   in Loop: Header=BB17_3 Depth=1
	s_waitcnt vmcnt(0)
	v_or_b32_e32 v2, 2, v30
	s_and_b64 vcc, exec, s[0:1]
	v_mov_b32_e32 v10, 0
	s_cbranch_vccnz .LBB17_17
; %bb.15:                               ;   in Loop: Header=BB17_3 Depth=1
	v_mov_b32_e32 v10, 0
	s_mov_b64 s[44:45], s[24:25]
	s_mov_b32 s46, s66
.LBB17_16:                              ;   Parent Loop BB17_3 Depth=1
                                        ; =>  This Inner Loop Header: Depth=2
	s_load_dword s47, s[44:45], 0x0
	s_load_dword s48, s[44:45], 0x64
	v_mov_b32_e32 v7, v2
	s_add_i32 s46, s46, -1
	s_waitcnt lgkmcnt(0)
	v_cvt_f32_u32_e32 v2, s47
	s_sub_i32 s49, 0, s47
	s_add_u32 s44, s44, -4
	s_addc_u32 s45, s45, -1
	v_rcp_iflag_f32_e32 v2, v2
	s_cmp_gt_u32 s46, 2
	v_mul_f32_e32 v2, 0x4f7ffffe, v2
	v_cvt_u32_f32_e32 v2, v2
	v_mul_lo_u32 v11, s49, v2
	v_mul_hi_u32 v11, v2, v11
	v_add_u32_e32 v2, v2, v11
	v_mul_hi_u32 v2, v7, v2
	v_mul_lo_u32 v11, v2, s47
	v_sub_u32_e32 v11, v7, v11
	v_add_u32_e32 v12, 1, v2
	v_cmp_le_u32_e32 vcc, s47, v11
	v_cndmask_b32_e32 v2, v2, v12, vcc
	v_subrev_u32_e32 v12, s47, v11
	v_cndmask_b32_e32 v11, v11, v12, vcc
	v_add_u32_e32 v12, 1, v2
	v_cmp_le_u32_e32 vcc, s47, v11
	v_cndmask_b32_e32 v2, v2, v12, vcc
	v_mul_lo_u32 v11, v2, s47
	v_sub_u32_e32 v7, v7, v11
	v_mad_u64_u32 v[10:11], s[48:49], s48, v7, v[10:11]
	s_cbranch_scc1 .LBB17_16
.LBB17_17:                              ;   in Loop: Header=BB17_3 Depth=1
	v_mad_u64_u32 v[10:11], s[44:45], s63, v2, v[10:11]
	v_mov_b32_e32 v11, v3
.LBB17_18:                              ;   in Loop: Header=BB17_3 Depth=1
	s_or_b64 exec, exec, s[8:9]
	v_cmp_lt_i32_e64 s[8:9], 3, v1
	v_pk_mov_b32 v[14:15], 0, 0
	s_and_saveexec_b64 s[44:45], s[8:9]
	s_cbranch_execz .LBB17_23
; %bb.19:                               ;   in Loop: Header=BB17_3 Depth=1
	s_waitcnt vmcnt(0)
	v_or_b32_e32 v2, 3, v30
	s_and_b64 vcc, exec, s[0:1]
	v_mov_b32_e32 v12, 0
	s_cbranch_vccnz .LBB17_22
; %bb.20:                               ;   in Loop: Header=BB17_3 Depth=1
	v_mov_b32_e32 v12, 0
	s_mov_b64 s[46:47], s[24:25]
	s_mov_b32 s48, s66
.LBB17_21:                              ;   Parent Loop BB17_3 Depth=1
                                        ; =>  This Inner Loop Header: Depth=2
	s_load_dword s49, s[46:47], 0x0
	s_load_dword s50, s[46:47], 0x64
	v_mov_b32_e32 v7, v2
	s_add_i32 s48, s48, -1
	s_waitcnt lgkmcnt(0)
	v_cvt_f32_u32_e32 v2, s49
	s_sub_i32 s51, 0, s49
	s_add_u32 s46, s46, -4
	s_addc_u32 s47, s47, -1
	v_rcp_iflag_f32_e32 v2, v2
	s_cmp_gt_u32 s48, 2
	v_mul_f32_e32 v2, 0x4f7ffffe, v2
	v_cvt_u32_f32_e32 v2, v2
	v_mul_lo_u32 v13, s51, v2
	v_mul_hi_u32 v13, v2, v13
	v_add_u32_e32 v2, v2, v13
	v_mul_hi_u32 v2, v7, v2
	v_mul_lo_u32 v13, v2, s49
	v_sub_u32_e32 v13, v7, v13
	v_add_u32_e32 v14, 1, v2
	v_cmp_le_u32_e32 vcc, s49, v13
	v_cndmask_b32_e32 v2, v2, v14, vcc
	v_subrev_u32_e32 v14, s49, v13
	v_cndmask_b32_e32 v13, v13, v14, vcc
	v_add_u32_e32 v14, 1, v2
	v_cmp_le_u32_e32 vcc, s49, v13
	v_cndmask_b32_e32 v2, v2, v14, vcc
	v_mul_lo_u32 v13, v2, s49
	v_sub_u32_e32 v7, v7, v13
	v_mad_u64_u32 v[12:13], s[50:51], s50, v7, v[12:13]
	s_cbranch_scc1 .LBB17_21
.LBB17_22:                              ;   in Loop: Header=BB17_3 Depth=1
	v_mad_u64_u32 v[14:15], s[46:47], s63, v2, v[12:13]
	v_mov_b32_e32 v15, v3
.LBB17_23:                              ;   in Loop: Header=BB17_3 Depth=1
	s_or_b64 exec, exec, s[44:45]
	v_mul_lo_u32 v7, v30, s62
	v_add_u32_e32 v31, s62, v7
	v_add_u32_e32 v32, s62, v31
	s_waitcnt vmcnt(0)
	v_add_u32_e32 v2, s62, v32
	v_cndmask_b32_e64 v2, 0, v2, s[8:9]
	v_lshlrev_b64 v[12:13], 2, v[2:3]
	v_mov_b32_e32 v2, s11
	v_add_co_u32_e32 v12, vcc, s10, v12
	v_addc_co_u32_e32 v13, vcc, v2, v13, vcc
	global_load_dword v2, v[12:13], off
	s_andn2_b64 vcc, exec, s[22:23]
	v_pk_mov_b32 v[12:13], s[14:15], s[14:15] op_sel:[0,1]
	v_pk_mov_b32 v[16:17], s[12:13], s[12:13] op_sel:[0,1]
	s_cbranch_vccnz .LBB17_25
; %bb.24:                               ;   in Loop: Header=BB17_3 Depth=1
	v_pk_mov_b32 v[12:13], s[14:15], s[14:15] op_sel:[0,1]
	flat_load_dwordx2 v[12:13], v[12:13]
	v_pk_mov_b32 v[16:17], s[12:13], s[12:13] op_sel:[0,1]
	flat_load_dwordx2 v[16:17], v[16:17]
	v_mov_b32_e32 v18, s17
	s_waitcnt vmcnt(0) lgkmcnt(0)
	v_add_co_u32_e32 v12, vcc, s16, v12
	v_addc_co_u32_e32 v13, vcc, v13, v18, vcc
.LBB17_25:                              ;   in Loop: Header=BB17_3 Depth=1
	v_alignbit_b32 v26, v13, v12, 2
	v_lshrrev_b32_e32 v27, 2, v13
	v_xor_b32_e32 v18, v4, v16
	v_and_b32_e32 v33, 3, v12
	v_mad_u64_u32 v[12:13], s[8:9], v26, s67, 0
	v_xor_b32_e32 v18, v18, v27
	v_xor_b32_e32 v13, v13, v17
	v_add_u32_e32 v38, 0xbb67ae85, v17
	v_mad_u64_u32 v[18:19], s[8:9], v18, s67, 0
	v_mad_u64_u32 v[20:21], s[8:9], v13, s64, 0
	v_xor_b32_e32 v19, v38, v19
	v_add_u32_e32 v37, 0x9e3779b9, v16
	v_xor_b32_e32 v13, v0, v21
	v_xor_b32_e32 v19, v19, v12
	v_xor_b32_e32 v13, v13, v37
	v_add_u32_e32 v39, 0x3c6ef372, v16
	v_mad_u64_u32 v[22:23], s[8:9], v19, s64, 0
	v_add_u32_e32 v40, 0x76cf5d0a, v17
	v_mad_u64_u32 v[12:13], s[8:9], v13, s67, 0
	v_xor_b32_e32 v19, v39, v23
	v_xor_b32_e32 v19, v19, v20
	v_xor_b32_e32 v13, v40, v13
	v_xor_b32_e32 v13, v13, v18
	v_add_u32_e32 v42, 0x32370b8f, v17
	v_mad_u64_u32 v[18:19], s[8:9], v19, s67, 0
	v_add_u32_e32 v41, 0xdaa66d2b, v16
	v_mad_u64_u32 v[20:21], s[8:9], v13, s64, 0
	v_xor_b32_e32 v19, v42, v19
	;; [unrolled: 8-line block ×5, first 2 shown]
	v_xor_b32_e32 v19, v19, v20
	v_xor_b32_e32 v13, v48, v13
	;; [unrolled: 1-line block ×3, first 2 shown]
	v_add_u32_e32 v50, 0x1fd5c5a3, v17
	v_mad_u64_u32 v[18:19], s[8:9], v19, s67, 0
	v_xor_b32_e32 v19, v50, v19
	v_xor_b32_e32 v12, v19, v12
	v_add_u32_e32 v49, 0x5384540f, v16
	v_mad_u64_u32 v[24:25], s[8:9], v13, s64, 0
	v_add_co_u32_e32 v35, vcc, s68, v16
	v_mad_u64_u32 v[20:21], s[8:9], v12, s64, 0
	v_xor_b32_e32 v13, v49, v25
	v_xor_b32_e32 v12, v35, v21
	;; [unrolled: 1-line block ×4, first 2 shown]
	v_mad_u64_u32 v[22:23], s[8:9], v13, s67, 0
	v_mad_u64_u32 v[12:13], s[8:9], v12, s67, 0
	v_add_u32_e32 v36, 0x96a522ad, v17
	v_xor_b32_e32 v13, v13, v22
	v_xor_b32_e32 v34, v36, v13
	v_add_co_u32_e32 v13, vcc, 1, v26
	v_cndmask_b32_e64 v22, 0, 1, vcc
	v_addc_co_u32_e32 v28, vcc, 0, v27, vcc
	v_cmp_eq_u32_e32 vcc, 0, v28
	v_cndmask_b32_e32 v22, 0, v22, vcc
	v_add_u32_e32 v26, v22, v5
	v_cmp_eq_u32_e32 vcc, 0, v26
	v_mad_u64_u32 v[24:25], s[8:9], v13, s67, 0
	v_mad_u64_u32 v[26:27], s[8:9], v26, s64, 0
	v_add_u32_e32 v21, 0x8ff34781, v16
	v_cndmask_b32_e32 v22, 0, v22, vcc
	v_xor_b32_e32 v13, v27, v16
	v_xor_b32_e32 v16, v25, v17
	;; [unrolled: 1-line block ×4, first 2 shown]
	v_mad_u64_u32 v[28:29], s[8:9], v22, s64, 0
	v_add_u32_e32 v19, 0xdb3d7428, v17
	v_mad_u64_u32 v[16:17], s[8:9], v13, s67, 0
	v_xor_b32_e32 v13, v37, v29
	v_xor_b32_e32 v13, v13, v26
	v_xor_b32_e32 v17, v38, v17
	v_xor_b32_e32 v17, v17, v24
	v_mad_u64_u32 v[24:25], s[8:9], v13, s67, 0
	v_mad_u64_u32 v[26:27], s[8:9], v17, s64, 0
	v_xor_b32_e32 v17, v40, v25
	v_xor_b32_e32 v13, v39, v27
	v_xor_b32_e32 v22, v17, v16
	v_xor_b32_e32 v13, v13, v28
	v_mad_u64_u32 v[28:29], s[8:9], v22, s64, 0
	;; [unrolled: 6-line block ×7, first 2 shown]
	v_xor_b32_e32 v13, v19, v27
	v_xor_b32_e32 v13, v13, v16
	v_mad_u64_u32 v[28:29], s[8:9], v17, s64, 0
	v_mad_u64_u32 v[16:17], s[8:9], v13, s64, 0
	v_xor_b32_e32 v13, v17, v28
	v_xor_b32_e32 v13, v21, v13
	v_cmp_lt_i32_e32 vcc, 1, v33
                                        ; implicit-def: $vgpr17
	s_and_saveexec_b64 s[8:9], vcc
	s_xor_b64 s[8:9], exec, s[8:9]
	s_cbranch_execz .LBB17_31
; %bb.26:                               ;   in Loop: Header=BB17_3 Depth=1
	v_cmp_lt_i32_e32 vcc, 2, v33
                                        ; implicit-def: $vgpr17
	s_and_saveexec_b64 s[44:45], vcc
	s_xor_b64 s[44:45], exec, s[44:45]
; %bb.27:                               ;   in Loop: Header=BB17_3 Depth=1
	v_xor_b32_e32 v17, v35, v29
	v_xor_b32_e32 v17, v17, v24
	v_mul_hi_u32 v17, v17, s67
	v_xor_b32_e32 v17, v17, v26
	v_xor_b32_e32 v17, v36, v17
                                        ; implicit-def: $vgpr34
; %bb.28:                               ;   in Loop: Header=BB17_3 Depth=1
	s_andn2_saveexec_b64 s[44:45], s[44:45]
; %bb.29:                               ;   in Loop: Header=BB17_3 Depth=1
	v_mov_b32_e32 v17, v16
	v_mov_b32_e32 v16, v13
	;; [unrolled: 1-line block ×4, first 2 shown]
; %bb.30:                               ;   in Loop: Header=BB17_3 Depth=1
	s_or_b64 exec, exec, s[44:45]
                                        ; implicit-def: $vgpr18_vgpr19
                                        ; implicit-def: $vgpr20_vgpr21
                                        ; implicit-def: $vgpr33
                                        ; implicit-def: $vgpr34
                                        ; implicit-def: $vgpr22_vgpr23
                                        ; implicit-def: $vgpr19
                                        ; implicit-def: $vgpr21
.LBB17_31:                              ;   in Loop: Header=BB17_3 Depth=1
	s_andn2_saveexec_b64 s[8:9], s[8:9]
	s_cbranch_execz .LBB17_35
; %bb.32:                               ;   in Loop: Header=BB17_3 Depth=1
	v_xor_b32_e32 v16, v19, v23
	v_xor_b32_e32 v16, v16, v18
	v_mad_u64_u32 v[18:19], s[44:45], v16, s64, 0
	v_xor_b32_e32 v16, v19, v20
	v_xor_b32_e32 v19, v21, v16
	v_cmp_eq_u32_e32 vcc, 1, v33
	v_mov_b32_e32 v17, v12
	v_mov_b32_e32 v16, v34
	;; [unrolled: 1-line block ×3, first 2 shown]
	s_and_saveexec_b64 s[44:45], vcc
; %bb.33:                               ;   in Loop: Header=BB17_3 Depth=1
	v_mov_b32_e32 v17, v13
	v_mov_b32_e32 v16, v12
	;; [unrolled: 1-line block ×4, first 2 shown]
; %bb.34:                               ;   in Loop: Header=BB17_3 Depth=1
	s_or_b64 exec, exec, s[44:45]
	v_mov_b32_e32 v12, v19
	v_mov_b32_e32 v13, v20
.LBB17_35:                              ;   in Loop: Header=BB17_3 Depth=1
	s_or_b64 exec, exec, s[8:9]
	v_min_i32_e32 v1, 4, v1
	v_cmp_lt_i32_e32 vcc, 2, v1
	s_mov_b64 s[44:45], 0
	s_mov_b64 s[56:57], 0
	;; [unrolled: 1-line block ×3, first 2 shown]
                                        ; implicit-def: $sgpr46_sgpr47
                                        ; implicit-def: $sgpr48_sgpr49
                                        ; implicit-def: $sgpr50_sgpr51
	s_and_saveexec_b64 s[52:53], vcc
	s_xor_b64 s[52:53], exec, s[52:53]
	s_cbranch_execz .LBB17_47
; %bb.36:                               ;   in Loop: Header=BB17_3 Depth=1
	v_cmp_lt_i32_e32 vcc, 3, v1
	s_mov_b64 s[50:51], -1
	s_mov_b64 s[54:55], 0
                                        ; implicit-def: $sgpr8_sgpr9
                                        ; implicit-def: $sgpr46_sgpr47
	s_and_saveexec_b64 s[48:49], vcc
	s_cbranch_execz .LBB17_42
; %bb.37:                               ;   in Loop: Header=BB17_3 Depth=1
	v_cmp_eq_u32_e32 vcc, 4, v1
	s_mov_b64 s[58:59], 0
	s_mov_b64 s[60:61], -1
                                        ; implicit-def: $sgpr8_sgpr9
                                        ; implicit-def: $sgpr46_sgpr47
	s_and_saveexec_b64 s[50:51], vcc
	s_cbranch_execz .LBB17_41
; %bb.38:                               ;   in Loop: Header=BB17_3 Depth=1
	s_waitcnt vmcnt(0)
	v_cmp_le_f32_e32 vcc, 0, v2
	v_cmp_ge_f32_e64 s[8:9], 1.0, v2
	s_and_b64 s[58:59], vcc, s[8:9]
	s_mov_b64 s[8:9], 0
	s_and_saveexec_b64 s[46:47], s[58:59]
	s_cbranch_execz .LBB17_40
; %bb.39:                               ;   in Loop: Header=BB17_3 Depth=1
	v_cvt_f32_u32_e32 v17, v17
	v_mov_b32_e32 v18, 0x2f800000
	v_mov_b32_e32 v19, s21
	v_add_co_u32_e32 v14, vcc, s20, v14
	v_fmac_f32_e32 v18, 0x2f800000, v17
	v_addc_co_u32_e32 v15, vcc, v19, v15, vcc
	v_cmp_le_f32_e32 vcc, v18, v2
	s_mov_b64 s[56:57], exec
	v_cndmask_b32_e64 v2, 0, 1, vcc
	global_store_byte v[14:15], v2, off
.LBB17_40:                              ;   in Loop: Header=BB17_3 Depth=1
	s_or_b64 exec, exec, s[46:47]
	s_mov_b64 s[46:47], -1
	s_xor_b64 s[60:61], exec, -1
	s_and_b64 s[58:59], s[56:57], exec
.LBB17_41:                              ;   in Loop: Header=BB17_3 Depth=1
	s_or_b64 exec, exec, s[50:51]
	s_and_b64 s[56:57], s[60:61], exec
	s_orn2_b64 s[50:51], s[58:59], exec
.LBB17_42:                              ;   in Loop: Header=BB17_3 Depth=1
	s_or_b64 exec, exec, s[48:49]
	s_mov_b64 s[58:59], s[8:9]
	s_and_saveexec_b64 s[48:49], s[50:51]
	s_cbranch_execz .LBB17_46
; %bb.43:                               ;   in Loop: Header=BB17_3 Depth=1
	s_waitcnt vmcnt(0)
	v_cndmask_b32_e64 v2, 0, v32, s[6:7]
	v_lshlrev_b64 v[14:15], 2, v[2:3]
	v_mov_b32_e32 v2, s11
	v_add_co_u32_e32 v14, vcc, s10, v14
	v_addc_co_u32_e32 v15, vcc, v2, v15, vcc
	global_load_dword v2, v[14:15], off
	s_waitcnt vmcnt(0)
	v_cmp_le_f32_e32 vcc, 0, v2
	v_cmp_ge_f32_e64 s[6:7], 1.0, v2
	s_and_b64 s[50:51], vcc, s[6:7]
	s_mov_b64 s[6:7], 0
	s_and_saveexec_b64 s[54:55], s[50:51]
	s_xor_b64 s[50:51], exec, s[54:55]
	s_cbranch_execz .LBB17_45
; %bb.44:                               ;   in Loop: Header=BB17_3 Depth=1
	v_cvt_f32_u32_e32 v14, v16
	v_mov_b32_e32 v15, 0x2f800000
	v_mov_b32_e32 v16, s21
	v_add_co_u32_e32 v10, vcc, s20, v10
	v_fmac_f32_e32 v15, 0x2f800000, v14
	v_addc_co_u32_e32 v11, vcc, v16, v11, vcc
	v_cmp_le_f32_e32 vcc, v15, v2
	v_cndmask_b32_e64 v2, 0, 1, vcc
	s_mov_b64 s[6:7], exec
	global_store_byte v[10:11], v2, off
.LBB17_45:                              ;   in Loop: Header=BB17_3 Depth=1
	s_or_b64 exec, exec, s[50:51]
	s_andn2_b64 s[58:59], s[8:9], exec
	s_or_b64 s[8:9], s[8:9], exec
	s_andn2_b64 s[46:47], s[46:47], exec
	s_and_b64 s[54:55], s[6:7], exec
.LBB17_46:                              ;   in Loop: Header=BB17_3 Depth=1
	s_or_b64 exec, exec, s[48:49]
	s_and_b64 s[50:51], s[58:59], exec
	s_and_b64 s[48:49], s[8:9], exec
	s_and_b64 s[46:47], s[46:47], exec
	s_and_b64 s[8:9], s[56:57], exec
	s_and_b64 s[56:57], s[54:55], exec
.LBB17_47:                              ;   in Loop: Header=BB17_3 Depth=1
	s_andn2_saveexec_b64 s[6:7], s[52:53]
; %bb.48:                               ;   in Loop: Header=BB17_3 Depth=1
	v_cmp_lt_i32_e32 vcc, 1, v1
	s_andn2_b64 s[52:53], s[56:57], exec
	s_and_b64 s[54:55], vcc, exec
	s_mov_b64 s[44:45], exec
	s_andn2_b64 s[50:51], s[50:51], exec
	s_andn2_b64 s[48:49], s[48:49], exec
	s_andn2_b64 s[46:47], s[46:47], exec
	s_or_b64 s[56:57], s[52:53], s[54:55]
; %bb.49:                               ;   in Loop: Header=BB17_3 Depth=1
	s_or_b64 exec, exec, s[6:7]
	s_mov_b64 s[52:53], 0
	s_mov_b64 s[6:7], s[50:51]
	s_and_saveexec_b64 s[54:55], s[56:57]
	s_cbranch_execnz .LBB17_52
; %bb.50:                               ;   in Loop: Header=BB17_3 Depth=1
	s_or_b64 exec, exec, s[54:55]
	s_and_saveexec_b64 s[4:5], s[44:45]
	s_cbranch_execnz .LBB17_55
.LBB17_51:                              ;   in Loop: Header=BB17_3 Depth=1
	s_or_b64 exec, exec, s[4:5]
	s_and_saveexec_b64 s[4:5], s[52:53]
	s_cbranch_execnz .LBB17_56
	s_branch .LBB17_59
.LBB17_52:                              ;   in Loop: Header=BB17_3 Depth=1
	s_waitcnt vmcnt(0)
	v_cndmask_b32_e64 v2, 0, v31, s[4:5]
	v_lshlrev_b64 v[10:11], 2, v[2:3]
	v_mov_b32_e32 v2, s11
	v_add_co_u32_e32 v10, vcc, s10, v10
	v_addc_co_u32_e32 v11, vcc, v2, v11, vcc
	global_load_dword v2, v[10:11], off
	s_waitcnt vmcnt(0)
	v_cmp_le_f32_e32 vcc, 0, v2
	v_cmp_ge_f32_e64 s[4:5], 1.0, v2
	s_and_b64 s[6:7], vcc, s[4:5]
	s_mov_b64 s[4:5], 0
	s_and_saveexec_b64 s[52:53], s[6:7]
	s_xor_b64 s[6:7], exec, s[52:53]
	s_cbranch_execz .LBB17_54
; %bb.53:                               ;   in Loop: Header=BB17_3 Depth=1
	v_cvt_f32_u32_e32 v10, v13
	v_mov_b32_e32 v11, 0x2f800000
	v_mov_b32_e32 v13, s21
	v_add_co_u32_e32 v8, vcc, s20, v8
	v_fmac_f32_e32 v11, 0x2f800000, v10
	v_addc_co_u32_e32 v9, vcc, v13, v9, vcc
	v_cmp_le_f32_e32 vcc, v11, v2
	v_cndmask_b32_e64 v2, 0, 1, vcc
	s_mov_b64 s[4:5], exec
	global_store_byte v[8:9], v2, off
.LBB17_54:                              ;   in Loop: Header=BB17_3 Depth=1
	s_or_b64 exec, exec, s[6:7]
	s_andn2_b64 s[6:7], s[50:51], exec
	s_or_b64 s[50:51], s[50:51], exec
	s_andn2_b64 s[48:49], s[48:49], exec
	s_andn2_b64 s[46:47], s[46:47], exec
	s_and_b64 s[52:53], s[4:5], exec
	s_andn2_b64 s[44:45], s[44:45], exec
	s_or_b64 exec, exec, s[54:55]
	s_and_saveexec_b64 s[4:5], s[44:45]
	s_cbranch_execz .LBB17_51
.LBB17_55:                              ;   in Loop: Header=BB17_3 Depth=1
	v_cmp_eq_u32_e32 vcc, 1, v1
	s_andn2_b64 s[44:45], s[52:53], exec
	s_and_b64 s[52:53], vcc, exec
	s_andn2_b64 s[6:7], s[6:7], exec
	s_andn2_b64 s[50:51], s[50:51], exec
	;; [unrolled: 1-line block ×4, first 2 shown]
	s_or_b64 s[8:9], s[8:9], exec
	s_or_b64 s[52:53], s[44:45], s[52:53]
	s_or_b64 exec, exec, s[4:5]
	s_and_saveexec_b64 s[4:5], s[52:53]
	s_cbranch_execz .LBB17_59
.LBB17_56:                              ;   in Loop: Header=BB17_3 Depth=1
	s_waitcnt vmcnt(0)
	v_cndmask_b32_e64 v2, 0, v7, s[2:3]
	v_lshlrev_b64 v[8:9], 2, v[2:3]
	v_mov_b32_e32 v1, s11
	v_add_co_u32_e32 v8, vcc, s10, v8
	v_addc_co_u32_e32 v9, vcc, v1, v9, vcc
	global_load_dword v1, v[8:9], off
	s_waitcnt vmcnt(0)
	v_cmp_le_f32_e32 vcc, 0, v1
	v_cmp_ge_f32_e64 s[2:3], 1.0, v1
	s_and_b64 s[52:53], vcc, s[2:3]
	s_mov_b64 s[2:3], 0
	s_and_saveexec_b64 s[44:45], s[52:53]
	s_cbranch_execz .LBB17_58
; %bb.57:                               ;   in Loop: Header=BB17_3 Depth=1
	v_cvt_f32_u32_e32 v2, v12
	v_mov_b32_e32 v7, 0x2f800000
	s_mov_b64 s[2:3], exec
	v_fmac_f32_e32 v7, 0x2f800000, v2
	v_cmp_le_f32_e32 vcc, v7, v1
	v_cndmask_b32_e64 v1, 0, 1, vcc
	global_store_byte v6, v1, s[20:21]
.LBB17_58:                              ;   in Loop: Header=BB17_3 Depth=1
	s_or_b64 exec, exec, s[44:45]
	s_andn2_b64 s[8:9], s[8:9], exec
	s_and_b64 s[2:3], s[2:3], exec
	s_or_b64 s[6:7], s[6:7], exec
	s_andn2_b64 s[50:51], s[50:51], exec
	s_andn2_b64 s[48:49], s[48:49], exec
	;; [unrolled: 1-line block ×3, first 2 shown]
	s_or_b64 s[8:9], s[8:9], s[2:3]
.LBB17_59:                              ;   in Loop: Header=BB17_3 Depth=1
	s_or_b64 exec, exec, s[4:5]
	s_andn2_b64 s[4:5], s[42:43], exec
	s_and_b64 s[6:7], s[6:7], exec
	s_or_b64 s[42:43], s[4:5], s[6:7]
	s_andn2_b64 s[4:5], s[40:41], exec
	s_and_b64 s[6:7], s[50:51], exec
	s_or_b64 s[40:41], s[4:5], s[6:7]
	;; [unrolled: 3-line block ×3, first 2 shown]
	s_andn2_b64 s[4:5], s[36:37], exec
	s_and_b64 s[6:7], s[46:47], exec
	s_mov_b64 s[2:3], -1
	s_or_b64 s[36:37], s[4:5], s[6:7]
	s_and_saveexec_b64 s[4:5], s[8:9]
	s_cbranch_execz .LBB17_2
; %bb.60:                               ;   in Loop: Header=BB17_3 Depth=1
	v_add_u32_e32 v30, s65, v30
	v_cmp_le_u32_e32 vcc, s33, v30
	s_andn2_b64 s[42:43], s[42:43], exec
	s_andn2_b64 s[40:41], s[40:41], exec
	;; [unrolled: 1-line block ×4, first 2 shown]
	s_orn2_b64 s[2:3], vcc, exec
	s_branch .LBB17_2
.LBB17_61:
	s_or_b64 exec, exec, s[26:27]
	s_xor_b64 s[6:7], s[34:35], -1
	s_xor_b64 s[8:9], s[30:31], -1
	;; [unrolled: 1-line block ×3, first 2 shown]
	s_mov_b64 s[2:3], 0
	s_and_saveexec_b64 s[4:5], s[0:1]
	s_xor_b64 s[0:1], exec, s[4:5]
	s_cbranch_execnz .LBB17_66
; %bb.62:
	s_andn2_saveexec_b64 s[0:1], s[0:1]
	s_cbranch_execnz .LBB17_74
.LBB17_63:
	s_or_b64 exec, exec, s[0:1]
	s_and_b64 exec, exec, s[2:3]
.LBB17_64:
	; divergent unreachable
.LBB17_65:
	s_endpgm
.LBB17_66:
	s_mov_b64 s[4:5], 0
	s_and_saveexec_b64 s[2:3], s[8:9]
	s_xor_b64 s[2:3], exec, s[2:3]
	s_cbranch_execz .LBB17_72
; %bb.67:
	s_and_saveexec_b64 s[8:9], s[6:7]
	s_xor_b64 s[6:7], exec, s[8:9]
	s_cbranch_execz .LBB17_70
; %bb.68:
	s_and_saveexec_b64 s[8:9], s[18:19]
	s_xor_b64 s[8:9], exec, s[8:9]
	s_cbranch_execnz .LBB17_77
.LBB17_69:
	s_or_b64 exec, exec, s[8:9]
	s_and_b64 s[4:5], s[4:5], exec
.LBB17_70:
	s_andn2_saveexec_b64 s[6:7], s[6:7]
	s_cbranch_execnz .LBB17_76
.LBB17_71:
	s_or_b64 exec, exec, s[6:7]
	s_and_b64 s[4:5], s[4:5], exec
.LBB17_72:
	s_andn2_saveexec_b64 s[2:3], s[2:3]
	s_cbranch_execnz .LBB17_75
.LBB17_73:
	s_or_b64 exec, exec, s[2:3]
	s_and_b64 s[2:3], s[4:5], exec
	s_andn2_saveexec_b64 s[0:1], s[0:1]
	s_cbranch_execz .LBB17_63
.LBB17_74:
	s_or_b64 s[2:3], s[2:3], exec
	s_trap 2
	s_or_b64 exec, exec, s[0:1]
	s_and_b64 exec, exec, s[2:3]
	s_cbranch_execnz .LBB17_64
	s_branch .LBB17_65
.LBB17_75:
	s_or_b64 s[4:5], s[4:5], exec
	s_trap 2
	s_branch .LBB17_73
.LBB17_76:
	s_trap 2
	s_or_b64 s[4:5], s[4:5], exec
	s_branch .LBB17_71
.LBB17_77:
	s_mov_b64 s[4:5], exec
	s_trap 2
	s_branch .LBB17_69
	.section	.rodata,"a",@progbits
	.p2align	6, 0x0
	.amdhsa_kernel _ZN2at4cuda12_GLOBAL__N_121kernelPointwiseApply2IZNS_6native9templates4cuda28bernoulli_tensor_cuda_kernelIhfEEvRKNS_10TensorBaseES9_NS_15PhiloxCudaStateEEUliRhSB_SB_SB_RKfSD_SD_SD_E_hSC_jLin1ELi1ELi4ELi512ELi2EEEvNS0_6detail10TensorInfoIT0_T2_EENSG_IT1_SI_EESI_T_
		.amdhsa_group_segment_fixed_size 0
		.amdhsa_private_segment_fixed_size 0
		.amdhsa_kernarg_size 728
		.amdhsa_user_sgpr_count 6
		.amdhsa_user_sgpr_private_segment_buffer 1
		.amdhsa_user_sgpr_dispatch_ptr 0
		.amdhsa_user_sgpr_queue_ptr 0
		.amdhsa_user_sgpr_kernarg_segment_ptr 1
		.amdhsa_user_sgpr_dispatch_id 0
		.amdhsa_user_sgpr_flat_scratch_init 0
		.amdhsa_user_sgpr_kernarg_preload_length 0
		.amdhsa_user_sgpr_kernarg_preload_offset 0
		.amdhsa_user_sgpr_private_segment_size 0
		.amdhsa_uses_dynamic_stack 0
		.amdhsa_system_sgpr_private_segment_wavefront_offset 0
		.amdhsa_system_sgpr_workgroup_id_x 1
		.amdhsa_system_sgpr_workgroup_id_y 0
		.amdhsa_system_sgpr_workgroup_id_z 0
		.amdhsa_system_sgpr_workgroup_info 0
		.amdhsa_system_vgpr_workitem_id 0
		.amdhsa_next_free_vgpr 51
		.amdhsa_next_free_sgpr 69
		.amdhsa_accum_offset 52
		.amdhsa_reserve_vcc 1
		.amdhsa_reserve_flat_scratch 0
		.amdhsa_float_round_mode_32 0
		.amdhsa_float_round_mode_16_64 0
		.amdhsa_float_denorm_mode_32 3
		.amdhsa_float_denorm_mode_16_64 3
		.amdhsa_dx10_clamp 1
		.amdhsa_ieee_mode 1
		.amdhsa_fp16_overflow 0
		.amdhsa_tg_split 0
		.amdhsa_exception_fp_ieee_invalid_op 0
		.amdhsa_exception_fp_denorm_src 0
		.amdhsa_exception_fp_ieee_div_zero 0
		.amdhsa_exception_fp_ieee_overflow 0
		.amdhsa_exception_fp_ieee_underflow 0
		.amdhsa_exception_fp_ieee_inexact 0
		.amdhsa_exception_int_div_zero 0
	.end_amdhsa_kernel
	.section	.text._ZN2at4cuda12_GLOBAL__N_121kernelPointwiseApply2IZNS_6native9templates4cuda28bernoulli_tensor_cuda_kernelIhfEEvRKNS_10TensorBaseES9_NS_15PhiloxCudaStateEEUliRhSB_SB_SB_RKfSD_SD_SD_E_hSC_jLin1ELi1ELi4ELi512ELi2EEEvNS0_6detail10TensorInfoIT0_T2_EENSG_IT1_SI_EESI_T_,"axG",@progbits,_ZN2at4cuda12_GLOBAL__N_121kernelPointwiseApply2IZNS_6native9templates4cuda28bernoulli_tensor_cuda_kernelIhfEEvRKNS_10TensorBaseES9_NS_15PhiloxCudaStateEEUliRhSB_SB_SB_RKfSD_SD_SD_E_hSC_jLin1ELi1ELi4ELi512ELi2EEEvNS0_6detail10TensorInfoIT0_T2_EENSG_IT1_SI_EESI_T_,comdat
.Lfunc_end17:
	.size	_ZN2at4cuda12_GLOBAL__N_121kernelPointwiseApply2IZNS_6native9templates4cuda28bernoulli_tensor_cuda_kernelIhfEEvRKNS_10TensorBaseES9_NS_15PhiloxCudaStateEEUliRhSB_SB_SB_RKfSD_SD_SD_E_hSC_jLin1ELi1ELi4ELi512ELi2EEEvNS0_6detail10TensorInfoIT0_T2_EENSG_IT1_SI_EESI_T_, .Lfunc_end17-_ZN2at4cuda12_GLOBAL__N_121kernelPointwiseApply2IZNS_6native9templates4cuda28bernoulli_tensor_cuda_kernelIhfEEvRKNS_10TensorBaseES9_NS_15PhiloxCudaStateEEUliRhSB_SB_SB_RKfSD_SD_SD_E_hSC_jLin1ELi1ELi4ELi512ELi2EEEvNS0_6detail10TensorInfoIT0_T2_EENSG_IT1_SI_EESI_T_
                                        ; -- End function
	.section	.AMDGPU.csdata,"",@progbits
; Kernel info:
; codeLenInByte = 3452
; NumSgprs: 73
; NumVgprs: 51
; NumAgprs: 0
; TotalNumVgprs: 51
; ScratchSize: 0
; MemoryBound: 0
; FloatMode: 240
; IeeeMode: 1
; LDSByteSize: 0 bytes/workgroup (compile time only)
; SGPRBlocks: 9
; VGPRBlocks: 6
; NumSGPRsForWavesPerEU: 73
; NumVGPRsForWavesPerEU: 51
; AccumOffset: 52
; Occupancy: 8
; WaveLimiterHint : 1
; COMPUTE_PGM_RSRC2:SCRATCH_EN: 0
; COMPUTE_PGM_RSRC2:USER_SGPR: 6
; COMPUTE_PGM_RSRC2:TRAP_HANDLER: 0
; COMPUTE_PGM_RSRC2:TGID_X_EN: 1
; COMPUTE_PGM_RSRC2:TGID_Y_EN: 0
; COMPUTE_PGM_RSRC2:TGID_Z_EN: 0
; COMPUTE_PGM_RSRC2:TIDIG_COMP_CNT: 0
; COMPUTE_PGM_RSRC3_GFX90A:ACCUM_OFFSET: 12
; COMPUTE_PGM_RSRC3_GFX90A:TG_SPLIT: 0
	.section	.text._ZN2at4cuda12_GLOBAL__N_121kernelPointwiseApply2IZNS_6native9templates4cuda28bernoulli_tensor_cuda_kernelIhfEEvRKNS_10TensorBaseES9_NS_15PhiloxCudaStateEEUliRhSB_SB_SB_RKfSD_SD_SD_E_hSC_jLin1ELi2ELi4ELi512ELi2EEEvNS0_6detail10TensorInfoIT0_T2_EENSG_IT1_SI_EESI_T_,"axG",@progbits,_ZN2at4cuda12_GLOBAL__N_121kernelPointwiseApply2IZNS_6native9templates4cuda28bernoulli_tensor_cuda_kernelIhfEEvRKNS_10TensorBaseES9_NS_15PhiloxCudaStateEEUliRhSB_SB_SB_RKfSD_SD_SD_E_hSC_jLin1ELi2ELi4ELi512ELi2EEEvNS0_6detail10TensorInfoIT0_T2_EENSG_IT1_SI_EESI_T_,comdat
	.globl	_ZN2at4cuda12_GLOBAL__N_121kernelPointwiseApply2IZNS_6native9templates4cuda28bernoulli_tensor_cuda_kernelIhfEEvRKNS_10TensorBaseES9_NS_15PhiloxCudaStateEEUliRhSB_SB_SB_RKfSD_SD_SD_E_hSC_jLin1ELi2ELi4ELi512ELi2EEEvNS0_6detail10TensorInfoIT0_T2_EENSG_IT1_SI_EESI_T_ ; -- Begin function _ZN2at4cuda12_GLOBAL__N_121kernelPointwiseApply2IZNS_6native9templates4cuda28bernoulli_tensor_cuda_kernelIhfEEvRKNS_10TensorBaseES9_NS_15PhiloxCudaStateEEUliRhSB_SB_SB_RKfSD_SD_SD_E_hSC_jLin1ELi2ELi4ELi512ELi2EEEvNS0_6detail10TensorInfoIT0_T2_EENSG_IT1_SI_EESI_T_
	.p2align	8
	.type	_ZN2at4cuda12_GLOBAL__N_121kernelPointwiseApply2IZNS_6native9templates4cuda28bernoulli_tensor_cuda_kernelIhfEEvRKNS_10TensorBaseES9_NS_15PhiloxCudaStateEEUliRhSB_SB_SB_RKfSD_SD_SD_E_hSC_jLin1ELi2ELi4ELi512ELi2EEEvNS0_6detail10TensorInfoIT0_T2_EENSG_IT1_SI_EESI_T_,@function
_ZN2at4cuda12_GLOBAL__N_121kernelPointwiseApply2IZNS_6native9templates4cuda28bernoulli_tensor_cuda_kernelIhfEEvRKNS_10TensorBaseES9_NS_15PhiloxCudaStateEEUliRhSB_SB_SB_RKfSD_SD_SD_E_hSC_jLin1ELi2ELi4ELi512ELi2EEEvNS0_6detail10TensorInfoIT0_T2_EENSG_IT1_SI_EESI_T_: ; @_ZN2at4cuda12_GLOBAL__N_121kernelPointwiseApply2IZNS_6native9templates4cuda28bernoulli_tensor_cuda_kernelIhfEEvRKNS_10TensorBaseES9_NS_15PhiloxCudaStateEEUliRhSB_SB_SB_RKfSD_SD_SD_E_hSC_jLin1ELi2ELi4ELi512ELi2EEEvNS0_6detail10TensorInfoIT0_T2_EENSG_IT1_SI_EESI_T_
; %bb.0:
	s_load_dword s2, s[4:5], 0x1e4
	s_load_dword s33, s[4:5], 0x1b0
	s_add_u32 s0, s4, 0x1d8
	s_addc_u32 s1, s5, 0
	s_waitcnt lgkmcnt(0)
	s_and_b32 s2, s2, 0xffff
	s_mul_i32 s6, s6, s2
	v_add_u32_e32 v5, s6, v0
	v_lshlrev_b32_e32 v34, 2, v5
	v_cmp_gt_u32_e32 vcc, s33, v34
	s_and_saveexec_b64 s[6:7], vcc
	s_cbranch_execz .LBB18_73
; %bb.1:
	s_load_dword s56, s[4:5], 0xe4
	s_load_dwordx2 s[6:7], s[4:5], 0x144
	s_load_dword s3, s[0:1], 0x0
	s_load_dwordx2 s[12:13], s[4:5], 0xd8
	;; [unrolled: 2-line block ×3, first 2 shown]
	s_load_dwordx4 s[8:11], s[4:5], 0x1b8
	s_waitcnt lgkmcnt(0)
	v_cvt_f32_u32_e32 v0, s56
	s_mul_i32 s21, s3, s2
	s_load_dword s2, s[4:5], 0x1d0
	s_load_dword s57, s[4:5], 0x6c
	s_cmp_gt_i32 s20, 1
	v_rcp_iflag_f32_e32 v2, v0
	s_mov_b32 s58, 0xcd9e8d57
	s_cselect_b64 s[0:1], -1, 0
	s_waitcnt lgkmcnt(0)
	s_bitcmp1_b32 s2, 0
	v_mul_f32_e32 v2, 0x4f7ffffe, v2
	v_cvt_u32_f32_e32 v2, v2
	v_mad_u64_u32 v[0:1], s[2:3], v5, s58, 0
	s_cselect_b64 s[18:19], -1, 0
	s_sub_i32 s2, 0, s56
	s_mov_b32 s3, 0
	v_mov_b32_e32 v4, v1
	v_mul_lo_u32 v1, s2, v2
	s_add_i32 s2, s20, -1
	s_load_dwordx2 s[16:17], s[4:5], 0x0
	s_lshl_b32 s59, s21, 2
	s_add_i32 s60, s20, 1
	s_lshl_b64 s[2:3], s[2:3], 2
	s_add_u32 s2, s2, s4
	v_mul_hi_u32 v1, v2, v1
	s_addc_u32 s3, s3, s5
	v_add_u32_e32 v1, v2, v1
	s_add_u32 s20, s2, 8
	v_cndmask_b32_e64 v2, 0, 1, s[0:1]
	v_mov_b32_e32 v3, 0
	s_addc_u32 s21, s3, 0
	s_mov_b64 s[22:23], 0
	s_mov_b32 s61, 0xd2511f53
	v_cmp_ne_u32_e64 s[0:1], 1, v2
	s_mov_b32 s62, 0xf1bbcdc8
                                        ; implicit-def: $sgpr24_sgpr25
                                        ; implicit-def: $sgpr26_sgpr27
                                        ; implicit-def: $sgpr28_sgpr29
                                        ; implicit-def: $sgpr4_sgpr5
                                        ; implicit-def: $sgpr30_sgpr31
                                        ; implicit-def: $sgpr34_sgpr35
                                        ; implicit-def: $sgpr36_sgpr37
                                        ; implicit-def: $sgpr38_sgpr39
	s_branch .LBB18_3
.LBB18_2:                               ;   in Loop: Header=BB18_3 Depth=1
	s_or_b64 exec, exec, s[40:41]
	s_and_b64 s[2:3], exec, s[2:3]
	s_or_b64 s[22:23], s[2:3], s[22:23]
	s_andn2_b64 s[2:3], s[4:5], exec
	s_and_b64 s[4:5], s[38:39], exec
	s_or_b64 s[4:5], s[2:3], s[4:5]
	s_andn2_b64 s[2:3], s[28:29], exec
	s_and_b64 s[28:29], s[36:37], exec
	;; [unrolled: 3-line block ×4, first 2 shown]
	s_or_b64 s[24:25], s[2:3], s[24:25]
	s_andn2_b64 exec, exec, s[22:23]
	s_cbranch_execz .LBB18_69
.LBB18_3:                               ; =>This Loop Header: Depth=1
                                        ;     Child Loop BB18_6 Depth 2
                                        ;     Child Loop BB18_13 Depth 2
	;; [unrolled: 1-line block ×4, first 2 shown]
	v_sub_u32_e32 v35, s33, v34
	v_cmp_lt_i32_e64 s[2:3], 0, v35
	v_mov_b32_e32 v6, 0
	s_and_saveexec_b64 s[40:41], s[2:3]
	s_cbranch_execz .LBB18_8
; %bb.4:                                ;   in Loop: Header=BB18_3 Depth=1
	s_and_b64 vcc, exec, s[0:1]
	v_mov_b32_e32 v6, 0
	v_mov_b32_e32 v2, v34
	s_cbranch_vccnz .LBB18_7
; %bb.5:                                ;   in Loop: Header=BB18_3 Depth=1
	v_mov_b32_e32 v6, 0
	s_mov_b64 s[42:43], s[20:21]
	s_mov_b32 s44, s60
	v_mov_b32_e32 v2, v34
.LBB18_6:                               ;   Parent Loop BB18_3 Depth=1
                                        ; =>  This Inner Loop Header: Depth=2
	s_load_dword s45, s[42:43], 0x0
	s_load_dword s46, s[42:43], 0x64
	v_mov_b32_e32 v7, v2
	s_add_i32 s44, s44, -1
	s_waitcnt lgkmcnt(0)
	v_cvt_f32_u32_e32 v2, s45
	s_sub_i32 s47, 0, s45
	s_add_u32 s42, s42, -4
	s_addc_u32 s43, s43, -1
	v_rcp_iflag_f32_e32 v2, v2
	s_cmp_gt_u32 s44, 2
	v_mul_f32_e32 v2, 0x4f7ffffe, v2
	v_cvt_u32_f32_e32 v2, v2
	v_mul_lo_u32 v8, s47, v2
	v_mul_hi_u32 v8, v2, v8
	v_add_u32_e32 v2, v2, v8
	v_mul_hi_u32 v2, v7, v2
	v_mul_lo_u32 v8, v2, s45
	v_sub_u32_e32 v8, v7, v8
	s_waitcnt vmcnt(0)
	v_add_u32_e32 v9, 1, v2
	v_cmp_le_u32_e32 vcc, s45, v8
	v_cndmask_b32_e32 v2, v2, v9, vcc
	v_subrev_u32_e32 v9, s45, v8
	v_cndmask_b32_e32 v8, v8, v9, vcc
	v_add_u32_e32 v9, 1, v2
	v_cmp_le_u32_e32 vcc, s45, v8
	v_cndmask_b32_e32 v2, v2, v9, vcc
	v_mul_lo_u32 v8, v2, s45
	v_sub_u32_e32 v7, v7, v8
	v_mad_u64_u32 v[6:7], s[46:47], s46, v7, v[6:7]
	s_cbranch_scc1 .LBB18_6
.LBB18_7:                               ;   in Loop: Header=BB18_3 Depth=1
	v_mad_u64_u32 v[6:7], s[42:43], s57, v2, v[6:7]
.LBB18_8:                               ;   in Loop: Header=BB18_3 Depth=1
	s_or_b64 exec, exec, s[40:41]
	v_mov_b32_e32 v10, 0
	v_mov_b32_e32 v8, 0
	s_and_saveexec_b64 s[40:41], s[2:3]
	s_cbranch_execz .LBB18_10
; %bb.9:                                ;   in Loop: Header=BB18_3 Depth=1
	v_mul_hi_u32 v2, v34, v1
	v_mul_lo_u32 v7, v2, s56
	v_sub_u32_e32 v7, v34, v7
	v_add_u32_e32 v8, 1, v2
	v_cmp_le_u32_e32 vcc, s56, v7
	v_cndmask_b32_e32 v2, v2, v8, vcc
	v_subrev_u32_e32 v8, s56, v7
	v_cndmask_b32_e32 v7, v7, v8, vcc
	v_add_u32_e32 v8, 1, v2
	v_cmp_le_u32_e32 vcc, s56, v7
	v_cndmask_b32_e32 v7, v2, v8, vcc
	v_mul_lo_u32 v2, v7, s56
	v_sub_u32_e32 v2, v34, v2
	v_mul_lo_u32 v2, v2, s7
	s_waitcnt vmcnt(0)
	v_mad_u64_u32 v[8:9], s[2:3], v7, s6, v[2:3]
.LBB18_10:                              ;   in Loop: Header=BB18_3 Depth=1
	s_or_b64 exec, exec, s[40:41]
	v_or_b32_e32 v7, 1, v34
	v_cmp_lt_i32_e64 s[2:3], 1, v35
	s_and_saveexec_b64 s[40:41], s[2:3]
	s_cbranch_execz .LBB18_15
; %bb.11:                               ;   in Loop: Header=BB18_3 Depth=1
	s_and_b64 vcc, exec, s[0:1]
	v_mov_b32_e32 v10, 0
	v_mov_b32_e32 v2, v7
	s_cbranch_vccnz .LBB18_14
; %bb.12:                               ;   in Loop: Header=BB18_3 Depth=1
	v_mov_b32_e32 v10, 0
	s_mov_b64 s[42:43], s[20:21]
	s_mov_b32 s44, s60
	v_mov_b32_e32 v2, v7
.LBB18_13:                              ;   Parent Loop BB18_3 Depth=1
                                        ; =>  This Inner Loop Header: Depth=2
	s_load_dword s45, s[42:43], 0x0
	s_load_dword s46, s[42:43], 0x64
	s_waitcnt vmcnt(0)
	v_mov_b32_e32 v9, v2
	s_add_i32 s44, s44, -1
	s_waitcnt lgkmcnt(0)
	v_cvt_f32_u32_e32 v2, s45
	s_sub_i32 s47, 0, s45
	s_add_u32 s42, s42, -4
	s_addc_u32 s43, s43, -1
	v_rcp_iflag_f32_e32 v2, v2
	s_cmp_gt_u32 s44, 2
	v_mul_f32_e32 v2, 0x4f7ffffe, v2
	v_cvt_u32_f32_e32 v2, v2
	v_mul_lo_u32 v11, s47, v2
	v_mul_hi_u32 v11, v2, v11
	v_add_u32_e32 v2, v2, v11
	v_mul_hi_u32 v2, v9, v2
	v_mul_lo_u32 v11, v2, s45
	v_sub_u32_e32 v11, v9, v11
	v_add_u32_e32 v12, 1, v2
	v_cmp_le_u32_e32 vcc, s45, v11
	v_cndmask_b32_e32 v2, v2, v12, vcc
	v_subrev_u32_e32 v12, s45, v11
	v_cndmask_b32_e32 v11, v11, v12, vcc
	v_add_u32_e32 v12, 1, v2
	v_cmp_le_u32_e32 vcc, s45, v11
	v_cndmask_b32_e32 v2, v2, v12, vcc
	v_mul_lo_u32 v11, v2, s45
	v_sub_u32_e32 v9, v9, v11
	v_mad_u64_u32 v[10:11], s[46:47], s46, v9, v[10:11]
	s_cbranch_scc1 .LBB18_13
.LBB18_14:                              ;   in Loop: Header=BB18_3 Depth=1
	v_mad_u64_u32 v[10:11], s[42:43], s57, v2, v[10:11]
.LBB18_15:                              ;   in Loop: Header=BB18_3 Depth=1
	s_or_b64 exec, exec, s[40:41]
	v_mov_b32_e32 v2, 0
	s_and_saveexec_b64 s[40:41], s[2:3]
	s_cbranch_execz .LBB18_17
; %bb.16:                               ;   in Loop: Header=BB18_3 Depth=1
	v_mul_hi_u32 v2, v7, v1
	s_waitcnt vmcnt(0)
	v_mul_lo_u32 v9, v2, s56
	v_sub_u32_e32 v9, v7, v9
	v_add_u32_e32 v11, 1, v2
	v_cmp_le_u32_e32 vcc, s56, v9
	v_cndmask_b32_e32 v2, v2, v11, vcc
	v_subrev_u32_e32 v11, s56, v9
	v_cndmask_b32_e32 v9, v9, v11, vcc
	v_add_u32_e32 v11, 1, v2
	v_cmp_le_u32_e32 vcc, s56, v9
	v_cndmask_b32_e32 v9, v2, v11, vcc
	v_mul_lo_u32 v2, v9, s56
	v_sub_u32_e32 v2, v7, v2
	v_mul_lo_u32 v2, v2, s7
	v_mad_u64_u32 v[12:13], s[2:3], v9, s6, v[2:3]
	v_mov_b32_e32 v2, v12
.LBB18_17:                              ;   in Loop: Header=BB18_3 Depth=1
	s_or_b64 exec, exec, s[40:41]
	v_or_b32_e32 v7, 2, v34
	v_cmp_lt_i32_e64 s[2:3], 2, v35
	v_pk_mov_b32 v[12:13], 0, 0
	s_and_saveexec_b64 s[40:41], s[2:3]
	s_cbranch_execz .LBB18_22
; %bb.18:                               ;   in Loop: Header=BB18_3 Depth=1
	s_and_b64 vcc, exec, s[0:1]
	v_mov_b32_e32 v12, 0
	s_waitcnt vmcnt(0)
	v_mov_b32_e32 v9, v7
	s_cbranch_vccnz .LBB18_21
; %bb.19:                               ;   in Loop: Header=BB18_3 Depth=1
	v_mov_b32_e32 v12, 0
	s_mov_b64 s[42:43], s[20:21]
	s_mov_b32 s44, s60
	v_mov_b32_e32 v9, v7
.LBB18_20:                              ;   Parent Loop BB18_3 Depth=1
                                        ; =>  This Inner Loop Header: Depth=2
	s_load_dword s45, s[42:43], 0x0
	s_load_dword s46, s[42:43], 0x64
	v_mov_b32_e32 v11, v9
	s_add_i32 s44, s44, -1
	s_waitcnt lgkmcnt(0)
	v_cvt_f32_u32_e32 v9, s45
	s_sub_i32 s47, 0, s45
	s_add_u32 s42, s42, -4
	s_addc_u32 s43, s43, -1
	v_rcp_iflag_f32_e32 v9, v9
	s_cmp_gt_u32 s44, 2
	v_mul_f32_e32 v9, 0x4f7ffffe, v9
	v_cvt_u32_f32_e32 v9, v9
	v_mul_lo_u32 v13, s47, v9
	v_mul_hi_u32 v13, v9, v13
	v_add_u32_e32 v9, v9, v13
	v_mul_hi_u32 v9, v11, v9
	v_mul_lo_u32 v13, v9, s45
	v_sub_u32_e32 v13, v11, v13
	v_add_u32_e32 v14, 1, v9
	v_cmp_le_u32_e32 vcc, s45, v13
	v_cndmask_b32_e32 v9, v9, v14, vcc
	v_subrev_u32_e32 v14, s45, v13
	v_cndmask_b32_e32 v13, v13, v14, vcc
	v_add_u32_e32 v14, 1, v9
	v_cmp_le_u32_e32 vcc, s45, v13
	v_cndmask_b32_e32 v9, v9, v14, vcc
	v_mul_lo_u32 v13, v9, s45
	v_sub_u32_e32 v11, v11, v13
	v_mad_u64_u32 v[12:13], s[46:47], s46, v11, v[12:13]
	s_cbranch_scc1 .LBB18_20
.LBB18_21:                              ;   in Loop: Header=BB18_3 Depth=1
	v_mad_u64_u32 v[12:13], s[42:43], s57, v9, v[12:13]
	v_mov_b32_e32 v13, v3
.LBB18_22:                              ;   in Loop: Header=BB18_3 Depth=1
	s_or_b64 exec, exec, s[40:41]
	v_pk_mov_b32 v[18:19], 0, 0
	v_pk_mov_b32 v[14:15], v[18:19], v[18:19] op_sel:[0,1]
	s_and_saveexec_b64 s[40:41], s[2:3]
	s_cbranch_execz .LBB18_24
; %bb.23:                               ;   in Loop: Header=BB18_3 Depth=1
	s_waitcnt vmcnt(0)
	v_mul_hi_u32 v9, v7, v1
	v_mul_lo_u32 v11, v9, s56
	v_sub_u32_e32 v11, v7, v11
	v_add_u32_e32 v14, 1, v9
	v_cmp_le_u32_e32 vcc, s56, v11
	v_cndmask_b32_e32 v9, v9, v14, vcc
	v_subrev_u32_e32 v14, s56, v11
	v_cndmask_b32_e32 v11, v11, v14, vcc
	v_add_u32_e32 v14, 1, v9
	v_cmp_le_u32_e32 vcc, s56, v11
	v_cndmask_b32_e32 v9, v9, v14, vcc
	v_mul_lo_u32 v11, v9, s56
	v_sub_u32_e32 v7, v7, v11
	v_mul_lo_u32 v14, v7, s7
	v_mad_u64_u32 v[14:15], s[2:3], v9, s6, v[14:15]
	v_mov_b32_e32 v15, v3
.LBB18_24:                              ;   in Loop: Header=BB18_3 Depth=1
	s_or_b64 exec, exec, s[40:41]
	v_or_b32_e32 v7, 3, v34
	v_cmp_lt_i32_e64 s[2:3], 3, v35
	s_and_saveexec_b64 s[40:41], s[2:3]
	s_cbranch_execz .LBB18_29
; %bb.25:                               ;   in Loop: Header=BB18_3 Depth=1
	s_and_b64 vcc, exec, s[0:1]
	v_mov_b32_e32 v16, 0
	s_waitcnt vmcnt(0)
	v_mov_b32_e32 v9, v7
	s_cbranch_vccnz .LBB18_28
; %bb.26:                               ;   in Loop: Header=BB18_3 Depth=1
	v_mov_b32_e32 v16, 0
	s_mov_b64 s[42:43], s[20:21]
	s_mov_b32 s44, s60
	v_mov_b32_e32 v9, v7
.LBB18_27:                              ;   Parent Loop BB18_3 Depth=1
                                        ; =>  This Inner Loop Header: Depth=2
	s_load_dword s45, s[42:43], 0x0
	s_load_dword s46, s[42:43], 0x64
	v_mov_b32_e32 v11, v9
	s_add_i32 s44, s44, -1
	s_waitcnt lgkmcnt(0)
	v_cvt_f32_u32_e32 v9, s45
	s_sub_i32 s47, 0, s45
	s_add_u32 s42, s42, -4
	s_addc_u32 s43, s43, -1
	v_rcp_iflag_f32_e32 v9, v9
	s_cmp_gt_u32 s44, 2
	v_mul_f32_e32 v9, 0x4f7ffffe, v9
	v_cvt_u32_f32_e32 v9, v9
	v_mul_lo_u32 v17, s47, v9
	v_mul_hi_u32 v17, v9, v17
	v_add_u32_e32 v9, v9, v17
	v_mul_hi_u32 v9, v11, v9
	v_mul_lo_u32 v17, v9, s45
	v_sub_u32_e32 v17, v11, v17
	v_add_u32_e32 v18, 1, v9
	v_cmp_le_u32_e32 vcc, s45, v17
	v_cndmask_b32_e32 v9, v9, v18, vcc
	v_subrev_u32_e32 v18, s45, v17
	v_cndmask_b32_e32 v17, v17, v18, vcc
	v_add_u32_e32 v18, 1, v9
	v_cmp_le_u32_e32 vcc, s45, v17
	v_cndmask_b32_e32 v9, v9, v18, vcc
	v_mul_lo_u32 v17, v9, s45
	v_sub_u32_e32 v11, v11, v17
	v_mad_u64_u32 v[16:17], s[46:47], s46, v11, v[16:17]
	s_cbranch_scc1 .LBB18_27
.LBB18_28:                              ;   in Loop: Header=BB18_3 Depth=1
	v_mad_u64_u32 v[18:19], s[42:43], s57, v9, v[16:17]
	v_mov_b32_e32 v19, v3
.LBB18_29:                              ;   in Loop: Header=BB18_3 Depth=1
	s_or_b64 exec, exec, s[40:41]
	v_pk_mov_b32 v[16:17], 0, 0
	s_and_saveexec_b64 s[40:41], s[2:3]
	s_cbranch_execz .LBB18_31
; %bb.30:                               ;   in Loop: Header=BB18_3 Depth=1
	s_waitcnt vmcnt(0)
	v_mul_hi_u32 v9, v7, v1
	v_mul_lo_u32 v11, v9, s56
	v_sub_u32_e32 v11, v7, v11
	v_add_u32_e32 v16, 1, v9
	v_cmp_le_u32_e32 vcc, s56, v11
	v_cndmask_b32_e32 v9, v9, v16, vcc
	v_subrev_u32_e32 v16, s56, v11
	v_cndmask_b32_e32 v11, v11, v16, vcc
	v_add_u32_e32 v16, 1, v9
	v_cmp_le_u32_e32 vcc, s56, v11
	v_cndmask_b32_e32 v9, v9, v16, vcc
	v_mul_lo_u32 v11, v9, s56
	v_sub_u32_e32 v7, v7, v11
	v_mul_lo_u32 v16, v7, s7
	v_mad_u64_u32 v[16:17], s[2:3], v9, s6, v[16:17]
	v_mov_b32_e32 v17, v3
.LBB18_31:                              ;   in Loop: Header=BB18_3 Depth=1
	s_or_b64 exec, exec, s[40:41]
	v_lshlrev_b64 v[16:17], 2, v[16:17]
	v_mov_b32_e32 v7, s13
	v_add_co_u32_e32 v16, vcc, s12, v16
	v_addc_co_u32_e32 v17, vcc, v7, v17, vcc
	global_load_dword v9, v[16:17], off
	s_andn2_b64 vcc, exec, s[18:19]
	v_pk_mov_b32 v[16:17], s[10:11], s[10:11] op_sel:[0,1]
	v_pk_mov_b32 v[20:21], s[8:9], s[8:9] op_sel:[0,1]
	s_cbranch_vccnz .LBB18_33
; %bb.32:                               ;   in Loop: Header=BB18_3 Depth=1
	v_pk_mov_b32 v[16:17], s[10:11], s[10:11] op_sel:[0,1]
	flat_load_dwordx2 v[16:17], v[16:17]
	v_pk_mov_b32 v[20:21], s[8:9], s[8:9] op_sel:[0,1]
	flat_load_dwordx2 v[20:21], v[20:21]
	v_mov_b32_e32 v7, s15
	s_waitcnt vmcnt(0) lgkmcnt(0)
	v_add_co_u32_e32 v16, vcc, s14, v16
	v_addc_co_u32_e32 v17, vcc, v17, v7, vcc
.LBB18_33:                              ;   in Loop: Header=BB18_3 Depth=1
	v_alignbit_b32 v7, v17, v16, 2
	v_lshrrev_b32_e32 v30, 2, v17
	v_xor_b32_e32 v22, v4, v20
	v_and_b32_e32 v11, 3, v16
	v_mad_u64_u32 v[16:17], s[2:3], v7, s61, 0
	v_xor_b32_e32 v22, v22, v30
	v_xor_b32_e32 v17, v17, v21
	v_add_u32_e32 v40, 0xbb67ae85, v21
	v_mad_u64_u32 v[22:23], s[2:3], v22, s61, 0
	v_mad_u64_u32 v[24:25], s[2:3], v17, s58, 0
	v_xor_b32_e32 v23, v40, v23
	v_add_u32_e32 v39, 0x9e3779b9, v20
	v_xor_b32_e32 v17, v0, v25
	v_xor_b32_e32 v23, v23, v16
	v_xor_b32_e32 v17, v17, v39
	v_add_u32_e32 v41, 0x3c6ef372, v20
	v_mad_u64_u32 v[26:27], s[2:3], v23, s58, 0
	v_add_u32_e32 v42, 0x76cf5d0a, v21
	v_mad_u64_u32 v[16:17], s[2:3], v17, s61, 0
	v_xor_b32_e32 v23, v41, v27
	v_xor_b32_e32 v23, v23, v24
	v_xor_b32_e32 v17, v42, v17
	v_xor_b32_e32 v17, v17, v22
	v_add_u32_e32 v44, 0x32370b8f, v21
	v_mad_u64_u32 v[22:23], s[2:3], v23, s61, 0
	v_add_u32_e32 v43, 0xdaa66d2b, v20
	v_mad_u64_u32 v[24:25], s[2:3], v17, s58, 0
	v_xor_b32_e32 v23, v44, v23
	v_xor_b32_e32 v17, v43, v25
	v_xor_b32_e32 v23, v23, v16
	v_xor_b32_e32 v17, v17, v26
	v_add_u32_e32 v45, 0x78dde6e4, v20
	v_mad_u64_u32 v[26:27], s[2:3], v23, s58, 0
	v_add_u32_e32 v46, 0xed9eba14, v21
	v_mad_u64_u32 v[16:17], s[2:3], v17, s61, 0
	v_xor_b32_e32 v23, v45, v27
	v_xor_b32_e32 v23, v23, v24
	v_xor_b32_e32 v17, v46, v17
	v_xor_b32_e32 v17, v17, v22
	v_add_u32_e32 v48, 0xa9066899, v21
	v_mad_u64_u32 v[22:23], s[2:3], v23, s61, 0
	v_add_u32_e32 v47, 0x1715609d, v20
	v_mad_u64_u32 v[24:25], s[2:3], v17, s58, 0
	v_xor_b32_e32 v23, v48, v23
	v_xor_b32_e32 v17, v47, v25
	v_xor_b32_e32 v23, v23, v16
	v_xor_b32_e32 v17, v17, v26
	v_add_u32_e32 v49, 0xb54cda56, v20
	v_mad_u64_u32 v[26:27], s[2:3], v23, s58, 0
	v_add_u32_e32 v50, 0x646e171e, v21
	v_mad_u64_u32 v[16:17], s[2:3], v17, s61, 0
	v_xor_b32_e32 v23, v49, v27
	v_xor_b32_e32 v23, v23, v24
	v_xor_b32_e32 v17, v50, v17
	;; [unrolled: 1-line block ×3, first 2 shown]
	v_add_u32_e32 v52, 0x1fd5c5a3, v21
	v_mad_u64_u32 v[22:23], s[2:3], v23, s61, 0
	v_xor_b32_e32 v23, v52, v23
	v_xor_b32_e32 v16, v23, v16
	v_add_u32_e32 v51, 0x5384540f, v20
	v_mad_u64_u32 v[28:29], s[2:3], v17, s58, 0
	v_add_co_u32_e32 v37, vcc, s62, v20
	v_mad_u64_u32 v[24:25], s[2:3], v16, s58, 0
	v_xor_b32_e32 v17, v51, v29
	v_xor_b32_e32 v16, v37, v25
	;; [unrolled: 1-line block ×4, first 2 shown]
	v_mad_u64_u32 v[26:27], s[2:3], v17, s61, 0
	v_mad_u64_u32 v[16:17], s[2:3], v16, s61, 0
	v_add_u32_e32 v38, 0x96a522ad, v21
	v_xor_b32_e32 v17, v17, v26
	v_add_co_u32_e32 v7, vcc, 1, v7
	v_xor_b32_e32 v36, v38, v17
	v_cndmask_b32_e64 v17, 0, 1, vcc
	v_addc_co_u32_e32 v26, vcc, 0, v30, vcc
	v_cmp_eq_u32_e32 vcc, 0, v26
	v_cndmask_b32_e32 v17, 0, v17, vcc
	v_add_u32_e32 v30, v17, v5
	v_cmp_eq_u32_e32 vcc, 0, v30
	v_mad_u64_u32 v[28:29], s[2:3], v7, s61, 0
	v_mad_u64_u32 v[30:31], s[2:3], v30, s58, 0
	v_add_u32_e32 v25, 0x8ff34781, v20
	v_cndmask_b32_e32 v17, 0, v17, vcc
	v_xor_b32_e32 v7, v31, v20
	v_xor_b32_e32 v20, v29, v21
	;; [unrolled: 1-line block ×4, first 2 shown]
	v_mad_u64_u32 v[32:33], s[2:3], v17, s58, 0
	v_add_u32_e32 v23, 0xdb3d7428, v21
	v_mad_u64_u32 v[20:21], s[2:3], v7, s61, 0
	v_xor_b32_e32 v7, v39, v33
	v_xor_b32_e32 v7, v7, v30
	v_xor_b32_e32 v17, v40, v21
	v_xor_b32_e32 v17, v17, v28
	v_mad_u64_u32 v[28:29], s[2:3], v7, s61, 0
	v_mad_u64_u32 v[30:31], s[2:3], v17, s58, 0
	v_xor_b32_e32 v17, v42, v29
	v_xor_b32_e32 v7, v41, v31
	v_xor_b32_e32 v17, v17, v20
	v_xor_b32_e32 v7, v7, v32
	v_mad_u64_u32 v[32:33], s[2:3], v17, s58, 0
	v_mad_u64_u32 v[20:21], s[2:3], v7, s61, 0
	v_xor_b32_e32 v7, v43, v33
	v_xor_b32_e32 v7, v7, v30
	v_xor_b32_e32 v17, v44, v21
	v_xor_b32_e32 v17, v17, v28
	v_mad_u64_u32 v[28:29], s[2:3], v7, s61, 0
	v_mad_u64_u32 v[30:31], s[2:3], v17, s58, 0
	v_xor_b32_e32 v17, v46, v29
	v_xor_b32_e32 v7, v45, v31
	v_xor_b32_e32 v17, v17, v20
	v_xor_b32_e32 v7, v7, v32
	v_mad_u64_u32 v[32:33], s[2:3], v17, s58, 0
	v_mad_u64_u32 v[20:21], s[2:3], v7, s61, 0
	v_xor_b32_e32 v7, v47, v33
	v_xor_b32_e32 v7, v7, v30
	v_xor_b32_e32 v17, v48, v21
	v_xor_b32_e32 v17, v17, v28
	v_mad_u64_u32 v[30:31], s[2:3], v7, s61, 0
	v_mad_u64_u32 v[40:41], s[2:3], v17, s58, 0
	v_xor_b32_e32 v17, v50, v31
	v_xor_b32_e32 v7, v49, v41
	v_xor_b32_e32 v17, v17, v20
	v_xor_b32_e32 v7, v7, v32
	v_mad_u64_u32 v[28:29], s[2:3], v17, s58, 0
	v_mad_u64_u32 v[20:21], s[2:3], v7, s61, 0
	v_xor_b32_e32 v7, v51, v29
	v_xor_b32_e32 v7, v7, v40
	v_xor_b32_e32 v17, v52, v21
	v_xor_b32_e32 v17, v17, v30
	v_mad_u64_u32 v[30:31], s[2:3], v7, s61, 0
	v_xor_b32_e32 v7, v23, v31
	v_xor_b32_e32 v7, v7, v20
	v_mad_u64_u32 v[32:33], s[2:3], v17, s58, 0
	v_mad_u64_u32 v[20:21], s[2:3], v7, s58, 0
	v_xor_b32_e32 v7, v21, v32
	v_xor_b32_e32 v7, v25, v7
	v_cmp_lt_i32_e32 vcc, 1, v11
                                        ; implicit-def: $vgpr17
	s_and_saveexec_b64 s[2:3], vcc
	s_xor_b64 s[2:3], exec, s[2:3]
	s_cbranch_execz .LBB18_39
; %bb.34:                               ;   in Loop: Header=BB18_3 Depth=1
	v_cmp_lt_i32_e32 vcc, 2, v11
                                        ; implicit-def: $vgpr17
	s_and_saveexec_b64 s[40:41], vcc
	s_xor_b64 s[40:41], exec, s[40:41]
; %bb.35:                               ;   in Loop: Header=BB18_3 Depth=1
	v_xor_b32_e32 v11, v37, v33
	v_xor_b32_e32 v11, v11, v28
	v_mul_hi_u32 v11, v11, s61
	v_xor_b32_e32 v11, v11, v30
	v_xor_b32_e32 v17, v38, v11
                                        ; implicit-def: $vgpr36
; %bb.36:                               ;   in Loop: Header=BB18_3 Depth=1
	s_andn2_saveexec_b64 s[40:41], s[40:41]
; %bb.37:                               ;   in Loop: Header=BB18_3 Depth=1
	v_mov_b32_e32 v17, v20
	v_mov_b32_e32 v20, v7
	;; [unrolled: 1-line block ×4, first 2 shown]
; %bb.38:                               ;   in Loop: Header=BB18_3 Depth=1
	s_or_b64 exec, exec, s[40:41]
                                        ; implicit-def: $vgpr22_vgpr23
                                        ; implicit-def: $vgpr24_vgpr25
                                        ; implicit-def: $vgpr11
                                        ; implicit-def: $vgpr36
                                        ; implicit-def: $vgpr26_vgpr27
                                        ; implicit-def: $vgpr23
                                        ; implicit-def: $vgpr25
.LBB18_39:                              ;   in Loop: Header=BB18_3 Depth=1
	s_andn2_saveexec_b64 s[2:3], s[2:3]
	s_cbranch_execz .LBB18_43
; %bb.40:                               ;   in Loop: Header=BB18_3 Depth=1
	v_xor_b32_e32 v17, v23, v27
	v_xor_b32_e32 v17, v17, v22
	v_mad_u64_u32 v[22:23], s[40:41], v17, s58, 0
	v_xor_b32_e32 v17, v23, v24
	v_xor_b32_e32 v21, v25, v17
	v_cmp_eq_u32_e32 vcc, 1, v11
	v_mov_b32_e32 v17, v16
	v_mov_b32_e32 v20, v36
	;; [unrolled: 1-line block ×3, first 2 shown]
	s_and_saveexec_b64 s[40:41], vcc
; %bb.41:                               ;   in Loop: Header=BB18_3 Depth=1
	v_mov_b32_e32 v17, v7
	v_mov_b32_e32 v20, v16
	v_mov_b32_e32 v11, v36
	v_mov_b32_e32 v21, v22
; %bb.42:                               ;   in Loop: Header=BB18_3 Depth=1
	s_or_b64 exec, exec, s[40:41]
	v_mov_b32_e32 v16, v21
	v_mov_b32_e32 v7, v11
.LBB18_43:                              ;   in Loop: Header=BB18_3 Depth=1
	s_or_b64 exec, exec, s[2:3]
	v_min_i32_e32 v11, 4, v35
	v_cmp_lt_i32_e32 vcc, 2, v11
	s_mov_b64 s[40:41], 0
	s_mov_b64 s[52:53], 0
	;; [unrolled: 1-line block ×3, first 2 shown]
                                        ; implicit-def: $sgpr44_sgpr45
                                        ; implicit-def: $sgpr46_sgpr47
                                        ; implicit-def: $sgpr48_sgpr49
	s_and_saveexec_b64 s[2:3], vcc
	s_xor_b64 s[50:51], exec, s[2:3]
	s_cbranch_execz .LBB18_55
; %bb.44:                               ;   in Loop: Header=BB18_3 Depth=1
	v_cmp_lt_i32_e32 vcc, 3, v11
	s_mov_b64 s[2:3], -1
	s_mov_b64 s[54:55], 0
                                        ; implicit-def: $sgpr42_sgpr43
                                        ; implicit-def: $sgpr44_sgpr45
	s_and_saveexec_b64 s[46:47], vcc
	s_cbranch_execz .LBB18_50
; %bb.45:                               ;   in Loop: Header=BB18_3 Depth=1
	v_cmp_eq_u32_e32 vcc, 4, v11
	s_mov_b64 s[2:3], 0
	s_mov_b64 s[54:55], -1
                                        ; implicit-def: $sgpr42_sgpr43
                                        ; implicit-def: $sgpr44_sgpr45
	s_and_saveexec_b64 s[48:49], vcc
	s_cbranch_execz .LBB18_49
; %bb.46:                               ;   in Loop: Header=BB18_3 Depth=1
	s_waitcnt vmcnt(0)
	v_cmp_le_f32_e32 vcc, 0, v9
	v_cmp_ge_f32_e64 s[2:3], 1.0, v9
	s_and_b64 s[54:55], vcc, s[2:3]
	s_mov_b64 s[42:43], 0
	s_mov_b64 s[2:3], 0
	s_and_saveexec_b64 s[44:45], s[54:55]
	s_cbranch_execz .LBB18_48
; %bb.47:                               ;   in Loop: Header=BB18_3 Depth=1
	v_cvt_f32_u32_e32 v17, v17
	v_mov_b32_e32 v21, 0x2f800000
	s_waitcnt lgkmcnt(0)
	v_mov_b32_e32 v22, s17
	v_add_co_u32_e32 v18, vcc, s16, v18
	v_fmac_f32_e32 v21, 0x2f800000, v17
	v_addc_co_u32_e32 v19, vcc, v22, v19, vcc
	v_cmp_le_f32_e32 vcc, v21, v9
	s_mov_b64 s[2:3], exec
	v_cndmask_b32_e64 v9, 0, 1, vcc
	global_store_byte v[18:19], v9, off
.LBB18_48:                              ;   in Loop: Header=BB18_3 Depth=1
	s_or_b64 exec, exec, s[44:45]
	s_mov_b64 s[44:45], -1
	s_xor_b64 s[54:55], exec, -1
	s_and_b64 s[2:3], s[2:3], exec
.LBB18_49:                              ;   in Loop: Header=BB18_3 Depth=1
	s_or_b64 exec, exec, s[48:49]
	s_and_b64 s[54:55], s[54:55], exec
	s_orn2_b64 s[2:3], s[2:3], exec
.LBB18_50:                              ;   in Loop: Header=BB18_3 Depth=1
	s_or_b64 exec, exec, s[46:47]
	s_mov_b64 s[48:49], s[42:43]
	s_and_saveexec_b64 s[46:47], s[2:3]
	s_cbranch_execz .LBB18_54
; %bb.51:                               ;   in Loop: Header=BB18_3 Depth=1
	v_lshlrev_b64 v[14:15], 2, v[14:15]
	s_waitcnt vmcnt(0)
	v_mov_b32_e32 v9, s13
	v_add_co_u32_e32 v14, vcc, s12, v14
	v_addc_co_u32_e32 v15, vcc, v9, v15, vcc
	global_load_dword v9, v[14:15], off
	s_waitcnt vmcnt(0)
	v_cmp_le_f32_e32 vcc, 0, v9
	v_cmp_ge_f32_e64 s[2:3], 1.0, v9
	s_and_b64 s[48:49], vcc, s[2:3]
	s_mov_b64 s[2:3], 0
	s_and_saveexec_b64 s[52:53], s[48:49]
	s_xor_b64 s[48:49], exec, s[52:53]
	s_cbranch_execz .LBB18_53
; %bb.52:                               ;   in Loop: Header=BB18_3 Depth=1
	v_cvt_f32_u32_e32 v14, v20
	v_mov_b32_e32 v15, 0x2f800000
	s_waitcnt lgkmcnt(0)
	v_mov_b32_e32 v17, s17
	v_add_co_u32_e32 v12, vcc, s16, v12
	v_fmac_f32_e32 v15, 0x2f800000, v14
	v_addc_co_u32_e32 v13, vcc, v17, v13, vcc
	v_cmp_le_f32_e32 vcc, v15, v9
	v_cndmask_b32_e64 v9, 0, 1, vcc
	s_mov_b64 s[2:3], exec
	global_store_byte v[12:13], v9, off
.LBB18_53:                              ;   in Loop: Header=BB18_3 Depth=1
	s_or_b64 exec, exec, s[48:49]
	s_andn2_b64 s[48:49], s[42:43], exec
	s_or_b64 s[42:43], s[42:43], exec
	s_andn2_b64 s[44:45], s[44:45], exec
	s_and_b64 s[52:53], s[2:3], exec
.LBB18_54:                              ;   in Loop: Header=BB18_3 Depth=1
	s_or_b64 exec, exec, s[46:47]
	s_and_b64 s[48:49], s[48:49], exec
	s_and_b64 s[46:47], s[42:43], exec
	;; [unrolled: 1-line block ×5, first 2 shown]
.LBB18_55:                              ;   in Loop: Header=BB18_3 Depth=1
	s_andn2_saveexec_b64 s[2:3], s[50:51]
; %bb.56:                               ;   in Loop: Header=BB18_3 Depth=1
	v_cmp_lt_i32_e32 vcc, 1, v11
	s_andn2_b64 s[50:51], s[52:53], exec
	s_and_b64 s[52:53], vcc, exec
	s_mov_b64 s[40:41], exec
	s_andn2_b64 s[48:49], s[48:49], exec
	s_andn2_b64 s[46:47], s[46:47], exec
	;; [unrolled: 1-line block ×3, first 2 shown]
	s_or_b64 s[52:53], s[50:51], s[52:53]
; %bb.57:                               ;   in Loop: Header=BB18_3 Depth=1
	s_or_b64 exec, exec, s[2:3]
	s_mov_b64 s[2:3], 0
	s_mov_b64 s[50:51], s[48:49]
	s_and_saveexec_b64 s[54:55], s[52:53]
	s_cbranch_execnz .LBB18_60
; %bb.58:                               ;   in Loop: Header=BB18_3 Depth=1
	s_or_b64 exec, exec, s[54:55]
	s_and_saveexec_b64 s[52:53], s[40:41]
	s_cbranch_execnz .LBB18_63
.LBB18_59:                              ;   in Loop: Header=BB18_3 Depth=1
	s_or_b64 exec, exec, s[52:53]
	s_and_saveexec_b64 s[40:41], s[2:3]
	s_cbranch_execnz .LBB18_64
	s_branch .LBB18_67
.LBB18_60:                              ;   in Loop: Header=BB18_3 Depth=1
	v_lshlrev_b64 v[12:13], 2, v[2:3]
	v_mov_b32_e32 v2, s13
	v_add_co_u32_e32 v12, vcc, s12, v12
	v_addc_co_u32_e32 v13, vcc, v2, v13, vcc
	global_load_dword v2, v[12:13], off
	s_waitcnt vmcnt(0)
	v_cmp_le_f32_e32 vcc, 0, v2
	v_cmp_ge_f32_e64 s[2:3], 1.0, v2
	s_and_b64 s[50:51], vcc, s[2:3]
	s_mov_b64 s[2:3], 0
	s_and_saveexec_b64 s[52:53], s[50:51]
	s_xor_b64 s[50:51], exec, s[52:53]
	s_cbranch_execz .LBB18_62
; %bb.61:                               ;   in Loop: Header=BB18_3 Depth=1
	v_cvt_f32_u32_e32 v7, v7
	v_mov_b32_e32 v9, 0x2f800000
	s_mov_b64 s[2:3], exec
	v_fmac_f32_e32 v9, 0x2f800000, v7
	v_cmp_le_f32_e32 vcc, v9, v2
	v_cndmask_b32_e64 v2, 0, 1, vcc
	s_waitcnt lgkmcnt(0)
	global_store_byte v10, v2, s[16:17]
.LBB18_62:                              ;   in Loop: Header=BB18_3 Depth=1
	s_or_b64 exec, exec, s[50:51]
	s_andn2_b64 s[50:51], s[48:49], exec
	s_or_b64 s[48:49], s[48:49], exec
	s_andn2_b64 s[46:47], s[46:47], exec
	s_andn2_b64 s[44:45], s[44:45], exec
	s_and_b64 s[2:3], s[2:3], exec
	s_andn2_b64 s[40:41], s[40:41], exec
	s_or_b64 exec, exec, s[54:55]
	s_and_saveexec_b64 s[52:53], s[40:41]
	s_cbranch_execz .LBB18_59
.LBB18_63:                              ;   in Loop: Header=BB18_3 Depth=1
	v_cmp_eq_u32_e32 vcc, 1, v11
	s_andn2_b64 s[2:3], s[2:3], exec
	s_and_b64 s[40:41], vcc, exec
	s_andn2_b64 s[50:51], s[50:51], exec
	s_andn2_b64 s[48:49], s[48:49], exec
	;; [unrolled: 1-line block ×4, first 2 shown]
	s_or_b64 s[42:43], s[42:43], exec
	s_or_b64 s[2:3], s[2:3], s[40:41]
	s_or_b64 exec, exec, s[52:53]
	s_and_saveexec_b64 s[40:41], s[2:3]
	s_cbranch_execz .LBB18_67
.LBB18_64:                              ;   in Loop: Header=BB18_3 Depth=1
	s_waitcnt vmcnt(0)
	v_mov_b32_e32 v9, v3
	v_lshlrev_b64 v[8:9], 2, v[8:9]
	v_mov_b32_e32 v2, s13
	v_add_co_u32_e32 v8, vcc, s12, v8
	v_addc_co_u32_e32 v9, vcc, v2, v9, vcc
	global_load_dword v2, v[8:9], off
	s_waitcnt vmcnt(0)
	v_cmp_le_f32_e32 vcc, 0, v2
	v_cmp_ge_f32_e64 s[2:3], 1.0, v2
	s_and_b64 s[54:55], vcc, s[2:3]
	s_mov_b64 s[2:3], 0
	s_and_saveexec_b64 s[52:53], s[54:55]
	s_cbranch_execz .LBB18_66
; %bb.65:                               ;   in Loop: Header=BB18_3 Depth=1
	v_cvt_f32_u32_e32 v7, v16
	v_mov_b32_e32 v8, 0x2f800000
	s_mov_b64 s[2:3], exec
	v_fmac_f32_e32 v8, 0x2f800000, v7
	v_cmp_le_f32_e32 vcc, v8, v2
	v_cndmask_b32_e64 v2, 0, 1, vcc
	s_waitcnt lgkmcnt(0)
	global_store_byte v6, v2, s[16:17]
.LBB18_66:                              ;   in Loop: Header=BB18_3 Depth=1
	s_or_b64 exec, exec, s[52:53]
	s_andn2_b64 s[42:43], s[42:43], exec
	s_and_b64 s[2:3], s[2:3], exec
	s_or_b64 s[50:51], s[50:51], exec
	s_andn2_b64 s[48:49], s[48:49], exec
	s_andn2_b64 s[46:47], s[46:47], exec
	;; [unrolled: 1-line block ×3, first 2 shown]
	s_or_b64 s[42:43], s[42:43], s[2:3]
.LBB18_67:                              ;   in Loop: Header=BB18_3 Depth=1
	s_or_b64 exec, exec, s[40:41]
	s_andn2_b64 s[38:39], s[38:39], exec
	s_and_b64 s[40:41], s[50:51], exec
	s_or_b64 s[38:39], s[38:39], s[40:41]
	s_andn2_b64 s[36:37], s[36:37], exec
	s_and_b64 s[40:41], s[48:49], exec
	s_or_b64 s[36:37], s[36:37], s[40:41]
	;; [unrolled: 3-line block ×3, first 2 shown]
	s_andn2_b64 s[30:31], s[30:31], exec
	s_and_b64 s[40:41], s[44:45], exec
	s_mov_b64 s[2:3], -1
	s_or_b64 s[30:31], s[30:31], s[40:41]
	s_and_saveexec_b64 s[40:41], s[42:43]
	s_cbranch_execz .LBB18_2
; %bb.68:                               ;   in Loop: Header=BB18_3 Depth=1
	v_add_u32_e32 v34, s59, v34
	v_cmp_le_u32_e32 vcc, s33, v34
	s_andn2_b64 s[38:39], s[38:39], exec
	s_andn2_b64 s[36:37], s[36:37], exec
	;; [unrolled: 1-line block ×4, first 2 shown]
	s_orn2_b64 s[2:3], vcc, exec
	s_branch .LBB18_2
.LBB18_69:
	s_or_b64 exec, exec, s[22:23]
	s_xor_b64 s[8:9], s[28:29], -1
	s_xor_b64 s[10:11], s[26:27], -1
	;; [unrolled: 1-line block ×3, first 2 shown]
	s_mov_b64 s[2:3], 0
	s_and_saveexec_b64 s[6:7], s[0:1]
	s_xor_b64 s[0:1], exec, s[6:7]
	s_cbranch_execnz .LBB18_74
; %bb.70:
	s_andn2_saveexec_b64 s[0:1], s[0:1]
	s_cbranch_execnz .LBB18_82
.LBB18_71:
	s_or_b64 exec, exec, s[0:1]
	s_and_b64 exec, exec, s[2:3]
.LBB18_72:
	; divergent unreachable
.LBB18_73:
	s_endpgm
.LBB18_74:
	s_mov_b64 s[6:7], 0
	s_and_saveexec_b64 s[2:3], s[10:11]
	s_xor_b64 s[2:3], exec, s[2:3]
	s_cbranch_execz .LBB18_80
; %bb.75:
	s_and_saveexec_b64 s[10:11], s[8:9]
	s_xor_b64 s[8:9], exec, s[10:11]
	s_cbranch_execz .LBB18_78
; %bb.76:
	s_and_saveexec_b64 s[10:11], s[4:5]
	s_xor_b64 s[4:5], exec, s[10:11]
	s_cbranch_execnz .LBB18_85
.LBB18_77:
	s_or_b64 exec, exec, s[4:5]
	s_and_b64 s[6:7], s[6:7], exec
.LBB18_78:
	s_andn2_saveexec_b64 s[4:5], s[8:9]
	s_cbranch_execnz .LBB18_84
.LBB18_79:
	s_or_b64 exec, exec, s[4:5]
	s_and_b64 s[6:7], s[6:7], exec
.LBB18_80:
	s_andn2_saveexec_b64 s[2:3], s[2:3]
	s_cbranch_execnz .LBB18_83
.LBB18_81:
	s_or_b64 exec, exec, s[2:3]
	s_and_b64 s[2:3], s[6:7], exec
	s_andn2_saveexec_b64 s[0:1], s[0:1]
	s_cbranch_execz .LBB18_71
.LBB18_82:
	s_or_b64 s[2:3], s[2:3], exec
	s_trap 2
	s_or_b64 exec, exec, s[0:1]
	s_and_b64 exec, exec, s[2:3]
	s_cbranch_execnz .LBB18_72
	s_branch .LBB18_73
.LBB18_83:
	s_or_b64 s[6:7], s[6:7], exec
	s_trap 2
	s_branch .LBB18_81
.LBB18_84:
	s_trap 2
	s_or_b64 s[6:7], s[6:7], exec
	s_branch .LBB18_79
.LBB18_85:
	s_mov_b64 s[6:7], exec
	s_trap 2
	s_branch .LBB18_77
	.section	.rodata,"a",@progbits
	.p2align	6, 0x0
	.amdhsa_kernel _ZN2at4cuda12_GLOBAL__N_121kernelPointwiseApply2IZNS_6native9templates4cuda28bernoulli_tensor_cuda_kernelIhfEEvRKNS_10TensorBaseES9_NS_15PhiloxCudaStateEEUliRhSB_SB_SB_RKfSD_SD_SD_E_hSC_jLin1ELi2ELi4ELi512ELi2EEEvNS0_6detail10TensorInfoIT0_T2_EENSG_IT1_SI_EESI_T_
		.amdhsa_group_segment_fixed_size 0
		.amdhsa_private_segment_fixed_size 0
		.amdhsa_kernarg_size 728
		.amdhsa_user_sgpr_count 6
		.amdhsa_user_sgpr_private_segment_buffer 1
		.amdhsa_user_sgpr_dispatch_ptr 0
		.amdhsa_user_sgpr_queue_ptr 0
		.amdhsa_user_sgpr_kernarg_segment_ptr 1
		.amdhsa_user_sgpr_dispatch_id 0
		.amdhsa_user_sgpr_flat_scratch_init 0
		.amdhsa_user_sgpr_kernarg_preload_length 0
		.amdhsa_user_sgpr_kernarg_preload_offset 0
		.amdhsa_user_sgpr_private_segment_size 0
		.amdhsa_uses_dynamic_stack 0
		.amdhsa_system_sgpr_private_segment_wavefront_offset 0
		.amdhsa_system_sgpr_workgroup_id_x 1
		.amdhsa_system_sgpr_workgroup_id_y 0
		.amdhsa_system_sgpr_workgroup_id_z 0
		.amdhsa_system_sgpr_workgroup_info 0
		.amdhsa_system_vgpr_workitem_id 0
		.amdhsa_next_free_vgpr 53
		.amdhsa_next_free_sgpr 63
		.amdhsa_accum_offset 56
		.amdhsa_reserve_vcc 1
		.amdhsa_reserve_flat_scratch 0
		.amdhsa_float_round_mode_32 0
		.amdhsa_float_round_mode_16_64 0
		.amdhsa_float_denorm_mode_32 3
		.amdhsa_float_denorm_mode_16_64 3
		.amdhsa_dx10_clamp 1
		.amdhsa_ieee_mode 1
		.amdhsa_fp16_overflow 0
		.amdhsa_tg_split 0
		.amdhsa_exception_fp_ieee_invalid_op 0
		.amdhsa_exception_fp_denorm_src 0
		.amdhsa_exception_fp_ieee_div_zero 0
		.amdhsa_exception_fp_ieee_overflow 0
		.amdhsa_exception_fp_ieee_underflow 0
		.amdhsa_exception_fp_ieee_inexact 0
		.amdhsa_exception_int_div_zero 0
	.end_amdhsa_kernel
	.section	.text._ZN2at4cuda12_GLOBAL__N_121kernelPointwiseApply2IZNS_6native9templates4cuda28bernoulli_tensor_cuda_kernelIhfEEvRKNS_10TensorBaseES9_NS_15PhiloxCudaStateEEUliRhSB_SB_SB_RKfSD_SD_SD_E_hSC_jLin1ELi2ELi4ELi512ELi2EEEvNS0_6detail10TensorInfoIT0_T2_EENSG_IT1_SI_EESI_T_,"axG",@progbits,_ZN2at4cuda12_GLOBAL__N_121kernelPointwiseApply2IZNS_6native9templates4cuda28bernoulli_tensor_cuda_kernelIhfEEvRKNS_10TensorBaseES9_NS_15PhiloxCudaStateEEUliRhSB_SB_SB_RKfSD_SD_SD_E_hSC_jLin1ELi2ELi4ELi512ELi2EEEvNS0_6detail10TensorInfoIT0_T2_EENSG_IT1_SI_EESI_T_,comdat
.Lfunc_end18:
	.size	_ZN2at4cuda12_GLOBAL__N_121kernelPointwiseApply2IZNS_6native9templates4cuda28bernoulli_tensor_cuda_kernelIhfEEvRKNS_10TensorBaseES9_NS_15PhiloxCudaStateEEUliRhSB_SB_SB_RKfSD_SD_SD_E_hSC_jLin1ELi2ELi4ELi512ELi2EEEvNS0_6detail10TensorInfoIT0_T2_EENSG_IT1_SI_EESI_T_, .Lfunc_end18-_ZN2at4cuda12_GLOBAL__N_121kernelPointwiseApply2IZNS_6native9templates4cuda28bernoulli_tensor_cuda_kernelIhfEEvRKNS_10TensorBaseES9_NS_15PhiloxCudaStateEEUliRhSB_SB_SB_RKfSD_SD_SD_E_hSC_jLin1ELi2ELi4ELi512ELi2EEEvNS0_6detail10TensorInfoIT0_T2_EENSG_IT1_SI_EESI_T_
                                        ; -- End function
	.section	.AMDGPU.csdata,"",@progbits
; Kernel info:
; codeLenInByte = 3892
; NumSgprs: 67
; NumVgprs: 53
; NumAgprs: 0
; TotalNumVgprs: 53
; ScratchSize: 0
; MemoryBound: 0
; FloatMode: 240
; IeeeMode: 1
; LDSByteSize: 0 bytes/workgroup (compile time only)
; SGPRBlocks: 8
; VGPRBlocks: 6
; NumSGPRsForWavesPerEU: 67
; NumVGPRsForWavesPerEU: 53
; AccumOffset: 56
; Occupancy: 8
; WaveLimiterHint : 1
; COMPUTE_PGM_RSRC2:SCRATCH_EN: 0
; COMPUTE_PGM_RSRC2:USER_SGPR: 6
; COMPUTE_PGM_RSRC2:TRAP_HANDLER: 0
; COMPUTE_PGM_RSRC2:TGID_X_EN: 1
; COMPUTE_PGM_RSRC2:TGID_Y_EN: 0
; COMPUTE_PGM_RSRC2:TGID_Z_EN: 0
; COMPUTE_PGM_RSRC2:TIDIG_COMP_CNT: 0
; COMPUTE_PGM_RSRC3_GFX90A:ACCUM_OFFSET: 13
; COMPUTE_PGM_RSRC3_GFX90A:TG_SPLIT: 0
	.section	.text._ZN2at4cuda12_GLOBAL__N_121kernelPointwiseApply2IZNS_6native9templates4cuda28bernoulli_tensor_cuda_kernelIhfEEvRKNS_10TensorBaseES9_NS_15PhiloxCudaStateEEUliRhSB_SB_SB_RKfSD_SD_SD_E_hSC_jLin1ELin1ELi4ELi512ELi2EEEvNS0_6detail10TensorInfoIT0_T2_EENSG_IT1_SI_EESI_T_,"axG",@progbits,_ZN2at4cuda12_GLOBAL__N_121kernelPointwiseApply2IZNS_6native9templates4cuda28bernoulli_tensor_cuda_kernelIhfEEvRKNS_10TensorBaseES9_NS_15PhiloxCudaStateEEUliRhSB_SB_SB_RKfSD_SD_SD_E_hSC_jLin1ELin1ELi4ELi512ELi2EEEvNS0_6detail10TensorInfoIT0_T2_EENSG_IT1_SI_EESI_T_,comdat
	.globl	_ZN2at4cuda12_GLOBAL__N_121kernelPointwiseApply2IZNS_6native9templates4cuda28bernoulli_tensor_cuda_kernelIhfEEvRKNS_10TensorBaseES9_NS_15PhiloxCudaStateEEUliRhSB_SB_SB_RKfSD_SD_SD_E_hSC_jLin1ELin1ELi4ELi512ELi2EEEvNS0_6detail10TensorInfoIT0_T2_EENSG_IT1_SI_EESI_T_ ; -- Begin function _ZN2at4cuda12_GLOBAL__N_121kernelPointwiseApply2IZNS_6native9templates4cuda28bernoulli_tensor_cuda_kernelIhfEEvRKNS_10TensorBaseES9_NS_15PhiloxCudaStateEEUliRhSB_SB_SB_RKfSD_SD_SD_E_hSC_jLin1ELin1ELi4ELi512ELi2EEEvNS0_6detail10TensorInfoIT0_T2_EENSG_IT1_SI_EESI_T_
	.p2align	8
	.type	_ZN2at4cuda12_GLOBAL__N_121kernelPointwiseApply2IZNS_6native9templates4cuda28bernoulli_tensor_cuda_kernelIhfEEvRKNS_10TensorBaseES9_NS_15PhiloxCudaStateEEUliRhSB_SB_SB_RKfSD_SD_SD_E_hSC_jLin1ELin1ELi4ELi512ELi2EEEvNS0_6detail10TensorInfoIT0_T2_EENSG_IT1_SI_EESI_T_,@function
_ZN2at4cuda12_GLOBAL__N_121kernelPointwiseApply2IZNS_6native9templates4cuda28bernoulli_tensor_cuda_kernelIhfEEvRKNS_10TensorBaseES9_NS_15PhiloxCudaStateEEUliRhSB_SB_SB_RKfSD_SD_SD_E_hSC_jLin1ELin1ELi4ELi512ELi2EEEvNS0_6detail10TensorInfoIT0_T2_EENSG_IT1_SI_EESI_T_: ; @_ZN2at4cuda12_GLOBAL__N_121kernelPointwiseApply2IZNS_6native9templates4cuda28bernoulli_tensor_cuda_kernelIhfEEvRKNS_10TensorBaseES9_NS_15PhiloxCudaStateEEUliRhSB_SB_SB_RKfSD_SD_SD_E_hSC_jLin1ELin1ELi4ELi512ELi2EEEvNS0_6detail10TensorInfoIT0_T2_EENSG_IT1_SI_EESI_T_
; %bb.0:
	s_load_dword s2, s[4:5], 0x1e4
	s_load_dword s33, s[4:5], 0x1b0
	s_add_u32 s0, s4, 0x1d8
	s_addc_u32 s1, s5, 0
	s_waitcnt lgkmcnt(0)
	s_and_b32 s2, s2, 0xffff
	s_mul_i32 s6, s6, s2
	v_add_u32_e32 v5, s6, v0
	v_lshlrev_b32_e32 v34, 2, v5
	v_cmp_gt_u32_e32 vcc, s33, v34
	s_and_saveexec_b64 s[6:7], vcc
	s_cbranch_execz .LBB19_85
; %bb.1:
	s_load_dword s0, s[0:1], 0x0
	s_nop 0
	s_load_dword s16, s[4:5], 0x1d0
	s_load_dword s20, s[4:5], 0xd0
	s_add_u32 s22, s4, 0xd8
	s_load_dwordx2 s[6:7], s[4:5], 0x1c8
	s_load_dwordx4 s[8:11], s[4:5], 0x1b8
	s_load_dword s24, s[4:5], 0x1a8
	s_load_dwordx2 s[12:13], s[4:5], 0xd8
	s_load_dword s56, s[4:5], 0x6c
	s_addc_u32 s23, s5, 0
	s_waitcnt lgkmcnt(0)
	s_mul_i32 s21, s0, s2
	s_cmp_gt_i32 s20, 1
	s_cselect_b64 s[0:1], -1, 0
	s_cmp_gt_i32 s24, 1
	s_mov_b32 s58, 0xcd9e8d57
	s_cselect_b64 s[2:3], -1, 0
	s_bitcmp1_b32 s16, 0
	v_mad_u64_u32 v[0:1], s[18:19], v5, s58, 0
	s_cselect_b64 s[16:17], -1, 0
	s_add_i32 s18, s20, -1
	s_mov_b32 s19, 0
	s_lshl_b32 s59, s21, 2
	s_add_i32 s60, s20, 1
	s_lshl_b64 s[20:21], s[18:19], 2
	s_load_dword s57, s[4:5], 0x144
	s_load_dwordx2 s[14:15], s[4:5], 0x0
	s_add_u32 s4, s20, s4
	s_addc_u32 s5, s21, s5
	s_add_u32 s20, s4, 8
	s_addc_u32 s21, s5, 0
	s_add_i32 s18, s24, -1
	s_add_i32 s61, s24, 1
	s_lshl_b64 s[4:5], s[18:19], 2
	s_add_u32 s4, s4, s22
	s_addc_u32 s5, s5, s23
	s_add_u32 s22, s4, 8
	v_cndmask_b32_e64 v2, 0, 1, s[0:1]
	v_mov_b32_e32 v3, 0
	v_mov_b32_e32 v4, v1
	s_addc_u32 s23, s5, 0
	s_mov_b64 s[24:25], 0
	v_cndmask_b32_e64 v1, 0, 1, s[2:3]
	s_mov_b32 s62, 0xd2511f53
	v_cmp_ne_u32_e64 s[0:1], 1, v2
	s_mov_b32 s63, 0xf1bbcdc8
                                        ; implicit-def: $sgpr26_sgpr27
                                        ; implicit-def: $sgpr28_sgpr29
                                        ; implicit-def: $sgpr30_sgpr31
                                        ; implicit-def: $sgpr18_sgpr19
                                        ; implicit-def: $sgpr34_sgpr35
                                        ; implicit-def: $sgpr36_sgpr37
                                        ; implicit-def: $sgpr38_sgpr39
                                        ; implicit-def: $sgpr40_sgpr41
	s_branch .LBB19_3
.LBB19_2:                               ;   in Loop: Header=BB19_3 Depth=1
	s_or_b64 exec, exec, s[4:5]
	s_and_b64 s[2:3], exec, s[2:3]
	s_or_b64 s[24:25], s[2:3], s[24:25]
	s_andn2_b64 s[2:3], s[18:19], exec
	s_and_b64 s[4:5], s[40:41], exec
	s_or_b64 s[18:19], s[2:3], s[4:5]
	s_andn2_b64 s[2:3], s[30:31], exec
	s_and_b64 s[4:5], s[38:39], exec
	;; [unrolled: 3-line block ×4, first 2 shown]
	s_or_b64 s[26:27], s[2:3], s[4:5]
	s_andn2_b64 exec, exec, s[24:25]
	s_cbranch_execz .LBB19_81
.LBB19_3:                               ; =>This Loop Header: Depth=1
                                        ;     Child Loop BB19_6 Depth 2
                                        ;     Child Loop BB19_11 Depth 2
	;; [unrolled: 1-line block ×8, first 2 shown]
	v_sub_u32_e32 v35, s33, v34
	v_cmp_lt_i32_e64 s[4:5], 0, v35
	v_mov_b32_e32 v6, 0
	s_and_saveexec_b64 s[2:3], s[4:5]
	s_cbranch_execz .LBB19_8
; %bb.4:                                ;   in Loop: Header=BB19_3 Depth=1
	s_and_b64 vcc, exec, s[0:1]
	v_mov_b32_e32 v6, 0
	v_mov_b32_e32 v2, v34
	s_cbranch_vccnz .LBB19_7
; %bb.5:                                ;   in Loop: Header=BB19_3 Depth=1
	v_mov_b32_e32 v6, 0
	s_mov_b64 s[42:43], s[20:21]
	s_mov_b32 s44, s60
	v_mov_b32_e32 v2, v34
.LBB19_6:                               ;   Parent Loop BB19_3 Depth=1
                                        ; =>  This Inner Loop Header: Depth=2
	s_load_dword s45, s[42:43], 0x0
	s_load_dword s46, s[42:43], 0x64
	v_mov_b32_e32 v7, v2
	s_add_i32 s44, s44, -1
	s_waitcnt lgkmcnt(0)
	v_cvt_f32_u32_e32 v2, s45
	s_sub_i32 s47, 0, s45
	s_add_u32 s42, s42, -4
	s_addc_u32 s43, s43, -1
	v_rcp_iflag_f32_e32 v2, v2
	s_cmp_gt_u32 s44, 2
	v_mul_f32_e32 v2, 0x4f7ffffe, v2
	v_cvt_u32_f32_e32 v2, v2
	v_mul_lo_u32 v8, s47, v2
	v_mul_hi_u32 v8, v2, v8
	v_add_u32_e32 v2, v2, v8
	v_mul_hi_u32 v2, v7, v2
	v_mul_lo_u32 v8, v2, s45
	v_sub_u32_e32 v8, v7, v8
	s_waitcnt vmcnt(0)
	v_add_u32_e32 v9, 1, v2
	v_cmp_le_u32_e32 vcc, s45, v8
	v_cndmask_b32_e32 v2, v2, v9, vcc
	v_subrev_u32_e32 v9, s45, v8
	v_cndmask_b32_e32 v8, v8, v9, vcc
	v_add_u32_e32 v9, 1, v2
	v_cmp_le_u32_e32 vcc, s45, v8
	v_cndmask_b32_e32 v2, v2, v9, vcc
	v_mul_lo_u32 v8, v2, s45
	v_sub_u32_e32 v7, v7, v8
	v_mad_u64_u32 v[6:7], s[46:47], s46, v7, v[6:7]
	s_cbranch_scc1 .LBB19_6
.LBB19_7:                               ;   in Loop: Header=BB19_3 Depth=1
	v_mad_u64_u32 v[6:7], s[42:43], s56, v2, v[6:7]
.LBB19_8:                               ;   in Loop: Header=BB19_3 Depth=1
	s_or_b64 exec, exec, s[2:3]
	v_mov_b32_e32 v8, 0
	v_cmp_ne_u32_e64 s[2:3], 1, v1
	s_and_saveexec_b64 s[42:43], s[4:5]
	s_cbranch_execz .LBB19_13
; %bb.9:                                ;   in Loop: Header=BB19_3 Depth=1
	s_and_b64 vcc, exec, s[2:3]
	v_mov_b32_e32 v8, 0
	v_mov_b32_e32 v2, v34
	s_cbranch_vccnz .LBB19_12
; %bb.10:                               ;   in Loop: Header=BB19_3 Depth=1
	v_mov_b32_e32 v8, 0
	s_mov_b64 s[4:5], s[22:23]
	s_mov_b32 s44, s61
	v_mov_b32_e32 v2, v34
.LBB19_11:                              ;   Parent Loop BB19_3 Depth=1
                                        ; =>  This Inner Loop Header: Depth=2
	s_load_dword s45, s[4:5], 0x0
	s_load_dword s46, s[4:5], 0x64
	v_mov_b32_e32 v7, v2
	s_add_i32 s44, s44, -1
	s_waitcnt lgkmcnt(0)
	v_cvt_f32_u32_e32 v2, s45
	s_sub_i32 s47, 0, s45
	s_add_u32 s4, s4, -4
	s_addc_u32 s5, s5, -1
	v_rcp_iflag_f32_e32 v2, v2
	s_cmp_gt_u32 s44, 2
	v_mul_f32_e32 v2, 0x4f7ffffe, v2
	v_cvt_u32_f32_e32 v2, v2
	s_waitcnt vmcnt(0)
	v_mul_lo_u32 v9, s47, v2
	v_mul_hi_u32 v9, v2, v9
	v_add_u32_e32 v2, v2, v9
	v_mul_hi_u32 v2, v7, v2
	v_mul_lo_u32 v9, v2, s45
	v_sub_u32_e32 v9, v7, v9
	v_add_u32_e32 v10, 1, v2
	v_cmp_le_u32_e32 vcc, s45, v9
	v_cndmask_b32_e32 v2, v2, v10, vcc
	v_subrev_u32_e32 v10, s45, v9
	v_cndmask_b32_e32 v9, v9, v10, vcc
	v_add_u32_e32 v10, 1, v2
	v_cmp_le_u32_e32 vcc, s45, v9
	v_cndmask_b32_e32 v2, v2, v10, vcc
	v_mul_lo_u32 v9, v2, s45
	v_sub_u32_e32 v7, v7, v9
	v_mad_u64_u32 v[8:9], s[46:47], s46, v7, v[8:9]
	s_cbranch_scc1 .LBB19_11
.LBB19_12:                              ;   in Loop: Header=BB19_3 Depth=1
	s_waitcnt vmcnt(0) lgkmcnt(0)
	v_mad_u64_u32 v[8:9], s[4:5], s57, v2, v[8:9]
.LBB19_13:                              ;   in Loop: Header=BB19_3 Depth=1
	s_or_b64 exec, exec, s[42:43]
	v_or_b32_e32 v7, 1, v34
	v_cmp_lt_i32_e64 s[4:5], 1, v35
	v_mov_b32_e32 v10, 0
	s_and_saveexec_b64 s[42:43], s[4:5]
	s_cbranch_execz .LBB19_18
; %bb.14:                               ;   in Loop: Header=BB19_3 Depth=1
	s_and_b64 vcc, exec, s[0:1]
	v_mov_b32_e32 v10, 0
	v_mov_b32_e32 v2, v7
	s_cbranch_vccnz .LBB19_17
; %bb.15:                               ;   in Loop: Header=BB19_3 Depth=1
	v_mov_b32_e32 v10, 0
	s_mov_b64 s[44:45], s[20:21]
	s_mov_b32 s46, s60
	v_mov_b32_e32 v2, v7
.LBB19_16:                              ;   Parent Loop BB19_3 Depth=1
                                        ; =>  This Inner Loop Header: Depth=2
	s_load_dword s47, s[44:45], 0x0
	s_load_dword s48, s[44:45], 0x64
	s_waitcnt vmcnt(0)
	v_mov_b32_e32 v9, v2
	s_add_i32 s46, s46, -1
	s_waitcnt lgkmcnt(0)
	v_cvt_f32_u32_e32 v2, s47
	s_sub_i32 s49, 0, s47
	s_add_u32 s44, s44, -4
	s_addc_u32 s45, s45, -1
	v_rcp_iflag_f32_e32 v2, v2
	s_cmp_gt_u32 s46, 2
	v_mul_f32_e32 v2, 0x4f7ffffe, v2
	v_cvt_u32_f32_e32 v2, v2
	v_mul_lo_u32 v11, s49, v2
	v_mul_hi_u32 v11, v2, v11
	v_add_u32_e32 v2, v2, v11
	v_mul_hi_u32 v2, v9, v2
	v_mul_lo_u32 v11, v2, s47
	v_sub_u32_e32 v11, v9, v11
	v_add_u32_e32 v12, 1, v2
	v_cmp_le_u32_e32 vcc, s47, v11
	v_cndmask_b32_e32 v2, v2, v12, vcc
	v_subrev_u32_e32 v12, s47, v11
	v_cndmask_b32_e32 v11, v11, v12, vcc
	v_add_u32_e32 v12, 1, v2
	v_cmp_le_u32_e32 vcc, s47, v11
	v_cndmask_b32_e32 v2, v2, v12, vcc
	v_mul_lo_u32 v11, v2, s47
	v_sub_u32_e32 v9, v9, v11
	v_mad_u64_u32 v[10:11], s[48:49], s48, v9, v[10:11]
	s_cbranch_scc1 .LBB19_16
.LBB19_17:                              ;   in Loop: Header=BB19_3 Depth=1
	v_mad_u64_u32 v[10:11], s[44:45], s56, v2, v[10:11]
.LBB19_18:                              ;   in Loop: Header=BB19_3 Depth=1
	s_or_b64 exec, exec, s[42:43]
	v_mov_b32_e32 v2, 0
	s_and_saveexec_b64 s[42:43], s[4:5]
	s_cbranch_execz .LBB19_23
; %bb.19:                               ;   in Loop: Header=BB19_3 Depth=1
	s_and_b64 vcc, exec, s[2:3]
	v_mov_b32_e32 v12, 0
	s_cbranch_vccnz .LBB19_22
; %bb.20:                               ;   in Loop: Header=BB19_3 Depth=1
	v_mov_b32_e32 v12, 0
	s_mov_b64 s[4:5], s[22:23]
	s_mov_b32 s44, s61
.LBB19_21:                              ;   Parent Loop BB19_3 Depth=1
                                        ; =>  This Inner Loop Header: Depth=2
	s_load_dword s45, s[4:5], 0x0
	s_load_dword s46, s[4:5], 0x64
	v_mov_b32_e32 v2, v7
	s_add_i32 s44, s44, -1
	s_waitcnt lgkmcnt(0)
	v_cvt_f32_u32_e32 v7, s45
	s_sub_i32 s47, 0, s45
	s_add_u32 s4, s4, -4
	s_addc_u32 s5, s5, -1
	v_rcp_iflag_f32_e32 v7, v7
	s_cmp_gt_u32 s44, 2
	v_mul_f32_e32 v7, 0x4f7ffffe, v7
	v_cvt_u32_f32_e32 v7, v7
	s_waitcnt vmcnt(0)
	v_mul_lo_u32 v9, s47, v7
	v_mul_hi_u32 v9, v7, v9
	v_add_u32_e32 v7, v7, v9
	v_mul_hi_u32 v7, v2, v7
	v_mul_lo_u32 v9, v7, s45
	v_sub_u32_e32 v9, v2, v9
	v_add_u32_e32 v11, 1, v7
	v_cmp_le_u32_e32 vcc, s45, v9
	v_cndmask_b32_e32 v7, v7, v11, vcc
	v_subrev_u32_e32 v11, s45, v9
	v_cndmask_b32_e32 v9, v9, v11, vcc
	v_add_u32_e32 v11, 1, v7
	v_cmp_le_u32_e32 vcc, s45, v9
	v_cndmask_b32_e32 v7, v7, v11, vcc
	v_mul_lo_u32 v9, v7, s45
	v_sub_u32_e32 v2, v2, v9
	v_mad_u64_u32 v[12:13], s[46:47], s46, v2, v[12:13]
	s_cbranch_scc1 .LBB19_21
.LBB19_22:                              ;   in Loop: Header=BB19_3 Depth=1
	s_waitcnt lgkmcnt(0)
	v_mad_u64_u32 v[12:13], s[4:5], s57, v7, v[12:13]
	v_mov_b32_e32 v2, v12
.LBB19_23:                              ;   in Loop: Header=BB19_3 Depth=1
	s_or_b64 exec, exec, s[42:43]
	v_or_b32_e32 v7, 2, v34
	v_cmp_lt_i32_e64 s[4:5], 2, v35
	v_mov_b32_e32 v12, 0
	s_and_saveexec_b64 s[42:43], s[4:5]
	s_cbranch_execz .LBB19_28
; %bb.24:                               ;   in Loop: Header=BB19_3 Depth=1
	s_and_b64 vcc, exec, s[0:1]
	v_mov_b32_e32 v12, 0
	s_waitcnt vmcnt(0)
	v_mov_b32_e32 v9, v7
	s_cbranch_vccnz .LBB19_27
; %bb.25:                               ;   in Loop: Header=BB19_3 Depth=1
	v_mov_b32_e32 v12, 0
	s_mov_b64 s[44:45], s[20:21]
	s_mov_b32 s46, s60
	v_mov_b32_e32 v9, v7
.LBB19_26:                              ;   Parent Loop BB19_3 Depth=1
                                        ; =>  This Inner Loop Header: Depth=2
	s_load_dword s47, s[44:45], 0x0
	s_load_dword s48, s[44:45], 0x64
	v_mov_b32_e32 v11, v9
	s_add_i32 s46, s46, -1
	s_waitcnt lgkmcnt(0)
	v_cvt_f32_u32_e32 v9, s47
	s_sub_i32 s49, 0, s47
	s_add_u32 s44, s44, -4
	s_addc_u32 s45, s45, -1
	v_rcp_iflag_f32_e32 v9, v9
	s_cmp_gt_u32 s46, 2
	v_mul_f32_e32 v9, 0x4f7ffffe, v9
	v_cvt_u32_f32_e32 v9, v9
	v_mul_lo_u32 v13, s49, v9
	v_mul_hi_u32 v13, v9, v13
	v_add_u32_e32 v9, v9, v13
	v_mul_hi_u32 v9, v11, v9
	v_mul_lo_u32 v13, v9, s47
	v_sub_u32_e32 v13, v11, v13
	v_add_u32_e32 v14, 1, v9
	v_cmp_le_u32_e32 vcc, s47, v13
	v_cndmask_b32_e32 v9, v9, v14, vcc
	v_subrev_u32_e32 v14, s47, v13
	v_cndmask_b32_e32 v13, v13, v14, vcc
	v_add_u32_e32 v14, 1, v9
	v_cmp_le_u32_e32 vcc, s47, v13
	v_cndmask_b32_e32 v9, v9, v14, vcc
	v_mul_lo_u32 v13, v9, s47
	v_sub_u32_e32 v11, v11, v13
	v_mad_u64_u32 v[12:13], s[48:49], s48, v11, v[12:13]
	s_cbranch_scc1 .LBB19_26
.LBB19_27:                              ;   in Loop: Header=BB19_3 Depth=1
	v_mad_u64_u32 v[12:13], s[44:45], s56, v9, v[12:13]
.LBB19_28:                              ;   in Loop: Header=BB19_3 Depth=1
	s_or_b64 exec, exec, s[42:43]
	v_pk_mov_b32 v[14:15], 0, 0
	s_and_saveexec_b64 s[42:43], s[4:5]
	s_cbranch_execz .LBB19_33
; %bb.29:                               ;   in Loop: Header=BB19_3 Depth=1
	s_and_b64 vcc, exec, s[2:3]
	v_mov_b32_e32 v14, 0
	s_cbranch_vccnz .LBB19_32
; %bb.30:                               ;   in Loop: Header=BB19_3 Depth=1
	v_mov_b32_e32 v14, 0
	s_mov_b64 s[4:5], s[22:23]
	s_mov_b32 s44, s61
.LBB19_31:                              ;   Parent Loop BB19_3 Depth=1
                                        ; =>  This Inner Loop Header: Depth=2
	s_load_dword s45, s[4:5], 0x0
	s_load_dword s46, s[4:5], 0x64
	s_waitcnt vmcnt(0)
	v_mov_b32_e32 v9, v7
	s_add_i32 s44, s44, -1
	s_waitcnt lgkmcnt(0)
	v_cvt_f32_u32_e32 v7, s45
	s_sub_i32 s47, 0, s45
	s_add_u32 s4, s4, -4
	s_addc_u32 s5, s5, -1
	v_rcp_iflag_f32_e32 v7, v7
	s_cmp_gt_u32 s44, 2
	v_mul_f32_e32 v7, 0x4f7ffffe, v7
	v_cvt_u32_f32_e32 v7, v7
	v_mul_lo_u32 v11, s47, v7
	v_mul_hi_u32 v11, v7, v11
	v_add_u32_e32 v7, v7, v11
	v_mul_hi_u32 v7, v9, v7
	v_mul_lo_u32 v11, v7, s45
	v_sub_u32_e32 v11, v9, v11
	v_add_u32_e32 v13, 1, v7
	v_cmp_le_u32_e32 vcc, s45, v11
	v_cndmask_b32_e32 v7, v7, v13, vcc
	v_subrev_u32_e32 v13, s45, v11
	v_cndmask_b32_e32 v11, v11, v13, vcc
	v_add_u32_e32 v13, 1, v7
	v_cmp_le_u32_e32 vcc, s45, v11
	v_cndmask_b32_e32 v7, v7, v13, vcc
	v_mul_lo_u32 v11, v7, s45
	v_sub_u32_e32 v9, v9, v11
	v_mad_u64_u32 v[14:15], s[46:47], s46, v9, v[14:15]
	s_cbranch_scc1 .LBB19_31
.LBB19_32:                              ;   in Loop: Header=BB19_3 Depth=1
	s_waitcnt lgkmcnt(0)
	v_mad_u64_u32 v[14:15], s[4:5], s57, v7, v[14:15]
	v_mov_b32_e32 v15, v3
.LBB19_33:                              ;   in Loop: Header=BB19_3 Depth=1
	s_or_b64 exec, exec, s[42:43]
	v_or_b32_e32 v7, 3, v34
	v_cmp_lt_i32_e64 s[4:5], 3, v35
	v_pk_mov_b32 v[18:19], 0, 0
	s_and_saveexec_b64 s[42:43], s[4:5]
	s_cbranch_execz .LBB19_38
; %bb.34:                               ;   in Loop: Header=BB19_3 Depth=1
	s_and_b64 vcc, exec, s[0:1]
	v_mov_b32_e32 v16, 0
	s_waitcnt vmcnt(0)
	v_mov_b32_e32 v9, v7
	s_cbranch_vccnz .LBB19_37
; %bb.35:                               ;   in Loop: Header=BB19_3 Depth=1
	v_mov_b32_e32 v16, 0
	s_mov_b64 s[44:45], s[20:21]
	s_mov_b32 s46, s60
	v_mov_b32_e32 v9, v7
.LBB19_36:                              ;   Parent Loop BB19_3 Depth=1
                                        ; =>  This Inner Loop Header: Depth=2
	s_load_dword s47, s[44:45], 0x0
	s_load_dword s48, s[44:45], 0x64
	v_mov_b32_e32 v11, v9
	s_add_i32 s46, s46, -1
	s_waitcnt lgkmcnt(0)
	v_cvt_f32_u32_e32 v9, s47
	s_sub_i32 s49, 0, s47
	s_add_u32 s44, s44, -4
	s_addc_u32 s45, s45, -1
	v_rcp_iflag_f32_e32 v9, v9
	s_cmp_gt_u32 s46, 2
	v_mul_f32_e32 v9, 0x4f7ffffe, v9
	v_cvt_u32_f32_e32 v9, v9
	v_mul_lo_u32 v13, s49, v9
	v_mul_hi_u32 v13, v9, v13
	v_add_u32_e32 v9, v9, v13
	v_mul_hi_u32 v9, v11, v9
	v_mul_lo_u32 v13, v9, s47
	v_sub_u32_e32 v13, v11, v13
	v_add_u32_e32 v17, 1, v9
	v_cmp_le_u32_e32 vcc, s47, v13
	v_cndmask_b32_e32 v9, v9, v17, vcc
	v_subrev_u32_e32 v17, s47, v13
	v_cndmask_b32_e32 v13, v13, v17, vcc
	v_add_u32_e32 v17, 1, v9
	v_cmp_le_u32_e32 vcc, s47, v13
	v_cndmask_b32_e32 v9, v9, v17, vcc
	v_mul_lo_u32 v13, v9, s47
	v_sub_u32_e32 v11, v11, v13
	v_mad_u64_u32 v[16:17], s[48:49], s48, v11, v[16:17]
	s_cbranch_scc1 .LBB19_36
.LBB19_37:                              ;   in Loop: Header=BB19_3 Depth=1
	v_mad_u64_u32 v[18:19], s[44:45], s56, v9, v[16:17]
	v_mov_b32_e32 v19, v3
.LBB19_38:                              ;   in Loop: Header=BB19_3 Depth=1
	s_or_b64 exec, exec, s[42:43]
	v_pk_mov_b32 v[16:17], 0, 0
	s_and_saveexec_b64 s[42:43], s[4:5]
	s_cbranch_execz .LBB19_43
; %bb.39:                               ;   in Loop: Header=BB19_3 Depth=1
	s_and_b64 vcc, exec, s[2:3]
	v_mov_b32_e32 v16, 0
	s_cbranch_vccnz .LBB19_42
; %bb.40:                               ;   in Loop: Header=BB19_3 Depth=1
	v_mov_b32_e32 v16, 0
	s_mov_b64 s[2:3], s[22:23]
	s_mov_b32 s4, s61
.LBB19_41:                              ;   Parent Loop BB19_3 Depth=1
                                        ; =>  This Inner Loop Header: Depth=2
	s_load_dword s5, s[2:3], 0x0
	s_load_dword s44, s[2:3], 0x64
	s_waitcnt vmcnt(0)
	v_mov_b32_e32 v9, v7
	s_add_i32 s4, s4, -1
	s_waitcnt lgkmcnt(0)
	v_cvt_f32_u32_e32 v7, s5
	s_sub_i32 s45, 0, s5
	s_add_u32 s2, s2, -4
	s_addc_u32 s3, s3, -1
	v_rcp_iflag_f32_e32 v7, v7
	s_cmp_gt_u32 s4, 2
	v_mul_f32_e32 v7, 0x4f7ffffe, v7
	v_cvt_u32_f32_e32 v7, v7
	v_mul_lo_u32 v11, s45, v7
	v_mul_hi_u32 v11, v7, v11
	v_add_u32_e32 v7, v7, v11
	v_mul_hi_u32 v7, v9, v7
	v_mul_lo_u32 v11, v7, s5
	v_sub_u32_e32 v11, v9, v11
	v_add_u32_e32 v13, 1, v7
	v_cmp_le_u32_e32 vcc, s5, v11
	v_cndmask_b32_e32 v7, v7, v13, vcc
	v_subrev_u32_e32 v13, s5, v11
	v_cndmask_b32_e32 v11, v11, v13, vcc
	v_add_u32_e32 v13, 1, v7
	v_cmp_le_u32_e32 vcc, s5, v11
	v_cndmask_b32_e32 v7, v7, v13, vcc
	v_mul_lo_u32 v11, v7, s5
	v_sub_u32_e32 v9, v9, v11
	v_mad_u64_u32 v[16:17], s[44:45], s44, v9, v[16:17]
	s_cbranch_scc1 .LBB19_41
.LBB19_42:                              ;   in Loop: Header=BB19_3 Depth=1
	s_waitcnt lgkmcnt(0)
	v_mad_u64_u32 v[16:17], s[2:3], s57, v7, v[16:17]
	v_mov_b32_e32 v17, v3
.LBB19_43:                              ;   in Loop: Header=BB19_3 Depth=1
	s_or_b64 exec, exec, s[42:43]
	v_lshlrev_b64 v[16:17], 2, v[16:17]
	v_mov_b32_e32 v7, s13
	v_add_co_u32_e32 v16, vcc, s12, v16
	v_addc_co_u32_e32 v17, vcc, v7, v17, vcc
	global_load_dword v9, v[16:17], off
	s_andn2_b64 vcc, exec, s[16:17]
	v_pk_mov_b32 v[16:17], s[10:11], s[10:11] op_sel:[0,1]
	v_pk_mov_b32 v[20:21], s[8:9], s[8:9] op_sel:[0,1]
	s_cbranch_vccnz .LBB19_45
; %bb.44:                               ;   in Loop: Header=BB19_3 Depth=1
	v_pk_mov_b32 v[16:17], s[10:11], s[10:11] op_sel:[0,1]
	flat_load_dwordx2 v[16:17], v[16:17]
	v_pk_mov_b32 v[20:21], s[8:9], s[8:9] op_sel:[0,1]
	flat_load_dwordx2 v[20:21], v[20:21]
	v_mov_b32_e32 v7, s7
	s_waitcnt vmcnt(0) lgkmcnt(0)
	v_add_co_u32_e32 v16, vcc, s6, v16
	v_addc_co_u32_e32 v17, vcc, v17, v7, vcc
.LBB19_45:                              ;   in Loop: Header=BB19_3 Depth=1
	v_alignbit_b32 v7, v17, v16, 2
	v_lshrrev_b32_e32 v13, 2, v17
	v_xor_b32_e32 v22, v4, v20
	v_and_b32_e32 v11, 3, v16
	v_mad_u64_u32 v[16:17], s[2:3], v7, s62, 0
	v_xor_b32_e32 v22, v22, v13
	v_xor_b32_e32 v17, v17, v21
	v_add_u32_e32 v39, 0xbb67ae85, v21
	v_mad_u64_u32 v[22:23], s[2:3], v22, s62, 0
	v_mad_u64_u32 v[24:25], s[2:3], v17, s58, 0
	v_xor_b32_e32 v23, v39, v23
	v_add_u32_e32 v38, 0x9e3779b9, v20
	v_xor_b32_e32 v17, v0, v25
	v_xor_b32_e32 v23, v23, v16
	v_xor_b32_e32 v17, v17, v38
	v_add_u32_e32 v40, 0x3c6ef372, v20
	v_mad_u64_u32 v[26:27], s[2:3], v23, s58, 0
	v_add_u32_e32 v41, 0x76cf5d0a, v21
	v_mad_u64_u32 v[16:17], s[2:3], v17, s62, 0
	v_xor_b32_e32 v23, v40, v27
	v_xor_b32_e32 v23, v23, v24
	v_xor_b32_e32 v17, v41, v17
	v_xor_b32_e32 v17, v17, v22
	v_add_u32_e32 v43, 0x32370b8f, v21
	v_mad_u64_u32 v[22:23], s[2:3], v23, s62, 0
	v_add_u32_e32 v42, 0xdaa66d2b, v20
	v_mad_u64_u32 v[24:25], s[2:3], v17, s58, 0
	v_xor_b32_e32 v23, v43, v23
	;; [unrolled: 8-line block ×5, first 2 shown]
	v_xor_b32_e32 v23, v23, v24
	v_xor_b32_e32 v17, v49, v17
	;; [unrolled: 1-line block ×3, first 2 shown]
	v_add_u32_e32 v51, 0x1fd5c5a3, v21
	v_mad_u64_u32 v[22:23], s[2:3], v23, s62, 0
	v_xor_b32_e32 v23, v51, v23
	v_xor_b32_e32 v16, v23, v16
	v_add_u32_e32 v50, 0x5384540f, v20
	v_mad_u64_u32 v[28:29], s[2:3], v17, s58, 0
	v_add_co_u32_e32 v36, vcc, s63, v20
	v_mad_u64_u32 v[24:25], s[2:3], v16, s58, 0
	v_xor_b32_e32 v17, v50, v29
	v_xor_b32_e32 v16, v36, v25
	;; [unrolled: 1-line block ×4, first 2 shown]
	v_mad_u64_u32 v[26:27], s[2:3], v17, s62, 0
	v_mad_u64_u32 v[16:17], s[2:3], v16, s62, 0
	v_add_co_u32_e32 v7, vcc, 1, v7
	v_xor_b32_e32 v17, v17, v26
	v_cndmask_b32_e64 v26, 0, 1, vcc
	v_addc_co_u32_e32 v13, vcc, 0, v13, vcc
	v_cmp_eq_u32_e32 vcc, 0, v13
	v_cndmask_b32_e32 v26, 0, v26, vcc
	v_add_u32_e32 v30, v26, v5
	v_cmp_eq_u32_e32 vcc, 0, v30
	v_mad_u64_u32 v[30:31], s[2:3], v30, s58, 0
	v_mad_u64_u32 v[28:29], s[2:3], v7, s62, 0
	v_xor_b32_e32 v7, v31, v20
	v_cndmask_b32_e32 v26, 0, v26, vcc
	v_xor_b32_e32 v7, v13, v7
	v_xor_b32_e32 v13, v29, v21
	;; [unrolled: 1-line block ×3, first 2 shown]
	v_mad_u64_u32 v[32:33], s[2:3], v13, s58, 0
	v_add_u32_e32 v23, 0xdb3d7428, v21
	v_add_u32_e32 v25, 0x8ff34781, v20
	;; [unrolled: 1-line block ×3, first 2 shown]
	v_mad_u64_u32 v[20:21], s[2:3], v7, s62, 0
	v_xor_b32_e32 v7, v38, v33
	v_xor_b32_e32 v7, v7, v30
	v_xor_b32_e32 v13, v39, v21
	v_xor_b32_e32 v13, v13, v28
	v_mad_u64_u32 v[28:29], s[2:3], v7, s62, 0
	v_mad_u64_u32 v[30:31], s[2:3], v13, s58, 0
	v_xor_b32_e32 v13, v41, v29
	v_xor_b32_e32 v7, v40, v31
	v_xor_b32_e32 v13, v13, v20
	v_xor_b32_e32 v7, v7, v32
	v_mad_u64_u32 v[32:33], s[2:3], v13, s58, 0
	;; [unrolled: 6-line block ×7, first 2 shown]
	v_xor_b32_e32 v7, v23, v31
	v_xor_b32_e32 v7, v7, v20
	v_mad_u64_u32 v[32:33], s[2:3], v13, s58, 0
	v_mad_u64_u32 v[20:21], s[2:3], v7, s58, 0
	v_xor_b32_e32 v7, v21, v32
	v_xor_b32_e32 v17, v37, v17
	;; [unrolled: 1-line block ×3, first 2 shown]
	v_cmp_lt_i32_e32 vcc, 1, v11
                                        ; implicit-def: $vgpr13
	s_and_saveexec_b64 s[2:3], vcc
	s_xor_b64 s[2:3], exec, s[2:3]
	s_cbranch_execz .LBB19_51
; %bb.46:                               ;   in Loop: Header=BB19_3 Depth=1
	v_cmp_lt_i32_e32 vcc, 2, v11
                                        ; implicit-def: $vgpr13
	s_and_saveexec_b64 s[4:5], vcc
	s_xor_b64 s[4:5], exec, s[4:5]
; %bb.47:                               ;   in Loop: Header=BB19_3 Depth=1
	v_xor_b32_e32 v11, v36, v33
	v_xor_b32_e32 v11, v11, v28
	v_mul_hi_u32 v11, v11, s62
	v_xor_b32_e32 v11, v11, v30
	v_xor_b32_e32 v13, v37, v11
                                        ; implicit-def: $vgpr17
; %bb.48:                               ;   in Loop: Header=BB19_3 Depth=1
	s_andn2_saveexec_b64 s[4:5], s[4:5]
; %bb.49:                               ;   in Loop: Header=BB19_3 Depth=1
	v_mov_b32_e32 v13, v20
	v_mov_b32_e32 v20, v7
	;; [unrolled: 1-line block ×4, first 2 shown]
; %bb.50:                               ;   in Loop: Header=BB19_3 Depth=1
	s_or_b64 exec, exec, s[4:5]
                                        ; implicit-def: $vgpr22_vgpr23
                                        ; implicit-def: $vgpr24_vgpr25
                                        ; implicit-def: $vgpr11
                                        ; implicit-def: $vgpr17
                                        ; implicit-def: $vgpr26_vgpr27
                                        ; implicit-def: $vgpr23
                                        ; implicit-def: $vgpr25
.LBB19_51:                              ;   in Loop: Header=BB19_3 Depth=1
	s_andn2_saveexec_b64 s[2:3], s[2:3]
	s_cbranch_execz .LBB19_55
; %bb.52:                               ;   in Loop: Header=BB19_3 Depth=1
	v_xor_b32_e32 v13, v23, v27
	v_xor_b32_e32 v13, v13, v22
	v_mad_u64_u32 v[22:23], s[4:5], v13, s58, 0
	v_xor_b32_e32 v13, v23, v24
	v_xor_b32_e32 v21, v25, v13
	v_cmp_eq_u32_e32 vcc, 1, v11
	v_mov_b32_e32 v13, v16
	v_mov_b32_e32 v20, v17
	;; [unrolled: 1-line block ×3, first 2 shown]
	s_and_saveexec_b64 s[4:5], vcc
; %bb.53:                               ;   in Loop: Header=BB19_3 Depth=1
	v_mov_b32_e32 v13, v7
	v_mov_b32_e32 v20, v16
	;; [unrolled: 1-line block ×4, first 2 shown]
; %bb.54:                               ;   in Loop: Header=BB19_3 Depth=1
	s_or_b64 exec, exec, s[4:5]
	v_mov_b32_e32 v16, v21
	v_mov_b32_e32 v7, v11
.LBB19_55:                              ;   in Loop: Header=BB19_3 Depth=1
	s_or_b64 exec, exec, s[2:3]
	v_min_i32_e32 v11, 4, v35
	v_cmp_lt_i32_e32 vcc, 2, v11
	s_mov_b64 s[4:5], 0
	s_mov_b64 s[52:53], 0
	;; [unrolled: 1-line block ×3, first 2 shown]
                                        ; implicit-def: $sgpr44_sgpr45
                                        ; implicit-def: $sgpr46_sgpr47
                                        ; implicit-def: $sgpr48_sgpr49
	s_and_saveexec_b64 s[2:3], vcc
	s_xor_b64 s[50:51], exec, s[2:3]
	s_cbranch_execz .LBB19_67
; %bb.56:                               ;   in Loop: Header=BB19_3 Depth=1
	v_cmp_lt_i32_e32 vcc, 3, v11
	s_mov_b64 s[2:3], -1
	s_mov_b64 s[54:55], 0
                                        ; implicit-def: $sgpr42_sgpr43
                                        ; implicit-def: $sgpr44_sgpr45
	s_and_saveexec_b64 s[46:47], vcc
	s_cbranch_execz .LBB19_62
; %bb.57:                               ;   in Loop: Header=BB19_3 Depth=1
	v_cmp_eq_u32_e32 vcc, 4, v11
	s_mov_b64 s[2:3], 0
	s_mov_b64 s[54:55], -1
                                        ; implicit-def: $sgpr42_sgpr43
                                        ; implicit-def: $sgpr44_sgpr45
	s_and_saveexec_b64 s[48:49], vcc
	s_cbranch_execz .LBB19_61
; %bb.58:                               ;   in Loop: Header=BB19_3 Depth=1
	s_waitcnt vmcnt(0)
	v_cmp_le_f32_e32 vcc, 0, v9
	v_cmp_ge_f32_e64 s[2:3], 1.0, v9
	s_and_b64 s[54:55], vcc, s[2:3]
	s_mov_b64 s[42:43], 0
	s_mov_b64 s[2:3], 0
	s_and_saveexec_b64 s[44:45], s[54:55]
	s_cbranch_execz .LBB19_60
; %bb.59:                               ;   in Loop: Header=BB19_3 Depth=1
	v_cvt_f32_u32_e32 v13, v13
	v_mov_b32_e32 v17, 0x2f800000
	s_waitcnt lgkmcnt(0)
	v_mov_b32_e32 v21, s15
	v_add_co_u32_e32 v18, vcc, s14, v18
	v_fmac_f32_e32 v17, 0x2f800000, v13
	v_addc_co_u32_e32 v19, vcc, v21, v19, vcc
	v_cmp_le_f32_e32 vcc, v17, v9
	s_mov_b64 s[2:3], exec
	v_cndmask_b32_e64 v9, 0, 1, vcc
	global_store_byte v[18:19], v9, off
.LBB19_60:                              ;   in Loop: Header=BB19_3 Depth=1
	s_or_b64 exec, exec, s[44:45]
	s_mov_b64 s[44:45], -1
	s_xor_b64 s[54:55], exec, -1
	s_and_b64 s[2:3], s[2:3], exec
.LBB19_61:                              ;   in Loop: Header=BB19_3 Depth=1
	s_or_b64 exec, exec, s[48:49]
	s_and_b64 s[54:55], s[54:55], exec
	s_orn2_b64 s[2:3], s[2:3], exec
.LBB19_62:                              ;   in Loop: Header=BB19_3 Depth=1
	s_or_b64 exec, exec, s[46:47]
	s_mov_b64 s[48:49], s[42:43]
	s_and_saveexec_b64 s[46:47], s[2:3]
	s_cbranch_execz .LBB19_66
; %bb.63:                               ;   in Loop: Header=BB19_3 Depth=1
	v_lshlrev_b64 v[14:15], 2, v[14:15]
	s_waitcnt vmcnt(0)
	v_mov_b32_e32 v9, s13
	v_add_co_u32_e32 v14, vcc, s12, v14
	v_addc_co_u32_e32 v15, vcc, v9, v15, vcc
	global_load_dword v9, v[14:15], off
	s_waitcnt vmcnt(0)
	v_cmp_le_f32_e32 vcc, 0, v9
	v_cmp_ge_f32_e64 s[2:3], 1.0, v9
	s_and_b64 s[48:49], vcc, s[2:3]
	s_mov_b64 s[2:3], 0
	s_and_saveexec_b64 s[52:53], s[48:49]
	s_xor_b64 s[48:49], exec, s[52:53]
	s_cbranch_execz .LBB19_65
; %bb.64:                               ;   in Loop: Header=BB19_3 Depth=1
	v_cvt_f32_u32_e32 v13, v20
	v_mov_b32_e32 v14, 0x2f800000
	s_mov_b64 s[2:3], exec
	v_fmac_f32_e32 v14, 0x2f800000, v13
	v_cmp_le_f32_e32 vcc, v14, v9
	v_cndmask_b32_e64 v9, 0, 1, vcc
	s_waitcnt lgkmcnt(0)
	global_store_byte v12, v9, s[14:15]
.LBB19_65:                              ;   in Loop: Header=BB19_3 Depth=1
	s_or_b64 exec, exec, s[48:49]
	s_andn2_b64 s[48:49], s[42:43], exec
	s_or_b64 s[42:43], s[42:43], exec
	s_andn2_b64 s[44:45], s[44:45], exec
	s_and_b64 s[52:53], s[2:3], exec
.LBB19_66:                              ;   in Loop: Header=BB19_3 Depth=1
	s_or_b64 exec, exec, s[46:47]
	s_and_b64 s[48:49], s[48:49], exec
	s_and_b64 s[46:47], s[42:43], exec
	;; [unrolled: 1-line block ×5, first 2 shown]
.LBB19_67:                              ;   in Loop: Header=BB19_3 Depth=1
	s_andn2_saveexec_b64 s[2:3], s[50:51]
; %bb.68:                               ;   in Loop: Header=BB19_3 Depth=1
	v_cmp_lt_i32_e32 vcc, 1, v11
	s_andn2_b64 s[50:51], s[52:53], exec
	s_and_b64 s[52:53], vcc, exec
	s_mov_b64 s[4:5], exec
	s_andn2_b64 s[48:49], s[48:49], exec
	s_andn2_b64 s[46:47], s[46:47], exec
	;; [unrolled: 1-line block ×3, first 2 shown]
	s_or_b64 s[52:53], s[50:51], s[52:53]
; %bb.69:                               ;   in Loop: Header=BB19_3 Depth=1
	s_or_b64 exec, exec, s[2:3]
	s_mov_b64 s[2:3], 0
	s_mov_b64 s[50:51], s[48:49]
	s_and_saveexec_b64 s[54:55], s[52:53]
	s_cbranch_execnz .LBB19_72
; %bb.70:                               ;   in Loop: Header=BB19_3 Depth=1
	s_or_b64 exec, exec, s[54:55]
	s_and_saveexec_b64 s[52:53], s[4:5]
	s_cbranch_execnz .LBB19_75
.LBB19_71:                              ;   in Loop: Header=BB19_3 Depth=1
	s_or_b64 exec, exec, s[52:53]
	s_and_saveexec_b64 s[4:5], s[2:3]
	s_cbranch_execnz .LBB19_76
	s_branch .LBB19_79
.LBB19_72:                              ;   in Loop: Header=BB19_3 Depth=1
	v_lshlrev_b64 v[12:13], 2, v[2:3]
	v_mov_b32_e32 v2, s13
	v_add_co_u32_e32 v12, vcc, s12, v12
	v_addc_co_u32_e32 v13, vcc, v2, v13, vcc
	global_load_dword v2, v[12:13], off
	s_waitcnt vmcnt(0)
	v_cmp_le_f32_e32 vcc, 0, v2
	v_cmp_ge_f32_e64 s[2:3], 1.0, v2
	s_and_b64 s[50:51], vcc, s[2:3]
	s_mov_b64 s[2:3], 0
	s_and_saveexec_b64 s[52:53], s[50:51]
	s_xor_b64 s[50:51], exec, s[52:53]
	s_cbranch_execz .LBB19_74
; %bb.73:                               ;   in Loop: Header=BB19_3 Depth=1
	v_cvt_f32_u32_e32 v7, v7
	v_mov_b32_e32 v9, 0x2f800000
	s_mov_b64 s[2:3], exec
	v_fmac_f32_e32 v9, 0x2f800000, v7
	v_cmp_le_f32_e32 vcc, v9, v2
	v_cndmask_b32_e64 v2, 0, 1, vcc
	s_waitcnt lgkmcnt(0)
	global_store_byte v10, v2, s[14:15]
.LBB19_74:                              ;   in Loop: Header=BB19_3 Depth=1
	s_or_b64 exec, exec, s[50:51]
	s_andn2_b64 s[50:51], s[48:49], exec
	s_or_b64 s[48:49], s[48:49], exec
	s_andn2_b64 s[46:47], s[46:47], exec
	s_andn2_b64 s[44:45], s[44:45], exec
	s_and_b64 s[2:3], s[2:3], exec
	s_andn2_b64 s[4:5], s[4:5], exec
	s_or_b64 exec, exec, s[54:55]
	s_and_saveexec_b64 s[52:53], s[4:5]
	s_cbranch_execz .LBB19_71
.LBB19_75:                              ;   in Loop: Header=BB19_3 Depth=1
	v_cmp_eq_u32_e32 vcc, 1, v11
	s_andn2_b64 s[2:3], s[2:3], exec
	s_and_b64 s[4:5], vcc, exec
	s_andn2_b64 s[50:51], s[50:51], exec
	s_andn2_b64 s[48:49], s[48:49], exec
	;; [unrolled: 1-line block ×4, first 2 shown]
	s_or_b64 s[42:43], s[42:43], exec
	s_or_b64 s[2:3], s[2:3], s[4:5]
	s_or_b64 exec, exec, s[52:53]
	s_and_saveexec_b64 s[4:5], s[2:3]
	s_cbranch_execz .LBB19_79
.LBB19_76:                              ;   in Loop: Header=BB19_3 Depth=1
	s_waitcnt vmcnt(0)
	v_mov_b32_e32 v9, v3
	v_lshlrev_b64 v[8:9], 2, v[8:9]
	v_mov_b32_e32 v2, s13
	v_add_co_u32_e32 v8, vcc, s12, v8
	v_addc_co_u32_e32 v9, vcc, v2, v9, vcc
	global_load_dword v2, v[8:9], off
	s_waitcnt vmcnt(0)
	v_cmp_le_f32_e32 vcc, 0, v2
	v_cmp_ge_f32_e64 s[2:3], 1.0, v2
	s_and_b64 s[54:55], vcc, s[2:3]
	s_mov_b64 s[2:3], 0
	s_and_saveexec_b64 s[52:53], s[54:55]
	s_cbranch_execz .LBB19_78
; %bb.77:                               ;   in Loop: Header=BB19_3 Depth=1
	v_cvt_f32_u32_e32 v7, v16
	v_mov_b32_e32 v8, 0x2f800000
	s_mov_b64 s[2:3], exec
	v_fmac_f32_e32 v8, 0x2f800000, v7
	v_cmp_le_f32_e32 vcc, v8, v2
	v_cndmask_b32_e64 v2, 0, 1, vcc
	s_waitcnt lgkmcnt(0)
	global_store_byte v6, v2, s[14:15]
.LBB19_78:                              ;   in Loop: Header=BB19_3 Depth=1
	s_or_b64 exec, exec, s[52:53]
	s_andn2_b64 s[42:43], s[42:43], exec
	s_and_b64 s[2:3], s[2:3], exec
	s_or_b64 s[50:51], s[50:51], exec
	s_andn2_b64 s[48:49], s[48:49], exec
	s_andn2_b64 s[46:47], s[46:47], exec
	;; [unrolled: 1-line block ×3, first 2 shown]
	s_or_b64 s[42:43], s[42:43], s[2:3]
.LBB19_79:                              ;   in Loop: Header=BB19_3 Depth=1
	s_or_b64 exec, exec, s[4:5]
	s_andn2_b64 s[4:5], s[40:41], exec
	s_and_b64 s[40:41], s[50:51], exec
	s_or_b64 s[40:41], s[4:5], s[40:41]
	s_andn2_b64 s[4:5], s[38:39], exec
	s_and_b64 s[38:39], s[48:49], exec
	s_or_b64 s[38:39], s[4:5], s[38:39]
	s_andn2_b64 s[4:5], s[36:37], exec
	s_and_b64 s[36:37], s[46:47], exec
	s_or_b64 s[36:37], s[4:5], s[36:37]
	s_andn2_b64 s[4:5], s[34:35], exec
	s_and_b64 s[34:35], s[44:45], exec
	s_mov_b64 s[2:3], -1
	s_or_b64 s[34:35], s[4:5], s[34:35]
	s_and_saveexec_b64 s[4:5], s[42:43]
	s_cbranch_execz .LBB19_2
; %bb.80:                               ;   in Loop: Header=BB19_3 Depth=1
	v_add_u32_e32 v34, s59, v34
	v_cmp_le_u32_e32 vcc, s33, v34
	s_andn2_b64 s[40:41], s[40:41], exec
	s_andn2_b64 s[38:39], s[38:39], exec
	;; [unrolled: 1-line block ×4, first 2 shown]
	s_orn2_b64 s[2:3], vcc, exec
	s_branch .LBB19_2
.LBB19_81:
	s_or_b64 exec, exec, s[24:25]
	s_xor_b64 s[6:7], s[30:31], -1
	s_xor_b64 s[8:9], s[28:29], -1
	;; [unrolled: 1-line block ×3, first 2 shown]
	s_mov_b64 s[2:3], 0
	s_and_saveexec_b64 s[4:5], s[0:1]
	s_xor_b64 s[0:1], exec, s[4:5]
	s_cbranch_execnz .LBB19_86
; %bb.82:
	s_andn2_saveexec_b64 s[0:1], s[0:1]
	s_cbranch_execnz .LBB19_94
.LBB19_83:
	s_or_b64 exec, exec, s[0:1]
	s_and_b64 exec, exec, s[2:3]
.LBB19_84:
	; divergent unreachable
.LBB19_85:
	s_endpgm
.LBB19_86:
	s_mov_b64 s[4:5], 0
	s_and_saveexec_b64 s[2:3], s[8:9]
	s_xor_b64 s[2:3], exec, s[2:3]
	s_cbranch_execz .LBB19_92
; %bb.87:
	s_and_saveexec_b64 s[8:9], s[6:7]
	s_xor_b64 s[6:7], exec, s[8:9]
	s_cbranch_execz .LBB19_90
; %bb.88:
	s_and_saveexec_b64 s[8:9], s[18:19]
	s_xor_b64 s[8:9], exec, s[8:9]
	s_cbranch_execnz .LBB19_97
.LBB19_89:
	s_or_b64 exec, exec, s[8:9]
	s_and_b64 s[4:5], s[4:5], exec
.LBB19_90:
	s_andn2_saveexec_b64 s[6:7], s[6:7]
	s_cbranch_execnz .LBB19_96
.LBB19_91:
	s_or_b64 exec, exec, s[6:7]
	s_and_b64 s[4:5], s[4:5], exec
.LBB19_92:
	s_andn2_saveexec_b64 s[2:3], s[2:3]
	s_cbranch_execnz .LBB19_95
.LBB19_93:
	s_or_b64 exec, exec, s[2:3]
	s_and_b64 s[2:3], s[4:5], exec
	s_andn2_saveexec_b64 s[0:1], s[0:1]
	s_cbranch_execz .LBB19_83
.LBB19_94:
	s_or_b64 s[2:3], s[2:3], exec
	s_trap 2
	s_or_b64 exec, exec, s[0:1]
	s_and_b64 exec, exec, s[2:3]
	s_cbranch_execnz .LBB19_84
	s_branch .LBB19_85
.LBB19_95:
	s_or_b64 s[4:5], s[4:5], exec
	s_trap 2
	s_branch .LBB19_93
.LBB19_96:
	s_trap 2
	s_or_b64 s[4:5], s[4:5], exec
	s_branch .LBB19_91
.LBB19_97:
	s_mov_b64 s[4:5], exec
	s_trap 2
	s_branch .LBB19_89
	.section	.rodata,"a",@progbits
	.p2align	6, 0x0
	.amdhsa_kernel _ZN2at4cuda12_GLOBAL__N_121kernelPointwiseApply2IZNS_6native9templates4cuda28bernoulli_tensor_cuda_kernelIhfEEvRKNS_10TensorBaseES9_NS_15PhiloxCudaStateEEUliRhSB_SB_SB_RKfSD_SD_SD_E_hSC_jLin1ELin1ELi4ELi512ELi2EEEvNS0_6detail10TensorInfoIT0_T2_EENSG_IT1_SI_EESI_T_
		.amdhsa_group_segment_fixed_size 0
		.amdhsa_private_segment_fixed_size 0
		.amdhsa_kernarg_size 728
		.amdhsa_user_sgpr_count 6
		.amdhsa_user_sgpr_private_segment_buffer 1
		.amdhsa_user_sgpr_dispatch_ptr 0
		.amdhsa_user_sgpr_queue_ptr 0
		.amdhsa_user_sgpr_kernarg_segment_ptr 1
		.amdhsa_user_sgpr_dispatch_id 0
		.amdhsa_user_sgpr_flat_scratch_init 0
		.amdhsa_user_sgpr_kernarg_preload_length 0
		.amdhsa_user_sgpr_kernarg_preload_offset 0
		.amdhsa_user_sgpr_private_segment_size 0
		.amdhsa_uses_dynamic_stack 0
		.amdhsa_system_sgpr_private_segment_wavefront_offset 0
		.amdhsa_system_sgpr_workgroup_id_x 1
		.amdhsa_system_sgpr_workgroup_id_y 0
		.amdhsa_system_sgpr_workgroup_id_z 0
		.amdhsa_system_sgpr_workgroup_info 0
		.amdhsa_system_vgpr_workitem_id 0
		.amdhsa_next_free_vgpr 52
		.amdhsa_next_free_sgpr 64
		.amdhsa_accum_offset 52
		.amdhsa_reserve_vcc 1
		.amdhsa_reserve_flat_scratch 0
		.amdhsa_float_round_mode_32 0
		.amdhsa_float_round_mode_16_64 0
		.amdhsa_float_denorm_mode_32 3
		.amdhsa_float_denorm_mode_16_64 3
		.amdhsa_dx10_clamp 1
		.amdhsa_ieee_mode 1
		.amdhsa_fp16_overflow 0
		.amdhsa_tg_split 0
		.amdhsa_exception_fp_ieee_invalid_op 0
		.amdhsa_exception_fp_denorm_src 0
		.amdhsa_exception_fp_ieee_div_zero 0
		.amdhsa_exception_fp_ieee_overflow 0
		.amdhsa_exception_fp_ieee_underflow 0
		.amdhsa_exception_fp_ieee_inexact 0
		.amdhsa_exception_int_div_zero 0
	.end_amdhsa_kernel
	.section	.text._ZN2at4cuda12_GLOBAL__N_121kernelPointwiseApply2IZNS_6native9templates4cuda28bernoulli_tensor_cuda_kernelIhfEEvRKNS_10TensorBaseES9_NS_15PhiloxCudaStateEEUliRhSB_SB_SB_RKfSD_SD_SD_E_hSC_jLin1ELin1ELi4ELi512ELi2EEEvNS0_6detail10TensorInfoIT0_T2_EENSG_IT1_SI_EESI_T_,"axG",@progbits,_ZN2at4cuda12_GLOBAL__N_121kernelPointwiseApply2IZNS_6native9templates4cuda28bernoulli_tensor_cuda_kernelIhfEEvRKNS_10TensorBaseES9_NS_15PhiloxCudaStateEEUliRhSB_SB_SB_RKfSD_SD_SD_E_hSC_jLin1ELin1ELi4ELi512ELi2EEEvNS0_6detail10TensorInfoIT0_T2_EENSG_IT1_SI_EESI_T_,comdat
.Lfunc_end19:
	.size	_ZN2at4cuda12_GLOBAL__N_121kernelPointwiseApply2IZNS_6native9templates4cuda28bernoulli_tensor_cuda_kernelIhfEEvRKNS_10TensorBaseES9_NS_15PhiloxCudaStateEEUliRhSB_SB_SB_RKfSD_SD_SD_E_hSC_jLin1ELin1ELi4ELi512ELi2EEEvNS0_6detail10TensorInfoIT0_T2_EENSG_IT1_SI_EESI_T_, .Lfunc_end19-_ZN2at4cuda12_GLOBAL__N_121kernelPointwiseApply2IZNS_6native9templates4cuda28bernoulli_tensor_cuda_kernelIhfEEvRKNS_10TensorBaseES9_NS_15PhiloxCudaStateEEUliRhSB_SB_SB_RKfSD_SD_SD_E_hSC_jLin1ELin1ELi4ELi512ELi2EEEvNS0_6detail10TensorInfoIT0_T2_EENSG_IT1_SI_EESI_T_
                                        ; -- End function
	.section	.AMDGPU.csdata,"",@progbits
; Kernel info:
; codeLenInByte = 4364
; NumSgprs: 68
; NumVgprs: 52
; NumAgprs: 0
; TotalNumVgprs: 52
; ScratchSize: 0
; MemoryBound: 0
; FloatMode: 240
; IeeeMode: 1
; LDSByteSize: 0 bytes/workgroup (compile time only)
; SGPRBlocks: 8
; VGPRBlocks: 6
; NumSGPRsForWavesPerEU: 68
; NumVGPRsForWavesPerEU: 52
; AccumOffset: 52
; Occupancy: 8
; WaveLimiterHint : 1
; COMPUTE_PGM_RSRC2:SCRATCH_EN: 0
; COMPUTE_PGM_RSRC2:USER_SGPR: 6
; COMPUTE_PGM_RSRC2:TRAP_HANDLER: 0
; COMPUTE_PGM_RSRC2:TGID_X_EN: 1
; COMPUTE_PGM_RSRC2:TGID_Y_EN: 0
; COMPUTE_PGM_RSRC2:TGID_Z_EN: 0
; COMPUTE_PGM_RSRC2:TIDIG_COMP_CNT: 0
; COMPUTE_PGM_RSRC3_GFX90A:ACCUM_OFFSET: 12
; COMPUTE_PGM_RSRC3_GFX90A:TG_SPLIT: 0
	.section	.text._ZN2at4cuda12_GLOBAL__N_121kernelPointwiseApply2IZNS_6native9templates4cuda28bernoulli_tensor_cuda_kernelIhfEEvRKNS_10TensorBaseES9_NS_15PhiloxCudaStateEEUliRhSB_SB_SB_RKfSD_SD_SD_E_hSC_mLi1ELi1ELi4ELi512ELi2EEEvNS0_6detail10TensorInfoIT0_T2_EENSG_IT1_SI_EESI_T_,"axG",@progbits,_ZN2at4cuda12_GLOBAL__N_121kernelPointwiseApply2IZNS_6native9templates4cuda28bernoulli_tensor_cuda_kernelIhfEEvRKNS_10TensorBaseES9_NS_15PhiloxCudaStateEEUliRhSB_SB_SB_RKfSD_SD_SD_E_hSC_mLi1ELi1ELi4ELi512ELi2EEEvNS0_6detail10TensorInfoIT0_T2_EENSG_IT1_SI_EESI_T_,comdat
	.globl	_ZN2at4cuda12_GLOBAL__N_121kernelPointwiseApply2IZNS_6native9templates4cuda28bernoulli_tensor_cuda_kernelIhfEEvRKNS_10TensorBaseES9_NS_15PhiloxCudaStateEEUliRhSB_SB_SB_RKfSD_SD_SD_E_hSC_mLi1ELi1ELi4ELi512ELi2EEEvNS0_6detail10TensorInfoIT0_T2_EENSG_IT1_SI_EESI_T_ ; -- Begin function _ZN2at4cuda12_GLOBAL__N_121kernelPointwiseApply2IZNS_6native9templates4cuda28bernoulli_tensor_cuda_kernelIhfEEvRKNS_10TensorBaseES9_NS_15PhiloxCudaStateEEUliRhSB_SB_SB_RKfSD_SD_SD_E_hSC_mLi1ELi1ELi4ELi512ELi2EEEvNS0_6detail10TensorInfoIT0_T2_EENSG_IT1_SI_EESI_T_
	.p2align	8
	.type	_ZN2at4cuda12_GLOBAL__N_121kernelPointwiseApply2IZNS_6native9templates4cuda28bernoulli_tensor_cuda_kernelIhfEEvRKNS_10TensorBaseES9_NS_15PhiloxCudaStateEEUliRhSB_SB_SB_RKfSD_SD_SD_E_hSC_mLi1ELi1ELi4ELi512ELi2EEEvNS0_6detail10TensorInfoIT0_T2_EENSG_IT1_SI_EESI_T_,@function
_ZN2at4cuda12_GLOBAL__N_121kernelPointwiseApply2IZNS_6native9templates4cuda28bernoulli_tensor_cuda_kernelIhfEEvRKNS_10TensorBaseES9_NS_15PhiloxCudaStateEEUliRhSB_SB_SB_RKfSD_SD_SD_E_hSC_mLi1ELi1ELi4ELi512ELi2EEEvNS0_6detail10TensorInfoIT0_T2_EENSG_IT1_SI_EESI_T_: ; @_ZN2at4cuda12_GLOBAL__N_121kernelPointwiseApply2IZNS_6native9templates4cuda28bernoulli_tensor_cuda_kernelIhfEEvRKNS_10TensorBaseES9_NS_15PhiloxCudaStateEEUliRhSB_SB_SB_RKfSD_SD_SD_E_hSC_mLi1ELi1ELi4ELi512ELi2EEEvNS0_6detail10TensorInfoIT0_T2_EENSG_IT1_SI_EESI_T_
; %bb.0:
	s_load_dword s2, s[4:5], 0x374
	s_load_dwordx8 s[8:15], s[4:5], 0x340
	s_add_u32 s0, s4, 0x368
	s_addc_u32 s1, s5, 0
	v_mov_b32_e32 v1, 0
	s_waitcnt lgkmcnt(0)
	s_and_b32 s2, s2, 0xffff
	s_mul_i32 s6, s6, s2
	v_add_u32_e32 v5, s6, v0
	v_lshlrev_b32_e32 v0, 2, v5
	v_cmp_gt_u64_e32 vcc, s[8:9], v[0:1]
	s_and_saveexec_b64 s[6:7], vcc
	s_cbranch_execz .LBB20_43
; %bb.1:
	s_load_dword s3, s[0:1], 0x0
	s_load_dword s22, s[4:5], 0x360
	s_load_dwordx2 s[6:7], s[4:5], 0x0
	s_load_dwordx2 s[18:19], s[4:5], 0xd0
	;; [unrolled: 1-line block ×4, first 2 shown]
	s_waitcnt lgkmcnt(0)
	s_mul_i32 s3, s3, s2
	s_bitcmp1_b32 s22, 0
	s_mov_b32 s33, 0xcd9e8d57
	v_pk_mov_b32 v[6:7], s[18:19], s[18:19] op_sel:[0,1]
	s_cselect_b64 s[4:5], -1, 0
	v_mad_u64_u32 v[2:3], s[0:1], v5, s33, 0
	s_lshl_b32 s56, s3, 2
	v_mad_u64_u32 v[6:7], s[0:1], s18, v0, v[6:7]
	s_mul_i32 s0, s19, s56
	s_mul_hi_u32 s1, s18, s56
	v_add_co_u32_e32 v16, vcc, 2, v0
	s_add_i32 s58, s1, s0
	v_addc_co_u32_e64 v17, s[0:1], 0, 0, vcc
	v_add_co_u32_e32 v18, vcc, 3, v0
	v_mul_lo_u32 v10, s19, v16
	v_mul_lo_u32 v11, s18, v17
	v_mad_u64_u32 v[8:9], s[0:1], s18, v16, 0
	v_addc_co_u32_e64 v19, s[0:1], 0, 0, vcc
	v_add3_u32 v9, v9, v11, v10
	v_mul_lo_u32 v12, s19, v18
	v_mul_lo_u32 v13, s18, v19
	v_mad_u64_u32 v[10:11], s[0:1], s18, v18, 0
	v_mul_lo_u32 v14, s19, v0
	v_add3_u32 v11, v11, v13, v12
	v_mad_u64_u32 v[12:13], s[0:1], s18, v0, 0
	v_add_u32_e32 v7, v14, v7
	v_add_u32_e32 v13, v13, v14
	v_pk_mov_b32 v[14:15], s[20:21], s[20:21] op_sel:[0,1]
	v_mad_u64_u32 v[14:15], s[0:1], s20, v0, v[14:15]
	s_mul_i32 s0, s21, s56
	s_mul_hi_u32 s1, s20, s56
	s_add_i32 s60, s1, s0
	v_mul_lo_u32 v20, s21, v16
	v_mul_lo_u32 v21, s20, v17
	v_mad_u64_u32 v[16:17], s[0:1], s20, v16, 0
	v_add3_u32 v17, v17, v21, v20
	v_mul_lo_u32 v20, s21, v18
	v_mul_lo_u32 v21, s20, v19
	v_mad_u64_u32 v[18:19], s[0:1], s20, v18, 0
	v_mul_lo_u32 v22, s21, v0
	v_add3_u32 v19, v19, v21, v20
	v_mad_u64_u32 v[20:21], s[0:1], s20, v0, 0
	v_mov_b32_e32 v4, v3
	s_mov_b32 s57, 0
	v_sub_u32_e32 v3, s8, v0
	s_mul_i32 s59, s18, s56
	v_add_u32_e32 v15, v22, v15
	s_mul_i32 s61, s20, s56
	v_add_u32_e32 v21, v21, v22
	s_mov_b64 s[20:21], 0
	s_mov_b32 s62, 0xd2511f53
	v_mov_b32_e32 v38, s17
	s_mov_b32 s63, 0xf1bbcdc8
	s_mov_b64 s[36:37], 0
	s_mov_b64 s[40:41], 0
                                        ; implicit-def: $sgpr22_sgpr23
                                        ; implicit-def: $sgpr24_sgpr25
                                        ; implicit-def: $sgpr26_sgpr27
                                        ; implicit-def: $sgpr18_sgpr19
                                        ; implicit-def: $sgpr28_sgpr29
                                        ; implicit-def: $sgpr30_sgpr31
                                        ; implicit-def: $sgpr34_sgpr35
                                        ; implicit-def: $sgpr38_sgpr39
	s_branch .LBB20_3
.LBB20_2:                               ;   in Loop: Header=BB20_3 Depth=1
	s_or_b64 exec, exec, s[2:3]
	s_and_b64 s[0:1], exec, s[0:1]
	s_or_b64 s[20:21], s[0:1], s[20:21]
	s_andn2_b64 s[0:1], s[18:19], exec
	s_and_b64 s[2:3], s[38:39], exec
	s_or_b64 s[18:19], s[0:1], s[2:3]
	s_andn2_b64 s[0:1], s[26:27], exec
	s_and_b64 s[2:3], s[34:35], exec
	;; [unrolled: 3-line block ×4, first 2 shown]
	s_or_b64 s[22:23], s[0:1], s[2:3]
	s_andn2_b64 exec, exec, s[20:21]
	s_cbranch_execz .LBB20_39
.LBB20_3:                               ; =>This Inner Loop Header: Depth=1
	v_mov_b32_e32 v22, s37
	v_add_co_u32_e32 v24, vcc, s36, v18
	v_addc_co_u32_e32 v22, vcc, v19, v22, vcc
	v_cmp_lt_i32_e64 s[0:1], 3, v3
	v_cndmask_b32_e64 v23, 0, v22, s[0:1]
	v_cndmask_b32_e64 v22, 0, v24, s[0:1]
	v_lshlrev_b64 v[22:23], 2, v[22:23]
	v_add_co_u32_e32 v22, vcc, s16, v22
	v_addc_co_u32_e32 v23, vcc, v38, v23, vcc
	global_load_dword v39, v[22:23], off
	s_andn2_b64 vcc, exec, s[4:5]
	v_pk_mov_b32 v[22:23], s[12:13], s[12:13] op_sel:[0,1]
	v_pk_mov_b32 v[24:25], s[10:11], s[10:11] op_sel:[0,1]
	s_cbranch_vccnz .LBB20_5
; %bb.4:                                ;   in Loop: Header=BB20_3 Depth=1
	v_pk_mov_b32 v[22:23], s[12:13], s[12:13] op_sel:[0,1]
	flat_load_dwordx2 v[22:23], v[22:23]
	v_pk_mov_b32 v[24:25], s[10:11], s[10:11] op_sel:[0,1]
	flat_load_dwordx2 v[24:25], v[24:25]
	v_mov_b32_e32 v26, s15
	s_waitcnt vmcnt(0) lgkmcnt(0)
	v_add_co_u32_e32 v22, vcc, s14, v22
	v_addc_co_u32_e32 v23, vcc, v23, v26, vcc
.LBB20_5:                               ;   in Loop: Header=BB20_3 Depth=1
	v_alignbit_b32 v34, v23, v22, 2
	v_lshrrev_b32_e32 v35, 2, v23
	v_xor_b32_e32 v26, v4, v24
	v_and_b32_e32 v40, 3, v22
	v_mad_u64_u32 v[22:23], s[2:3], v34, s62, 0
	v_xor_b32_e32 v26, v26, v35
	v_xor_b32_e32 v23, v23, v25
	v_add_u32_e32 v45, 0xbb67ae85, v25
	v_mad_u64_u32 v[26:27], s[2:3], v26, s62, 0
	v_mad_u64_u32 v[28:29], s[2:3], v23, s33, 0
	v_xor_b32_e32 v27, v45, v27
	v_add_u32_e32 v44, 0x9e3779b9, v24
	v_xor_b32_e32 v23, v2, v29
	v_xor_b32_e32 v27, v27, v22
	v_xor_b32_e32 v23, v23, v44
	v_add_u32_e32 v46, 0x3c6ef372, v24
	v_mad_u64_u32 v[30:31], s[2:3], v27, s33, 0
	v_add_u32_e32 v47, 0x76cf5d0a, v25
	v_mad_u64_u32 v[22:23], s[2:3], v23, s62, 0
	v_xor_b32_e32 v27, v46, v31
	v_xor_b32_e32 v27, v27, v28
	v_xor_b32_e32 v23, v47, v23
	v_xor_b32_e32 v23, v23, v26
	v_add_u32_e32 v49, 0x32370b8f, v25
	v_mad_u64_u32 v[26:27], s[2:3], v27, s62, 0
	v_add_u32_e32 v48, 0xdaa66d2b, v24
	v_mad_u64_u32 v[28:29], s[2:3], v23, s33, 0
	v_xor_b32_e32 v27, v49, v27
	;; [unrolled: 8-line block ×5, first 2 shown]
	v_xor_b32_e32 v27, v27, v28
	v_xor_b32_e32 v23, v55, v23
	;; [unrolled: 1-line block ×3, first 2 shown]
	v_add_u32_e32 v57, 0x1fd5c5a3, v25
	v_mad_u64_u32 v[26:27], s[2:3], v27, s62, 0
	v_xor_b32_e32 v27, v57, v27
	v_xor_b32_e32 v22, v27, v22
	v_add_u32_e32 v56, 0x5384540f, v24
	v_mad_u64_u32 v[32:33], s[2:3], v23, s33, 0
	v_add_co_u32_e32 v42, vcc, s63, v24
	v_mad_u64_u32 v[28:29], s[2:3], v22, s33, 0
	v_xor_b32_e32 v23, v56, v33
	v_xor_b32_e32 v22, v42, v29
	;; [unrolled: 1-line block ×4, first 2 shown]
	v_mad_u64_u32 v[30:31], s[2:3], v23, s62, 0
	v_mad_u64_u32 v[22:23], s[2:3], v22, s62, 0
	v_add_u32_e32 v43, 0x96a522ad, v25
	v_xor_b32_e32 v23, v23, v30
	v_xor_b32_e32 v41, v43, v23
	v_add_co_u32_e32 v23, vcc, 1, v34
	v_cndmask_b32_e64 v30, 0, 1, vcc
	v_addc_co_u32_e32 v36, vcc, 0, v35, vcc
	v_cmp_eq_u32_e32 vcc, 0, v36
	v_cndmask_b32_e32 v30, 0, v30, vcc
	v_add_u32_e32 v34, v30, v5
	v_cmp_eq_u32_e32 vcc, 0, v34
	v_mad_u64_u32 v[32:33], s[2:3], v23, s62, 0
	v_mad_u64_u32 v[34:35], s[2:3], v34, s33, 0
	v_add_u32_e32 v29, 0x8ff34781, v24
	v_cndmask_b32_e32 v30, 0, v30, vcc
	v_xor_b32_e32 v23, v35, v24
	v_xor_b32_e32 v24, v33, v25
	;; [unrolled: 1-line block ×4, first 2 shown]
	v_mad_u64_u32 v[36:37], s[2:3], v30, s33, 0
	v_add_u32_e32 v27, 0xdb3d7428, v25
	v_mad_u64_u32 v[24:25], s[2:3], v23, s62, 0
	v_xor_b32_e32 v23, v44, v37
	v_xor_b32_e32 v23, v23, v34
	v_xor_b32_e32 v25, v45, v25
	v_xor_b32_e32 v25, v25, v32
	v_mad_u64_u32 v[32:33], s[2:3], v23, s62, 0
	v_mad_u64_u32 v[34:35], s[2:3], v25, s33, 0
	v_xor_b32_e32 v25, v47, v33
	v_xor_b32_e32 v23, v46, v35
	v_xor_b32_e32 v30, v25, v24
	v_xor_b32_e32 v23, v23, v36
	v_mad_u64_u32 v[36:37], s[2:3], v30, s33, 0
	;; [unrolled: 6-line block ×7, first 2 shown]
	v_xor_b32_e32 v23, v27, v35
	v_xor_b32_e32 v23, v23, v24
	v_mad_u64_u32 v[36:37], s[2:3], v25, s33, 0
	v_mad_u64_u32 v[24:25], s[2:3], v23, s33, 0
	v_xor_b32_e32 v23, v25, v36
	v_xor_b32_e32 v23, v29, v23
	v_cmp_lt_i32_e32 vcc, 1, v40
                                        ; implicit-def: $vgpr33
	s_and_saveexec_b64 s[2:3], vcc
	s_xor_b64 s[2:3], exec, s[2:3]
	s_cbranch_execz .LBB20_11
; %bb.6:                                ;   in Loop: Header=BB20_3 Depth=1
	v_cmp_lt_i32_e32 vcc, 2, v40
                                        ; implicit-def: $vgpr33
	s_and_saveexec_b64 s[42:43], vcc
	s_xor_b64 s[42:43], exec, s[42:43]
; %bb.7:                                ;   in Loop: Header=BB20_3 Depth=1
	v_xor_b32_e32 v25, v42, v37
	v_xor_b32_e32 v25, v25, v32
	v_mul_hi_u32 v25, v25, s62
	v_xor_b32_e32 v25, v25, v34
	v_xor_b32_e32 v33, v43, v25
                                        ; implicit-def: $vgpr41
; %bb.8:                                ;   in Loop: Header=BB20_3 Depth=1
	s_andn2_saveexec_b64 s[42:43], s[42:43]
; %bb.9:                                ;   in Loop: Header=BB20_3 Depth=1
	v_mov_b32_e32 v33, v24
	v_mov_b32_e32 v24, v23
	;; [unrolled: 1-line block ×4, first 2 shown]
; %bb.10:                               ;   in Loop: Header=BB20_3 Depth=1
	s_or_b64 exec, exec, s[42:43]
                                        ; implicit-def: $vgpr26_vgpr27
                                        ; implicit-def: $vgpr28_vgpr29
                                        ; implicit-def: $vgpr40
                                        ; implicit-def: $vgpr41
                                        ; implicit-def: $vgpr30_vgpr31
                                        ; implicit-def: $vgpr27
                                        ; implicit-def: $vgpr29
.LBB20_11:                              ;   in Loop: Header=BB20_3 Depth=1
	s_andn2_saveexec_b64 s[2:3], s[2:3]
	s_cbranch_execz .LBB20_15
; %bb.12:                               ;   in Loop: Header=BB20_3 Depth=1
	v_xor_b32_e32 v24, v27, v31
	v_xor_b32_e32 v24, v24, v26
	v_mad_u64_u32 v[26:27], s[42:43], v24, s33, 0
	v_xor_b32_e32 v24, v27, v28
	v_xor_b32_e32 v25, v29, v24
	v_cmp_eq_u32_e32 vcc, 1, v40
	v_mov_b32_e32 v33, v22
	v_mov_b32_e32 v24, v41
	;; [unrolled: 1-line block ×3, first 2 shown]
	s_and_saveexec_b64 s[42:43], vcc
; %bb.13:                               ;   in Loop: Header=BB20_3 Depth=1
	v_mov_b32_e32 v33, v23
	v_mov_b32_e32 v24, v22
	;; [unrolled: 1-line block ×4, first 2 shown]
; %bb.14:                               ;   in Loop: Header=BB20_3 Depth=1
	s_or_b64 exec, exec, s[42:43]
	v_mov_b32_e32 v22, v25
	v_mov_b32_e32 v23, v27
.LBB20_15:                              ;   in Loop: Header=BB20_3 Depth=1
	s_or_b64 exec, exec, s[2:3]
	v_min_i32_e32 v25, 4, v3
	v_cmp_lt_i32_e32 vcc, 2, v25
	s_mov_b64 s[42:43], 0
	s_mov_b64 s[2:3], 0
                                        ; implicit-def: $sgpr44_sgpr45
                                        ; implicit-def: $sgpr46_sgpr47
                                        ; implicit-def: $sgpr48_sgpr49
	s_and_saveexec_b64 s[50:51], vcc
	s_xor_b64 s[50:51], exec, s[50:51]
	s_cbranch_execz .LBB20_25
; %bb.16:                               ;   in Loop: Header=BB20_3 Depth=1
	v_cmp_lt_i32_e32 vcc, 3, v25
	s_mov_b64 s[2:3], -1
                                        ; implicit-def: $sgpr44_sgpr45
                                        ; implicit-def: $sgpr52_sgpr53
	s_and_saveexec_b64 s[46:47], vcc
	s_cbranch_execz .LBB20_20
; %bb.17:                               ;   in Loop: Header=BB20_3 Depth=1
	s_waitcnt vmcnt(0)
	v_cmp_le_f32_e32 vcc, 0, v39
	v_cmp_ge_f32_e64 s[2:3], 1.0, v39
	s_and_b64 s[52:53], vcc, s[2:3]
	s_mov_b64 s[44:45], 0
	s_mov_b64 s[2:3], 0
	s_and_saveexec_b64 s[48:49], s[52:53]
	s_cbranch_execz .LBB20_19
; %bb.18:                               ;   in Loop: Header=BB20_3 Depth=1
	v_cvt_f32_u32_e32 v26, v33
	v_mov_b32_e32 v28, 0x2f800000
	v_mov_b32_e32 v27, s41
	;; [unrolled: 1-line block ×3, first 2 shown]
	v_fmac_f32_e32 v28, 0x2f800000, v26
	v_add_co_u32_e32 v26, vcc, s40, v10
	v_addc_co_u32_e32 v27, vcc, v11, v27, vcc
	v_cndmask_b32_e64 v26, 0, v26, s[0:1]
	v_cndmask_b32_e64 v27, 0, v27, s[0:1]
	v_add_co_u32_e32 v26, vcc, s6, v26
	v_addc_co_u32_e32 v27, vcc, v29, v27, vcc
	v_cmp_le_f32_e32 vcc, v28, v39
	s_mov_b64 s[2:3], exec
	v_cndmask_b32_e64 v28, 0, 1, vcc
	global_store_byte v[26:27], v28, off
.LBB20_19:                              ;   in Loop: Header=BB20_3 Depth=1
	s_or_b64 exec, exec, s[48:49]
	s_mov_b64 s[52:53], -1
	s_orn2_b64 s[2:3], s[2:3], exec
.LBB20_20:                              ;   in Loop: Header=BB20_3 Depth=1
	s_or_b64 exec, exec, s[46:47]
	s_mov_b64 s[0:1], 0
	s_mov_b64 s[48:49], s[44:45]
	s_and_saveexec_b64 s[46:47], s[2:3]
	s_cbranch_execz .LBB20_24
; %bb.21:                               ;   in Loop: Header=BB20_3 Depth=1
	v_mov_b32_e32 v26, s37
	v_add_co_u32_e32 v28, vcc, s36, v16
	v_addc_co_u32_e32 v26, vcc, v17, v26, vcc
	v_cmp_lt_i32_e32 vcc, 2, v3
	v_cndmask_b32_e32 v27, 0, v26, vcc
	v_cndmask_b32_e32 v26, 0, v28, vcc
	v_lshlrev_b64 v[26:27], 2, v[26:27]
	v_mov_b32_e32 v28, s17
	v_add_co_u32_e64 v26, s[0:1], s16, v26
	v_addc_co_u32_e64 v27, s[0:1], v28, v27, s[0:1]
	global_load_dword v26, v[26:27], off
	s_waitcnt vmcnt(0)
	v_cmp_le_f32_e64 s[0:1], 0, v26
	v_cmp_ge_f32_e64 s[2:3], 1.0, v26
	s_and_b64 s[0:1], s[0:1], s[2:3]
	s_mov_b64 s[2:3], 0
	s_and_saveexec_b64 s[48:49], s[0:1]
	s_xor_b64 s[48:49], exec, s[48:49]
	s_cbranch_execz .LBB20_23
; %bb.22:                               ;   in Loop: Header=BB20_3 Depth=1
	v_cvt_f32_u32_e32 v24, v24
	v_mov_b32_e32 v27, 0x2f800000
	v_mov_b32_e32 v28, s41
	;; [unrolled: 1-line block ×3, first 2 shown]
	v_fmac_f32_e32 v27, 0x2f800000, v24
	v_add_co_u32_e64 v24, s[0:1], s40, v8
	v_addc_co_u32_e64 v28, s[0:1], v9, v28, s[0:1]
	v_cndmask_b32_e32 v24, 0, v24, vcc
	v_cndmask_b32_e32 v29, 0, v28, vcc
	v_add_co_u32_e32 v28, vcc, s6, v24
	v_addc_co_u32_e32 v29, vcc, v30, v29, vcc
	v_cmp_le_f32_e32 vcc, v27, v26
	v_cndmask_b32_e64 v24, 0, 1, vcc
	s_mov_b64 s[2:3], exec
	global_store_byte v[28:29], v24, off
.LBB20_23:                              ;   in Loop: Header=BB20_3 Depth=1
	s_or_b64 exec, exec, s[48:49]
	s_andn2_b64 s[48:49], s[44:45], exec
	s_or_b64 s[44:45], s[44:45], exec
	s_andn2_b64 s[52:53], s[52:53], exec
	s_and_b64 s[0:1], s[2:3], exec
.LBB20_24:                              ;   in Loop: Header=BB20_3 Depth=1
	s_or_b64 exec, exec, s[46:47]
	s_and_b64 s[48:49], s[48:49], exec
	s_and_b64 s[46:47], s[44:45], exec
	;; [unrolled: 1-line block ×4, first 2 shown]
.LBB20_25:                              ;   in Loop: Header=BB20_3 Depth=1
	s_andn2_saveexec_b64 s[0:1], s[50:51]
; %bb.26:                               ;   in Loop: Header=BB20_3 Depth=1
	v_cmp_lt_i32_e32 vcc, 1, v25
	s_andn2_b64 s[2:3], s[2:3], exec
	s_and_b64 s[50:51], vcc, exec
	s_mov_b64 s[42:43], exec
	s_andn2_b64 s[48:49], s[48:49], exec
	s_andn2_b64 s[46:47], s[46:47], exec
	;; [unrolled: 1-line block ×3, first 2 shown]
	s_or_b64 s[2:3], s[2:3], s[50:51]
; %bb.27:                               ;   in Loop: Header=BB20_3 Depth=1
	s_or_b64 exec, exec, s[0:1]
	s_mov_b64 s[50:51], 0
	s_mov_b64 s[0:1], 0
	s_mov_b64 s[52:53], s[48:49]
	s_and_saveexec_b64 s[54:55], s[2:3]
	s_cbranch_execnz .LBB20_30
; %bb.28:                               ;   in Loop: Header=BB20_3 Depth=1
	s_or_b64 exec, exec, s[54:55]
	s_and_saveexec_b64 s[2:3], s[42:43]
	s_cbranch_execnz .LBB20_33
.LBB20_29:                              ;   in Loop: Header=BB20_3 Depth=1
	s_or_b64 exec, exec, s[2:3]
	s_and_saveexec_b64 s[42:43], s[0:1]
	s_cbranch_execnz .LBB20_34
	s_branch .LBB20_37
.LBB20_30:                              ;   in Loop: Header=BB20_3 Depth=1
	v_mov_b32_e32 v24, s37
	v_add_co_u32_e32 v26, vcc, s36, v14
	v_addc_co_u32_e32 v24, vcc, v15, v24, vcc
	v_cmp_lt_i32_e32 vcc, 1, v3
	v_cndmask_b32_e32 v27, 0, v24, vcc
	v_cndmask_b32_e32 v26, 0, v26, vcc
	v_lshlrev_b64 v[26:27], 2, v[26:27]
	v_mov_b32_e32 v24, s17
	v_add_co_u32_e64 v26, s[0:1], s16, v26
	v_addc_co_u32_e64 v27, s[0:1], v24, v27, s[0:1]
	global_load_dword v24, v[26:27], off
	s_waitcnt vmcnt(0)
	v_cmp_le_f32_e64 s[0:1], 0, v24
	v_cmp_ge_f32_e64 s[2:3], 1.0, v24
	s_and_b64 s[0:1], s[0:1], s[2:3]
	s_mov_b64 s[2:3], 0
	s_and_saveexec_b64 s[52:53], s[0:1]
	s_xor_b64 s[52:53], exec, s[52:53]
	s_cbranch_execz .LBB20_32
; %bb.31:                               ;   in Loop: Header=BB20_3 Depth=1
	v_cvt_f32_u32_e32 v23, v23
	v_mov_b32_e32 v28, 0x2f800000
	v_mov_b32_e32 v26, s41
	;; [unrolled: 1-line block ×3, first 2 shown]
	v_fmac_f32_e32 v28, 0x2f800000, v23
	v_add_co_u32_e64 v23, s[0:1], s40, v6
	v_addc_co_u32_e64 v26, s[0:1], v7, v26, s[0:1]
	v_cndmask_b32_e32 v23, 0, v23, vcc
	v_cndmask_b32_e32 v27, 0, v26, vcc
	v_add_co_u32_e32 v26, vcc, s6, v23
	v_addc_co_u32_e32 v27, vcc, v29, v27, vcc
	v_cmp_le_f32_e32 vcc, v28, v24
	v_cndmask_b32_e64 v23, 0, 1, vcc
	s_mov_b64 s[2:3], exec
	global_store_byte v[26:27], v23, off
.LBB20_32:                              ;   in Loop: Header=BB20_3 Depth=1
	s_or_b64 exec, exec, s[52:53]
	s_andn2_b64 s[52:53], s[48:49], exec
	s_or_b64 s[48:49], s[48:49], exec
	s_andn2_b64 s[46:47], s[46:47], exec
	s_andn2_b64 s[44:45], s[44:45], exec
	s_and_b64 s[0:1], s[2:3], exec
	s_andn2_b64 s[42:43], s[42:43], exec
	s_or_b64 exec, exec, s[54:55]
	s_and_saveexec_b64 s[2:3], s[42:43]
	s_cbranch_execz .LBB20_29
.LBB20_33:                              ;   in Loop: Header=BB20_3 Depth=1
	v_cmp_eq_u32_e32 vcc, 1, v25
	s_andn2_b64 s[0:1], s[0:1], exec
	s_and_b64 s[42:43], vcc, exec
	s_mov_b64 s[50:51], exec
	s_andn2_b64 s[52:53], s[52:53], exec
	s_andn2_b64 s[48:49], s[48:49], exec
	;; [unrolled: 1-line block ×4, first 2 shown]
	s_or_b64 s[0:1], s[0:1], s[42:43]
	s_or_b64 exec, exec, s[2:3]
	s_and_saveexec_b64 s[42:43], s[0:1]
	s_cbranch_execz .LBB20_37
.LBB20_34:                              ;   in Loop: Header=BB20_3 Depth=1
	v_mov_b32_e32 v23, s37
	v_add_co_u32_e32 v24, vcc, s36, v20
	v_addc_co_u32_e32 v23, vcc, v21, v23, vcc
	v_cmp_lt_i32_e32 vcc, 0, v3
	v_cndmask_b32_e32 v25, 0, v23, vcc
	v_cndmask_b32_e32 v24, 0, v24, vcc
	v_lshlrev_b64 v[24:25], 2, v[24:25]
	v_mov_b32_e32 v23, s17
	v_add_co_u32_e64 v24, s[0:1], s16, v24
	v_addc_co_u32_e64 v25, s[0:1], v23, v25, s[0:1]
	global_load_dword v23, v[24:25], off
	s_waitcnt vmcnt(0)
	v_cmp_le_f32_e64 s[0:1], 0, v23
	v_cmp_ge_f32_e64 s[2:3], 1.0, v23
	s_and_b64 s[0:1], s[0:1], s[2:3]
	s_mov_b64 s[2:3], 0
	s_and_saveexec_b64 s[54:55], s[0:1]
	s_cbranch_execz .LBB20_36
; %bb.35:                               ;   in Loop: Header=BB20_3 Depth=1
	v_cvt_f32_u32_e32 v22, v22
	v_mov_b32_e32 v26, 0x2f800000
	v_mov_b32_e32 v24, s41
	;; [unrolled: 1-line block ×3, first 2 shown]
	v_fmac_f32_e32 v26, 0x2f800000, v22
	v_add_co_u32_e64 v22, s[0:1], s40, v12
	v_addc_co_u32_e64 v24, s[0:1], v13, v24, s[0:1]
	v_cndmask_b32_e32 v22, 0, v22, vcc
	v_cndmask_b32_e32 v25, 0, v24, vcc
	v_add_co_u32_e32 v24, vcc, s6, v22
	v_addc_co_u32_e32 v25, vcc, v27, v25, vcc
	v_cmp_le_f32_e32 vcc, v26, v23
	s_mov_b64 s[2:3], exec
	v_cndmask_b32_e64 v22, 0, 1, vcc
	global_store_byte v[24:25], v22, off
.LBB20_36:                              ;   in Loop: Header=BB20_3 Depth=1
	s_or_b64 exec, exec, s[54:55]
	s_andn2_b64 s[0:1], s[50:51], exec
	s_and_b64 s[2:3], s[2:3], exec
	s_or_b64 s[52:53], s[52:53], exec
	s_andn2_b64 s[48:49], s[48:49], exec
	s_andn2_b64 s[46:47], s[46:47], exec
	;; [unrolled: 1-line block ×3, first 2 shown]
	s_or_b64 s[50:51], s[0:1], s[2:3]
.LBB20_37:                              ;   in Loop: Header=BB20_3 Depth=1
	s_or_b64 exec, exec, s[42:43]
	s_andn2_b64 s[2:3], s[38:39], exec
	s_and_b64 s[38:39], s[52:53], exec
	s_or_b64 s[38:39], s[2:3], s[38:39]
	s_andn2_b64 s[2:3], s[34:35], exec
	s_and_b64 s[34:35], s[48:49], exec
	s_or_b64 s[34:35], s[2:3], s[34:35]
	;; [unrolled: 3-line block ×3, first 2 shown]
	s_andn2_b64 s[2:3], s[28:29], exec
	s_and_b64 s[28:29], s[44:45], exec
	s_mov_b64 s[0:1], -1
	s_or_b64 s[28:29], s[2:3], s[28:29]
	s_and_saveexec_b64 s[2:3], s[50:51]
	s_cbranch_execz .LBB20_2
; %bb.38:                               ;   in Loop: Header=BB20_3 Depth=1
	v_mov_b32_e32 v22, s57
	v_add_co_u32_e32 v0, vcc, s56, v0
	s_add_u32 s40, s40, s59
	v_addc_co_u32_e32 v1, vcc, v1, v22, vcc
	s_addc_u32 s41, s41, s58
	s_add_u32 s36, s36, s61
	v_cmp_le_u64_e32 vcc, s[8:9], v[0:1]
	v_subrev_u32_e32 v3, s56, v3
	s_addc_u32 s37, s37, s60
	s_andn2_b64 s[38:39], s[38:39], exec
	s_andn2_b64 s[34:35], s[34:35], exec
	;; [unrolled: 1-line block ×4, first 2 shown]
	s_orn2_b64 s[0:1], vcc, exec
	s_branch .LBB20_2
.LBB20_39:
	s_or_b64 exec, exec, s[20:21]
	s_xor_b64 s[6:7], s[26:27], -1
	s_xor_b64 s[8:9], s[24:25], -1
	;; [unrolled: 1-line block ×3, first 2 shown]
	s_mov_b64 s[2:3], 0
	s_and_saveexec_b64 s[4:5], s[0:1]
	s_xor_b64 s[0:1], exec, s[4:5]
	s_cbranch_execnz .LBB20_44
; %bb.40:
	s_andn2_saveexec_b64 s[0:1], s[0:1]
	s_cbranch_execnz .LBB20_52
.LBB20_41:
	s_or_b64 exec, exec, s[0:1]
	s_and_b64 exec, exec, s[2:3]
.LBB20_42:
	; divergent unreachable
.LBB20_43:
	s_endpgm
.LBB20_44:
	s_mov_b64 s[4:5], 0
	s_and_saveexec_b64 s[2:3], s[8:9]
	s_xor_b64 s[2:3], exec, s[2:3]
	s_cbranch_execz .LBB20_50
; %bb.45:
	s_and_saveexec_b64 s[8:9], s[6:7]
	s_xor_b64 s[6:7], exec, s[8:9]
	s_cbranch_execz .LBB20_48
; %bb.46:
	s_and_saveexec_b64 s[8:9], s[18:19]
	s_xor_b64 s[8:9], exec, s[8:9]
	s_cbranch_execnz .LBB20_55
.LBB20_47:
	s_or_b64 exec, exec, s[8:9]
	s_and_b64 s[4:5], s[4:5], exec
.LBB20_48:
	s_andn2_saveexec_b64 s[6:7], s[6:7]
	s_cbranch_execnz .LBB20_54
.LBB20_49:
	s_or_b64 exec, exec, s[6:7]
	s_and_b64 s[4:5], s[4:5], exec
.LBB20_50:
	s_andn2_saveexec_b64 s[2:3], s[2:3]
	s_cbranch_execnz .LBB20_53
.LBB20_51:
	s_or_b64 exec, exec, s[2:3]
	s_and_b64 s[2:3], s[4:5], exec
	s_andn2_saveexec_b64 s[0:1], s[0:1]
	s_cbranch_execz .LBB20_41
.LBB20_52:
	s_or_b64 s[2:3], s[2:3], exec
	s_trap 2
	s_or_b64 exec, exec, s[0:1]
	s_and_b64 exec, exec, s[2:3]
	s_cbranch_execnz .LBB20_42
	s_branch .LBB20_43
.LBB20_53:
	s_or_b64 s[4:5], s[4:5], exec
	s_trap 2
	s_branch .LBB20_51
.LBB20_54:
	s_trap 2
	s_or_b64 s[4:5], s[4:5], exec
	s_branch .LBB20_49
.LBB20_55:
	s_mov_b64 s[4:5], exec
	s_trap 2
	s_branch .LBB20_47
	.section	.rodata,"a",@progbits
	.p2align	6, 0x0
	.amdhsa_kernel _ZN2at4cuda12_GLOBAL__N_121kernelPointwiseApply2IZNS_6native9templates4cuda28bernoulli_tensor_cuda_kernelIhfEEvRKNS_10TensorBaseES9_NS_15PhiloxCudaStateEEUliRhSB_SB_SB_RKfSD_SD_SD_E_hSC_mLi1ELi1ELi4ELi512ELi2EEEvNS0_6detail10TensorInfoIT0_T2_EENSG_IT1_SI_EESI_T_
		.amdhsa_group_segment_fixed_size 0
		.amdhsa_private_segment_fixed_size 0
		.amdhsa_kernarg_size 1128
		.amdhsa_user_sgpr_count 6
		.amdhsa_user_sgpr_private_segment_buffer 1
		.amdhsa_user_sgpr_dispatch_ptr 0
		.amdhsa_user_sgpr_queue_ptr 0
		.amdhsa_user_sgpr_kernarg_segment_ptr 1
		.amdhsa_user_sgpr_dispatch_id 0
		.amdhsa_user_sgpr_flat_scratch_init 0
		.amdhsa_user_sgpr_kernarg_preload_length 0
		.amdhsa_user_sgpr_kernarg_preload_offset 0
		.amdhsa_user_sgpr_private_segment_size 0
		.amdhsa_uses_dynamic_stack 0
		.amdhsa_system_sgpr_private_segment_wavefront_offset 0
		.amdhsa_system_sgpr_workgroup_id_x 1
		.amdhsa_system_sgpr_workgroup_id_y 0
		.amdhsa_system_sgpr_workgroup_id_z 0
		.amdhsa_system_sgpr_workgroup_info 0
		.amdhsa_system_vgpr_workitem_id 0
		.amdhsa_next_free_vgpr 58
		.amdhsa_next_free_sgpr 64
		.amdhsa_accum_offset 60
		.amdhsa_reserve_vcc 1
		.amdhsa_reserve_flat_scratch 0
		.amdhsa_float_round_mode_32 0
		.amdhsa_float_round_mode_16_64 0
		.amdhsa_float_denorm_mode_32 3
		.amdhsa_float_denorm_mode_16_64 3
		.amdhsa_dx10_clamp 1
		.amdhsa_ieee_mode 1
		.amdhsa_fp16_overflow 0
		.amdhsa_tg_split 0
		.amdhsa_exception_fp_ieee_invalid_op 0
		.amdhsa_exception_fp_denorm_src 0
		.amdhsa_exception_fp_ieee_div_zero 0
		.amdhsa_exception_fp_ieee_overflow 0
		.amdhsa_exception_fp_ieee_underflow 0
		.amdhsa_exception_fp_ieee_inexact 0
		.amdhsa_exception_int_div_zero 0
	.end_amdhsa_kernel
	.section	.text._ZN2at4cuda12_GLOBAL__N_121kernelPointwiseApply2IZNS_6native9templates4cuda28bernoulli_tensor_cuda_kernelIhfEEvRKNS_10TensorBaseES9_NS_15PhiloxCudaStateEEUliRhSB_SB_SB_RKfSD_SD_SD_E_hSC_mLi1ELi1ELi4ELi512ELi2EEEvNS0_6detail10TensorInfoIT0_T2_EENSG_IT1_SI_EESI_T_,"axG",@progbits,_ZN2at4cuda12_GLOBAL__N_121kernelPointwiseApply2IZNS_6native9templates4cuda28bernoulli_tensor_cuda_kernelIhfEEvRKNS_10TensorBaseES9_NS_15PhiloxCudaStateEEUliRhSB_SB_SB_RKfSD_SD_SD_E_hSC_mLi1ELi1ELi4ELi512ELi2EEEvNS0_6detail10TensorInfoIT0_T2_EENSG_IT1_SI_EESI_T_,comdat
.Lfunc_end20:
	.size	_ZN2at4cuda12_GLOBAL__N_121kernelPointwiseApply2IZNS_6native9templates4cuda28bernoulli_tensor_cuda_kernelIhfEEvRKNS_10TensorBaseES9_NS_15PhiloxCudaStateEEUliRhSB_SB_SB_RKfSD_SD_SD_E_hSC_mLi1ELi1ELi4ELi512ELi2EEEvNS0_6detail10TensorInfoIT0_T2_EENSG_IT1_SI_EESI_T_, .Lfunc_end20-_ZN2at4cuda12_GLOBAL__N_121kernelPointwiseApply2IZNS_6native9templates4cuda28bernoulli_tensor_cuda_kernelIhfEEvRKNS_10TensorBaseES9_NS_15PhiloxCudaStateEEUliRhSB_SB_SB_RKfSD_SD_SD_E_hSC_mLi1ELi1ELi4ELi512ELi2EEEvNS0_6detail10TensorInfoIT0_T2_EENSG_IT1_SI_EESI_T_
                                        ; -- End function
	.section	.AMDGPU.csdata,"",@progbits
; Kernel info:
; codeLenInByte = 2912
; NumSgprs: 68
; NumVgprs: 58
; NumAgprs: 0
; TotalNumVgprs: 58
; ScratchSize: 0
; MemoryBound: 0
; FloatMode: 240
; IeeeMode: 1
; LDSByteSize: 0 bytes/workgroup (compile time only)
; SGPRBlocks: 8
; VGPRBlocks: 7
; NumSGPRsForWavesPerEU: 68
; NumVGPRsForWavesPerEU: 58
; AccumOffset: 60
; Occupancy: 8
; WaveLimiterHint : 1
; COMPUTE_PGM_RSRC2:SCRATCH_EN: 0
; COMPUTE_PGM_RSRC2:USER_SGPR: 6
; COMPUTE_PGM_RSRC2:TRAP_HANDLER: 0
; COMPUTE_PGM_RSRC2:TGID_X_EN: 1
; COMPUTE_PGM_RSRC2:TGID_Y_EN: 0
; COMPUTE_PGM_RSRC2:TGID_Z_EN: 0
; COMPUTE_PGM_RSRC2:TIDIG_COMP_CNT: 0
; COMPUTE_PGM_RSRC3_GFX90A:ACCUM_OFFSET: 14
; COMPUTE_PGM_RSRC3_GFX90A:TG_SPLIT: 0
	.section	.text._ZN2at4cuda12_GLOBAL__N_121kernelPointwiseApply2IZNS_6native9templates4cuda28bernoulli_tensor_cuda_kernelIhfEEvRKNS_10TensorBaseES9_NS_15PhiloxCudaStateEEUliRhSB_SB_SB_RKfSD_SD_SD_E_hSC_mLin1ELin1ELi4ELi512ELi2EEEvNS0_6detail10TensorInfoIT0_T2_EENSG_IT1_SI_EESI_T_,"axG",@progbits,_ZN2at4cuda12_GLOBAL__N_121kernelPointwiseApply2IZNS_6native9templates4cuda28bernoulli_tensor_cuda_kernelIhfEEvRKNS_10TensorBaseES9_NS_15PhiloxCudaStateEEUliRhSB_SB_SB_RKfSD_SD_SD_E_hSC_mLin1ELin1ELi4ELi512ELi2EEEvNS0_6detail10TensorInfoIT0_T2_EENSG_IT1_SI_EESI_T_,comdat
	.globl	_ZN2at4cuda12_GLOBAL__N_121kernelPointwiseApply2IZNS_6native9templates4cuda28bernoulli_tensor_cuda_kernelIhfEEvRKNS_10TensorBaseES9_NS_15PhiloxCudaStateEEUliRhSB_SB_SB_RKfSD_SD_SD_E_hSC_mLin1ELin1ELi4ELi512ELi2EEEvNS0_6detail10TensorInfoIT0_T2_EENSG_IT1_SI_EESI_T_ ; -- Begin function _ZN2at4cuda12_GLOBAL__N_121kernelPointwiseApply2IZNS_6native9templates4cuda28bernoulli_tensor_cuda_kernelIhfEEvRKNS_10TensorBaseES9_NS_15PhiloxCudaStateEEUliRhSB_SB_SB_RKfSD_SD_SD_E_hSC_mLin1ELin1ELi4ELi512ELi2EEEvNS0_6detail10TensorInfoIT0_T2_EENSG_IT1_SI_EESI_T_
	.p2align	8
	.type	_ZN2at4cuda12_GLOBAL__N_121kernelPointwiseApply2IZNS_6native9templates4cuda28bernoulli_tensor_cuda_kernelIhfEEvRKNS_10TensorBaseES9_NS_15PhiloxCudaStateEEUliRhSB_SB_SB_RKfSD_SD_SD_E_hSC_mLin1ELin1ELi4ELi512ELi2EEEvNS0_6detail10TensorInfoIT0_T2_EENSG_IT1_SI_EESI_T_,@function
_ZN2at4cuda12_GLOBAL__N_121kernelPointwiseApply2IZNS_6native9templates4cuda28bernoulli_tensor_cuda_kernelIhfEEvRKNS_10TensorBaseES9_NS_15PhiloxCudaStateEEUliRhSB_SB_SB_RKfSD_SD_SD_E_hSC_mLin1ELin1ELi4ELi512ELi2EEEvNS0_6detail10TensorInfoIT0_T2_EENSG_IT1_SI_EESI_T_: ; @_ZN2at4cuda12_GLOBAL__N_121kernelPointwiseApply2IZNS_6native9templates4cuda28bernoulli_tensor_cuda_kernelIhfEEvRKNS_10TensorBaseES9_NS_15PhiloxCudaStateEEUliRhSB_SB_SB_RKfSD_SD_SD_E_hSC_mLin1ELin1ELi4ELi512ELi2EEEvNS0_6detail10TensorInfoIT0_T2_EENSG_IT1_SI_EESI_T_
; %bb.0:
	s_load_dword s2, s[4:5], 0x374
	s_load_dwordx8 s[8:15], s[4:5], 0x340
	s_add_u32 s0, s4, 0x368
	s_addc_u32 s1, s5, 0
	v_mov_b32_e32 v2, 0
	s_waitcnt lgkmcnt(0)
	s_and_b32 s2, s2, 0xffff
	s_mul_i32 s6, s6, s2
	v_add_u32_e32 v7, s6, v0
	v_lshlrev_b32_e32 v0, 2, v7
	v_mov_b32_e32 v1, v2
	v_cmp_gt_u64_e32 vcc, s[8:9], v[0:1]
	s_and_saveexec_b64 s[6:7], vcc
	s_cbranch_execz .LBB21_114
; %bb.1:
	s_load_dword s0, s[0:1], 0x0
	s_add_u32 s6, s4, 0x1a0
	s_load_dword s7, s[4:5], 0x198
	s_load_dwordx2 s[20:21], s[4:5], 0x270
	s_addc_u32 s28, s5, 0
	s_waitcnt lgkmcnt(0)
	s_mul_i32 s29, s0, s2
	s_load_dword s2, s[4:5], 0x360
	s_load_dword s34, s[4:5], 0x338
	s_load_dwordx2 s[16:17], s[4:5], 0x1a0
	s_load_dwordx2 s[18:19], s[4:5], 0xd0
	;; [unrolled: 1-line block ×3, first 2 shown]
	s_cmp_gt_i32 s7, 1
	s_cselect_b64 s[0:1], -1, 0
	s_waitcnt lgkmcnt(0)
	s_cmp_gt_i32 s34, 1
	s_mov_b32 s33, 0xcd9e8d57
	s_cselect_b64 s[22:23], -1, 0
	s_bitcmp1_b32 s2, 0
	v_mad_u64_u32 v[4:5], s[2:3], v7, s33, 0
	s_mov_b32 s63, 0
	s_cselect_b64 s[26:27], -1, 0
	s_add_i32 s2, s7, -1
	s_mov_b32 s3, s63
	s_lshl_b32 s62, s29, 2
	s_add_i32 s64, s7, 1
	s_lshl_b64 s[2:3], s[2:3], 3
	s_add_u32 s2, s2, s4
	s_addc_u32 s3, s3, s5
	s_add_u32 s30, s2, 8
	s_addc_u32 s31, s3, 0
	s_add_i32 s2, s34, -1
	s_mov_b32 s3, s63
	s_add_i32 s65, s34, 1
	s_lshl_b64 s[2:3], s[2:3], 3
	s_add_u32 s2, s2, s6
	s_addc_u32 s3, s3, s28
	s_add_u32 s34, s2, 8
	v_mov_b32_e32 v6, v5
	s_addc_u32 s35, s3, 0
	s_mov_b64 s[36:37], 0
	v_cndmask_b32_e64 v5, 0, 1, s[0:1]
	s_mov_b32 s66, 0xd2511f53
	s_mov_b32 s67, 0xf1bbcdc8
                                        ; implicit-def: $sgpr38_sgpr39
                                        ; implicit-def: $sgpr40_sgpr41
                                        ; implicit-def: $sgpr42_sgpr43
                                        ; implicit-def: $sgpr28_sgpr29
                                        ; implicit-def: $sgpr44_sgpr45
                                        ; implicit-def: $sgpr46_sgpr47
                                        ; implicit-def: $sgpr48_sgpr49
                                        ; implicit-def: $sgpr50_sgpr51
	s_branch .LBB21_3
.LBB21_2:                               ;   in Loop: Header=BB21_3 Depth=1
	s_or_b64 exec, exec, s[2:3]
	s_and_b64 s[0:1], exec, s[0:1]
	s_or_b64 s[36:37], s[0:1], s[36:37]
	s_andn2_b64 s[0:1], s[28:29], exec
	s_and_b64 s[2:3], s[50:51], exec
	s_or_b64 s[28:29], s[0:1], s[2:3]
	s_andn2_b64 s[0:1], s[42:43], exec
	s_and_b64 s[2:3], s[48:49], exec
	;; [unrolled: 3-line block ×4, first 2 shown]
	s_or_b64 s[38:39], s[0:1], s[2:3]
	s_andn2_b64 exec, exec, s[36:37]
	s_cbranch_execz .LBB21_110
.LBB21_3:                               ; =>This Loop Header: Depth=1
                                        ;     Child Loop BB21_5 Depth 2
                                        ;     Child Loop BB21_14 Depth 2
	;; [unrolled: 1-line block ×8, first 2 shown]
	v_sub_u32_e32 v38, s8, v0
	v_cmp_lt_i32_e64 s[4:5], 0, v38
	v_pk_mov_b32 v[8:9], 0, 0
	v_cmp_ne_u32_e64 s[0:1], 1, v5
	s_and_saveexec_b64 s[6:7], s[4:5]
	s_cbranch_execz .LBB21_12
; %bb.4:                                ;   in Loop: Header=BB21_3 Depth=1
	s_and_b64 vcc, exec, s[0:1]
	v_pk_mov_b32 v[8:9], 0, 0
	s_mov_b64 s[52:53], s[30:31]
	s_mov_b32 s58, s64
	v_pk_mov_b32 v[10:11], v[0:1], v[0:1] op_sel:[0,1]
	v_pk_mov_b32 v[12:13], v[0:1], v[0:1] op_sel:[0,1]
	s_cbranch_vccnz .LBB21_11
.LBB21_5:                               ;   Parent Loop BB21_3 Depth=1
                                        ; =>  This Inner Loop Header: Depth=2
	s_load_dwordx2 s[54:55], s[52:53], 0x0
                                        ; implicit-def: $vgpr12_vgpr13
	s_waitcnt lgkmcnt(0)
	v_or_b32_e32 v3, s55, v11
	v_cmp_ne_u64_e32 vcc, 0, v[2:3]
	s_and_saveexec_b64 s[2:3], vcc
	s_xor_b64 s[56:57], exec, s[2:3]
	s_cbranch_execz .LBB21_7
; %bb.6:                                ;   in Loop: Header=BB21_5 Depth=2
	v_cvt_f32_u32_e32 v3, s54
	v_cvt_f32_u32_e32 v12, s55
	s_sub_u32 s2, 0, s54
	s_subb_u32 s3, 0, s55
	v_mac_f32_e32 v3, 0x4f800000, v12
	v_rcp_f32_e32 v3, v3
	v_mul_f32_e32 v3, 0x5f7ffffc, v3
	v_mul_f32_e32 v12, 0x2f800000, v3
	v_trunc_f32_e32 v12, v12
	v_mac_f32_e32 v3, 0xcf800000, v12
	v_cvt_u32_f32_e32 v12, v12
	v_cvt_u32_f32_e32 v3, v3
	v_mul_lo_u32 v13, s2, v12
	v_mul_hi_u32 v15, s2, v3
	v_mul_lo_u32 v14, s3, v3
	v_add_u32_e32 v13, v15, v13
	v_mul_lo_u32 v16, s2, v3
	v_add_u32_e32 v13, v13, v14
	v_mul_hi_u32 v15, v3, v16
	v_mul_lo_u32 v17, v3, v13
	v_mul_hi_u32 v14, v3, v13
	v_add_co_u32_e32 v15, vcc, v15, v17
	v_addc_co_u32_e32 v14, vcc, 0, v14, vcc
	v_mul_hi_u32 v18, v12, v16
	v_mul_lo_u32 v16, v12, v16
	v_add_co_u32_e32 v15, vcc, v15, v16
	v_mul_hi_u32 v17, v12, v13
	v_addc_co_u32_e32 v14, vcc, v14, v18, vcc
	v_addc_co_u32_e32 v15, vcc, 0, v17, vcc
	v_mul_lo_u32 v13, v12, v13
	v_add_co_u32_e32 v13, vcc, v14, v13
	v_addc_co_u32_e32 v14, vcc, 0, v15, vcc
	v_add_co_u32_e32 v3, vcc, v3, v13
	v_addc_co_u32_e32 v12, vcc, v12, v14, vcc
	v_mul_lo_u32 v13, s2, v12
	v_mul_hi_u32 v14, s2, v3
	v_add_u32_e32 v13, v14, v13
	v_mul_lo_u32 v14, s3, v3
	v_add_u32_e32 v13, v13, v14
	v_mul_lo_u32 v15, s2, v3
	v_mul_hi_u32 v16, v12, v15
	v_mul_lo_u32 v17, v12, v15
	v_mul_lo_u32 v19, v3, v13
	v_mul_hi_u32 v15, v3, v15
	v_mul_hi_u32 v18, v3, v13
	v_add_co_u32_e32 v15, vcc, v15, v19
	v_addc_co_u32_e32 v18, vcc, 0, v18, vcc
	v_add_co_u32_e32 v15, vcc, v15, v17
	v_mul_hi_u32 v14, v12, v13
	v_addc_co_u32_e32 v15, vcc, v18, v16, vcc
	v_addc_co_u32_e32 v14, vcc, 0, v14, vcc
	v_mul_lo_u32 v13, v12, v13
	v_add_co_u32_e32 v13, vcc, v15, v13
	v_addc_co_u32_e32 v14, vcc, 0, v14, vcc
	v_add_co_u32_e32 v3, vcc, v3, v13
	v_addc_co_u32_e32 v14, vcc, v12, v14, vcc
	v_mad_u64_u32 v[12:13], s[2:3], v10, v14, 0
	v_mul_hi_u32 v15, v10, v3
	v_add_co_u32_e32 v16, vcc, v15, v12
	v_addc_co_u32_e32 v17, vcc, 0, v13, vcc
	v_mad_u64_u32 v[12:13], s[2:3], v11, v14, 0
	v_mad_u64_u32 v[14:15], s[2:3], v11, v3, 0
	v_add_co_u32_e32 v3, vcc, v16, v14
	v_addc_co_u32_e32 v3, vcc, v17, v15, vcc
	v_addc_co_u32_e32 v13, vcc, 0, v13, vcc
	v_add_co_u32_e32 v3, vcc, v3, v12
	v_addc_co_u32_e32 v14, vcc, 0, v13, vcc
	v_mul_lo_u32 v15, s55, v3
	v_mul_lo_u32 v16, s54, v14
	v_mad_u64_u32 v[12:13], s[2:3], s54, v3, 0
	v_add3_u32 v13, v13, v16, v15
	v_sub_u32_e32 v15, v11, v13
	v_mov_b32_e32 v16, s55
	v_sub_co_u32_e32 v12, vcc, v10, v12
	v_subb_co_u32_e64 v15, s[2:3], v15, v16, vcc
	v_subrev_co_u32_e64 v16, s[2:3], s54, v12
	v_subbrev_co_u32_e64 v15, s[2:3], 0, v15, s[2:3]
	v_cmp_le_u32_e64 s[2:3], s55, v15
	v_cndmask_b32_e64 v17, 0, -1, s[2:3]
	v_cmp_le_u32_e64 s[2:3], s54, v16
	v_cndmask_b32_e64 v16, 0, -1, s[2:3]
	v_cmp_eq_u32_e64 s[2:3], s55, v15
	v_cndmask_b32_e64 v15, v17, v16, s[2:3]
	v_add_co_u32_e64 v16, s[2:3], 2, v3
	v_addc_co_u32_e64 v17, s[2:3], 0, v14, s[2:3]
	v_add_co_u32_e64 v18, s[2:3], 1, v3
	v_addc_co_u32_e64 v19, s[2:3], 0, v14, s[2:3]
	v_subb_co_u32_e32 v13, vcc, v11, v13, vcc
	v_cmp_ne_u32_e64 s[2:3], 0, v15
	v_cmp_le_u32_e32 vcc, s55, v13
	v_cndmask_b32_e64 v15, v19, v17, s[2:3]
	v_cndmask_b32_e64 v17, 0, -1, vcc
	v_cmp_le_u32_e32 vcc, s54, v12
	v_cndmask_b32_e64 v12, 0, -1, vcc
	v_cmp_eq_u32_e32 vcc, s55, v13
	v_cndmask_b32_e32 v12, v17, v12, vcc
	v_cmp_ne_u32_e32 vcc, 0, v12
	v_cndmask_b32_e64 v12, v18, v16, s[2:3]
	v_cndmask_b32_e32 v13, v14, v15, vcc
	v_cndmask_b32_e32 v12, v3, v12, vcc
.LBB21_7:                               ;   in Loop: Header=BB21_5 Depth=2
	s_andn2_saveexec_b64 s[2:3], s[56:57]
	s_cbranch_execz .LBB21_9
; %bb.8:                                ;   in Loop: Header=BB21_5 Depth=2
	v_cvt_f32_u32_e32 v3, s54
	s_sub_i32 s56, 0, s54
	v_rcp_iflag_f32_e32 v3, v3
	v_mul_f32_e32 v3, 0x4f7ffffe, v3
	v_cvt_u32_f32_e32 v3, v3
	v_mul_lo_u32 v12, s56, v3
	v_mul_hi_u32 v12, v3, v12
	v_add_u32_e32 v3, v3, v12
	v_mul_hi_u32 v3, v10, v3
	v_mul_lo_u32 v12, v3, s54
	v_sub_u32_e32 v12, v10, v12
	v_add_u32_e32 v13, 1, v3
	v_subrev_u32_e32 v14, s54, v12
	v_cmp_le_u32_e32 vcc, s54, v12
	v_cndmask_b32_e32 v12, v12, v14, vcc
	v_cndmask_b32_e32 v3, v3, v13, vcc
	v_add_u32_e32 v13, 1, v3
	v_cmp_le_u32_e32 vcc, s54, v12
	v_cndmask_b32_e32 v12, v3, v13, vcc
	v_mov_b32_e32 v13, v2
.LBB21_9:                               ;   in Loop: Header=BB21_5 Depth=2
	s_or_b64 exec, exec, s[2:3]
	v_mad_u64_u32 v[14:15], s[2:3], v12, s54, 0
	s_load_dwordx2 s[2:3], s[52:53], 0xc8
	v_mul_lo_u32 v3, v13, s54
	v_mul_lo_u32 v16, v12, s55
	v_add3_u32 v3, v15, v16, v3
	v_sub_co_u32_e32 v10, vcc, v10, v14
	s_add_i32 s58, s58, -1
	v_subb_co_u32_e32 v3, vcc, v11, v3, vcc
	s_add_u32 s52, s52, -8
	s_waitcnt lgkmcnt(0)
	v_mul_lo_u32 v3, s2, v3
	v_mul_lo_u32 v11, s3, v10
	v_mad_u64_u32 v[8:9], s[2:3], s2, v10, v[8:9]
	s_addc_u32 s53, s53, -1
	s_cmp_gt_u32 s58, 2
	v_add3_u32 v9, v11, v9, v3
	s_cbranch_scc0 .LBB21_11
; %bb.10:                               ;   in Loop: Header=BB21_5 Depth=2
	v_pk_mov_b32 v[10:11], v[12:13], v[12:13] op_sel:[0,1]
	s_branch .LBB21_5
.LBB21_11:                              ;   in Loop: Header=BB21_3 Depth=1
	v_mad_u64_u32 v[8:9], s[2:3], s18, v12, v[8:9]
	v_mul_lo_u32 v3, s18, v13
	v_mul_lo_u32 v10, s19, v12
	v_add3_u32 v9, v10, v9, v3
.LBB21_12:                              ;   in Loop: Header=BB21_3 Depth=1
	s_or_b64 exec, exec, s[6:7]
	v_cndmask_b32_e64 v3, 0, 1, s[22:23]
	v_pk_mov_b32 v[10:11], 0, 0
	v_cmp_ne_u32_e64 s[2:3], 1, v3
	s_and_saveexec_b64 s[6:7], s[4:5]
	s_cbranch_execz .LBB21_21
; %bb.13:                               ;   in Loop: Header=BB21_3 Depth=1
	s_and_b64 vcc, exec, s[2:3]
	v_pk_mov_b32 v[10:11], 0, 0
	s_mov_b64 s[52:53], s[34:35]
	s_mov_b32 s58, s65
	v_pk_mov_b32 v[12:13], v[0:1], v[0:1] op_sel:[0,1]
	v_pk_mov_b32 v[14:15], v[0:1], v[0:1] op_sel:[0,1]
	s_cbranch_vccnz .LBB21_20
.LBB21_14:                              ;   Parent Loop BB21_3 Depth=1
                                        ; =>  This Inner Loop Header: Depth=2
	s_load_dwordx2 s[54:55], s[52:53], 0x0
                                        ; implicit-def: $vgpr14_vgpr15
	s_waitcnt lgkmcnt(0)
	v_or_b32_e32 v3, s55, v13
	v_cmp_ne_u64_e32 vcc, 0, v[2:3]
	s_and_saveexec_b64 s[4:5], vcc
	s_xor_b64 s[56:57], exec, s[4:5]
	s_cbranch_execz .LBB21_16
; %bb.15:                               ;   in Loop: Header=BB21_14 Depth=2
	v_cvt_f32_u32_e32 v3, s54
	v_cvt_f32_u32_e32 v14, s55
	s_sub_u32 s4, 0, s54
	s_subb_u32 s5, 0, s55
	v_mac_f32_e32 v3, 0x4f800000, v14
	v_rcp_f32_e32 v3, v3
	v_mul_f32_e32 v3, 0x5f7ffffc, v3
	v_mul_f32_e32 v14, 0x2f800000, v3
	v_trunc_f32_e32 v14, v14
	v_mac_f32_e32 v3, 0xcf800000, v14
	v_cvt_u32_f32_e32 v14, v14
	v_cvt_u32_f32_e32 v3, v3
	v_mul_lo_u32 v15, s4, v14
	v_mul_hi_u32 v17, s4, v3
	v_mul_lo_u32 v16, s5, v3
	v_add_u32_e32 v15, v17, v15
	v_mul_lo_u32 v18, s4, v3
	v_add_u32_e32 v15, v15, v16
	v_mul_hi_u32 v17, v3, v18
	v_mul_lo_u32 v19, v3, v15
	v_mul_hi_u32 v16, v3, v15
	v_add_co_u32_e32 v17, vcc, v17, v19
	v_addc_co_u32_e32 v16, vcc, 0, v16, vcc
	v_mul_hi_u32 v20, v14, v18
	v_mul_lo_u32 v18, v14, v18
	v_add_co_u32_e32 v17, vcc, v17, v18
	v_mul_hi_u32 v19, v14, v15
	v_addc_co_u32_e32 v16, vcc, v16, v20, vcc
	v_addc_co_u32_e32 v17, vcc, 0, v19, vcc
	v_mul_lo_u32 v15, v14, v15
	v_add_co_u32_e32 v15, vcc, v16, v15
	v_addc_co_u32_e32 v16, vcc, 0, v17, vcc
	v_add_co_u32_e32 v3, vcc, v3, v15
	v_addc_co_u32_e32 v14, vcc, v14, v16, vcc
	v_mul_lo_u32 v15, s4, v14
	v_mul_hi_u32 v16, s4, v3
	v_add_u32_e32 v15, v16, v15
	v_mul_lo_u32 v16, s5, v3
	v_add_u32_e32 v15, v15, v16
	v_mul_lo_u32 v17, s4, v3
	v_mul_hi_u32 v18, v14, v17
	v_mul_lo_u32 v19, v14, v17
	v_mul_lo_u32 v21, v3, v15
	v_mul_hi_u32 v17, v3, v17
	v_mul_hi_u32 v20, v3, v15
	v_add_co_u32_e32 v17, vcc, v17, v21
	v_addc_co_u32_e32 v20, vcc, 0, v20, vcc
	v_add_co_u32_e32 v17, vcc, v17, v19
	v_mul_hi_u32 v16, v14, v15
	v_addc_co_u32_e32 v17, vcc, v20, v18, vcc
	v_addc_co_u32_e32 v16, vcc, 0, v16, vcc
	v_mul_lo_u32 v15, v14, v15
	v_add_co_u32_e32 v15, vcc, v17, v15
	v_addc_co_u32_e32 v16, vcc, 0, v16, vcc
	v_add_co_u32_e32 v3, vcc, v3, v15
	v_addc_co_u32_e32 v16, vcc, v14, v16, vcc
	v_mad_u64_u32 v[14:15], s[4:5], v12, v16, 0
	v_mul_hi_u32 v17, v12, v3
	v_add_co_u32_e32 v18, vcc, v17, v14
	v_addc_co_u32_e32 v19, vcc, 0, v15, vcc
	v_mad_u64_u32 v[14:15], s[4:5], v13, v16, 0
	v_mad_u64_u32 v[16:17], s[4:5], v13, v3, 0
	v_add_co_u32_e32 v3, vcc, v18, v16
	v_addc_co_u32_e32 v3, vcc, v19, v17, vcc
	v_addc_co_u32_e32 v15, vcc, 0, v15, vcc
	v_add_co_u32_e32 v3, vcc, v3, v14
	v_addc_co_u32_e32 v16, vcc, 0, v15, vcc
	v_mul_lo_u32 v17, s55, v3
	v_mul_lo_u32 v18, s54, v16
	v_mad_u64_u32 v[14:15], s[4:5], s54, v3, 0
	v_add3_u32 v15, v15, v18, v17
	v_sub_u32_e32 v17, v13, v15
	v_mov_b32_e32 v18, s55
	v_sub_co_u32_e32 v14, vcc, v12, v14
	v_subb_co_u32_e64 v17, s[4:5], v17, v18, vcc
	v_subrev_co_u32_e64 v18, s[4:5], s54, v14
	v_subbrev_co_u32_e64 v17, s[4:5], 0, v17, s[4:5]
	v_cmp_le_u32_e64 s[4:5], s55, v17
	v_cndmask_b32_e64 v19, 0, -1, s[4:5]
	v_cmp_le_u32_e64 s[4:5], s54, v18
	v_cndmask_b32_e64 v18, 0, -1, s[4:5]
	v_cmp_eq_u32_e64 s[4:5], s55, v17
	v_cndmask_b32_e64 v17, v19, v18, s[4:5]
	v_add_co_u32_e64 v18, s[4:5], 2, v3
	v_addc_co_u32_e64 v19, s[4:5], 0, v16, s[4:5]
	v_add_co_u32_e64 v20, s[4:5], 1, v3
	v_addc_co_u32_e64 v21, s[4:5], 0, v16, s[4:5]
	v_subb_co_u32_e32 v15, vcc, v13, v15, vcc
	v_cmp_ne_u32_e64 s[4:5], 0, v17
	v_cmp_le_u32_e32 vcc, s55, v15
	v_cndmask_b32_e64 v17, v21, v19, s[4:5]
	v_cndmask_b32_e64 v19, 0, -1, vcc
	v_cmp_le_u32_e32 vcc, s54, v14
	v_cndmask_b32_e64 v14, 0, -1, vcc
	v_cmp_eq_u32_e32 vcc, s55, v15
	v_cndmask_b32_e32 v14, v19, v14, vcc
	v_cmp_ne_u32_e32 vcc, 0, v14
	v_cndmask_b32_e64 v14, v20, v18, s[4:5]
	v_cndmask_b32_e32 v15, v16, v17, vcc
	v_cndmask_b32_e32 v14, v3, v14, vcc
.LBB21_16:                              ;   in Loop: Header=BB21_14 Depth=2
	s_andn2_saveexec_b64 s[4:5], s[56:57]
	s_cbranch_execz .LBB21_18
; %bb.17:                               ;   in Loop: Header=BB21_14 Depth=2
	v_cvt_f32_u32_e32 v3, s54
	s_sub_i32 s56, 0, s54
	v_rcp_iflag_f32_e32 v3, v3
	v_mul_f32_e32 v3, 0x4f7ffffe, v3
	v_cvt_u32_f32_e32 v3, v3
	v_mul_lo_u32 v14, s56, v3
	v_mul_hi_u32 v14, v3, v14
	v_add_u32_e32 v3, v3, v14
	v_mul_hi_u32 v3, v12, v3
	v_mul_lo_u32 v14, v3, s54
	v_sub_u32_e32 v14, v12, v14
	v_add_u32_e32 v15, 1, v3
	v_subrev_u32_e32 v16, s54, v14
	v_cmp_le_u32_e32 vcc, s54, v14
	v_cndmask_b32_e32 v14, v14, v16, vcc
	v_cndmask_b32_e32 v3, v3, v15, vcc
	v_add_u32_e32 v15, 1, v3
	v_cmp_le_u32_e32 vcc, s54, v14
	v_cndmask_b32_e32 v14, v3, v15, vcc
	v_mov_b32_e32 v15, v2
.LBB21_18:                              ;   in Loop: Header=BB21_14 Depth=2
	s_or_b64 exec, exec, s[4:5]
	v_mad_u64_u32 v[16:17], s[4:5], v14, s54, 0
	s_load_dwordx2 s[4:5], s[52:53], 0xc8
	v_mul_lo_u32 v3, v15, s54
	v_mul_lo_u32 v18, v14, s55
	v_add3_u32 v3, v17, v18, v3
	v_sub_co_u32_e32 v12, vcc, v12, v16
	s_add_i32 s58, s58, -1
	v_subb_co_u32_e32 v3, vcc, v13, v3, vcc
	s_add_u32 s52, s52, -8
	s_waitcnt lgkmcnt(0)
	v_mul_lo_u32 v3, s4, v3
	v_mul_lo_u32 v13, s5, v12
	v_mad_u64_u32 v[10:11], s[4:5], s4, v12, v[10:11]
	s_addc_u32 s53, s53, -1
	s_cmp_gt_u32 s58, 2
	v_add3_u32 v11, v13, v11, v3
	s_cbranch_scc0 .LBB21_20
; %bb.19:                               ;   in Loop: Header=BB21_14 Depth=2
	v_pk_mov_b32 v[12:13], v[14:15], v[14:15] op_sel:[0,1]
	s_branch .LBB21_14
.LBB21_20:                              ;   in Loop: Header=BB21_3 Depth=1
	v_mad_u64_u32 v[10:11], s[4:5], s20, v14, v[10:11]
	v_mul_lo_u32 v3, s20, v15
	v_mul_lo_u32 v12, s21, v14
	v_add3_u32 v11, v12, v11, v3
.LBB21_21:                              ;   in Loop: Header=BB21_3 Depth=1
	s_or_b64 exec, exec, s[6:7]
	v_or_b32_e32 v16, 1, v0
	v_mov_b32_e32 v17, v1
	v_cmp_lt_i32_e64 s[4:5], 1, v38
	v_pk_mov_b32 v[12:13], 0, 0
	s_and_saveexec_b64 s[52:53], s[4:5]
	s_cbranch_execz .LBB21_30
; %bb.22:                               ;   in Loop: Header=BB21_3 Depth=1
	s_and_b64 vcc, exec, s[0:1]
	v_pk_mov_b32 v[12:13], 0, 0
	s_mov_b64 s[54:55], s[30:31]
	s_mov_b32 s60, s64
	v_pk_mov_b32 v[14:15], v[16:17], v[16:17] op_sel:[0,1]
	v_pk_mov_b32 v[18:19], v[16:17], v[16:17] op_sel:[0,1]
	s_cbranch_vccnz .LBB21_29
.LBB21_23:                              ;   Parent Loop BB21_3 Depth=1
                                        ; =>  This Inner Loop Header: Depth=2
	s_load_dwordx2 s[56:57], s[54:55], 0x0
                                        ; implicit-def: $vgpr18_vgpr19
	s_waitcnt lgkmcnt(0)
	v_or_b32_e32 v3, s57, v15
	v_cmp_ne_u64_e32 vcc, 0, v[2:3]
	s_and_saveexec_b64 s[6:7], vcc
	s_xor_b64 s[58:59], exec, s[6:7]
	s_cbranch_execz .LBB21_25
; %bb.24:                               ;   in Loop: Header=BB21_23 Depth=2
	v_cvt_f32_u32_e32 v3, s56
	v_cvt_f32_u32_e32 v18, s57
	s_sub_u32 s6, 0, s56
	s_subb_u32 s7, 0, s57
	v_mac_f32_e32 v3, 0x4f800000, v18
	v_rcp_f32_e32 v3, v3
	v_mul_f32_e32 v3, 0x5f7ffffc, v3
	v_mul_f32_e32 v18, 0x2f800000, v3
	v_trunc_f32_e32 v18, v18
	v_mac_f32_e32 v3, 0xcf800000, v18
	v_cvt_u32_f32_e32 v18, v18
	v_cvt_u32_f32_e32 v3, v3
	v_mul_lo_u32 v19, s6, v18
	v_mul_hi_u32 v21, s6, v3
	v_mul_lo_u32 v20, s7, v3
	v_add_u32_e32 v19, v21, v19
	v_mul_lo_u32 v22, s6, v3
	v_add_u32_e32 v19, v19, v20
	v_mul_hi_u32 v21, v3, v22
	v_mul_lo_u32 v23, v3, v19
	v_mul_hi_u32 v20, v3, v19
	v_add_co_u32_e32 v21, vcc, v21, v23
	v_addc_co_u32_e32 v20, vcc, 0, v20, vcc
	v_mul_hi_u32 v24, v18, v22
	v_mul_lo_u32 v22, v18, v22
	v_add_co_u32_e32 v21, vcc, v21, v22
	v_mul_hi_u32 v23, v18, v19
	v_addc_co_u32_e32 v20, vcc, v20, v24, vcc
	v_addc_co_u32_e32 v21, vcc, 0, v23, vcc
	v_mul_lo_u32 v19, v18, v19
	v_add_co_u32_e32 v19, vcc, v20, v19
	v_addc_co_u32_e32 v20, vcc, 0, v21, vcc
	v_add_co_u32_e32 v3, vcc, v3, v19
	v_addc_co_u32_e32 v18, vcc, v18, v20, vcc
	v_mul_lo_u32 v19, s6, v18
	v_mul_hi_u32 v20, s6, v3
	v_add_u32_e32 v19, v20, v19
	v_mul_lo_u32 v20, s7, v3
	v_add_u32_e32 v19, v19, v20
	v_mul_lo_u32 v21, s6, v3
	v_mul_hi_u32 v22, v18, v21
	v_mul_lo_u32 v23, v18, v21
	v_mul_lo_u32 v25, v3, v19
	v_mul_hi_u32 v21, v3, v21
	v_mul_hi_u32 v24, v3, v19
	v_add_co_u32_e32 v21, vcc, v21, v25
	v_addc_co_u32_e32 v24, vcc, 0, v24, vcc
	v_add_co_u32_e32 v21, vcc, v21, v23
	v_mul_hi_u32 v20, v18, v19
	v_addc_co_u32_e32 v21, vcc, v24, v22, vcc
	v_addc_co_u32_e32 v20, vcc, 0, v20, vcc
	v_mul_lo_u32 v19, v18, v19
	v_add_co_u32_e32 v19, vcc, v21, v19
	v_addc_co_u32_e32 v20, vcc, 0, v20, vcc
	v_add_co_u32_e32 v3, vcc, v3, v19
	v_addc_co_u32_e32 v20, vcc, v18, v20, vcc
	v_mad_u64_u32 v[18:19], s[6:7], v14, v20, 0
	v_mul_hi_u32 v21, v14, v3
	v_add_co_u32_e32 v22, vcc, v21, v18
	v_addc_co_u32_e32 v23, vcc, 0, v19, vcc
	v_mad_u64_u32 v[18:19], s[6:7], v15, v20, 0
	v_mad_u64_u32 v[20:21], s[6:7], v15, v3, 0
	v_add_co_u32_e32 v3, vcc, v22, v20
	v_addc_co_u32_e32 v3, vcc, v23, v21, vcc
	v_addc_co_u32_e32 v19, vcc, 0, v19, vcc
	v_add_co_u32_e32 v3, vcc, v3, v18
	v_addc_co_u32_e32 v20, vcc, 0, v19, vcc
	v_mul_lo_u32 v21, s57, v3
	v_mul_lo_u32 v22, s56, v20
	v_mad_u64_u32 v[18:19], s[6:7], s56, v3, 0
	v_add3_u32 v19, v19, v22, v21
	v_sub_u32_e32 v21, v15, v19
	v_mov_b32_e32 v22, s57
	v_sub_co_u32_e32 v18, vcc, v14, v18
	v_subb_co_u32_e64 v21, s[6:7], v21, v22, vcc
	v_subrev_co_u32_e64 v22, s[6:7], s56, v18
	v_subbrev_co_u32_e64 v21, s[6:7], 0, v21, s[6:7]
	v_cmp_le_u32_e64 s[6:7], s57, v21
	v_cndmask_b32_e64 v23, 0, -1, s[6:7]
	v_cmp_le_u32_e64 s[6:7], s56, v22
	v_cndmask_b32_e64 v22, 0, -1, s[6:7]
	v_cmp_eq_u32_e64 s[6:7], s57, v21
	v_cndmask_b32_e64 v21, v23, v22, s[6:7]
	v_add_co_u32_e64 v22, s[6:7], 2, v3
	v_addc_co_u32_e64 v23, s[6:7], 0, v20, s[6:7]
	v_add_co_u32_e64 v24, s[6:7], 1, v3
	v_addc_co_u32_e64 v25, s[6:7], 0, v20, s[6:7]
	v_subb_co_u32_e32 v19, vcc, v15, v19, vcc
	v_cmp_ne_u32_e64 s[6:7], 0, v21
	v_cmp_le_u32_e32 vcc, s57, v19
	v_cndmask_b32_e64 v21, v25, v23, s[6:7]
	v_cndmask_b32_e64 v23, 0, -1, vcc
	v_cmp_le_u32_e32 vcc, s56, v18
	v_cndmask_b32_e64 v18, 0, -1, vcc
	v_cmp_eq_u32_e32 vcc, s57, v19
	v_cndmask_b32_e32 v18, v23, v18, vcc
	v_cmp_ne_u32_e32 vcc, 0, v18
	v_cndmask_b32_e64 v18, v24, v22, s[6:7]
	v_cndmask_b32_e32 v19, v20, v21, vcc
	v_cndmask_b32_e32 v18, v3, v18, vcc
.LBB21_25:                              ;   in Loop: Header=BB21_23 Depth=2
	s_andn2_saveexec_b64 s[6:7], s[58:59]
	s_cbranch_execz .LBB21_27
; %bb.26:                               ;   in Loop: Header=BB21_23 Depth=2
	v_cvt_f32_u32_e32 v3, s56
	s_sub_i32 s58, 0, s56
	v_rcp_iflag_f32_e32 v3, v3
	v_mul_f32_e32 v3, 0x4f7ffffe, v3
	v_cvt_u32_f32_e32 v3, v3
	v_mul_lo_u32 v18, s58, v3
	v_mul_hi_u32 v18, v3, v18
	v_add_u32_e32 v3, v3, v18
	v_mul_hi_u32 v3, v14, v3
	v_mul_lo_u32 v18, v3, s56
	v_sub_u32_e32 v18, v14, v18
	v_add_u32_e32 v19, 1, v3
	v_subrev_u32_e32 v20, s56, v18
	v_cmp_le_u32_e32 vcc, s56, v18
	v_cndmask_b32_e32 v18, v18, v20, vcc
	v_cndmask_b32_e32 v3, v3, v19, vcc
	v_add_u32_e32 v19, 1, v3
	v_cmp_le_u32_e32 vcc, s56, v18
	v_cndmask_b32_e32 v18, v3, v19, vcc
	v_mov_b32_e32 v19, v2
.LBB21_27:                              ;   in Loop: Header=BB21_23 Depth=2
	s_or_b64 exec, exec, s[6:7]
	v_mad_u64_u32 v[20:21], s[6:7], v18, s56, 0
	s_load_dwordx2 s[6:7], s[54:55], 0xc8
	v_mul_lo_u32 v3, v19, s56
	v_mul_lo_u32 v22, v18, s57
	v_add3_u32 v3, v21, v22, v3
	v_sub_co_u32_e32 v14, vcc, v14, v20
	s_add_i32 s60, s60, -1
	v_subb_co_u32_e32 v3, vcc, v15, v3, vcc
	s_add_u32 s54, s54, -8
	s_waitcnt lgkmcnt(0)
	v_mul_lo_u32 v3, s6, v3
	v_mul_lo_u32 v15, s7, v14
	v_mad_u64_u32 v[12:13], s[6:7], s6, v14, v[12:13]
	s_addc_u32 s55, s55, -1
	s_cmp_gt_u32 s60, 2
	v_add3_u32 v13, v15, v13, v3
	s_cbranch_scc0 .LBB21_29
; %bb.28:                               ;   in Loop: Header=BB21_23 Depth=2
	v_pk_mov_b32 v[14:15], v[18:19], v[18:19] op_sel:[0,1]
	s_branch .LBB21_23
.LBB21_29:                              ;   in Loop: Header=BB21_3 Depth=1
	v_mad_u64_u32 v[12:13], s[6:7], s18, v18, v[12:13]
	v_mul_lo_u32 v3, s18, v19
	v_mul_lo_u32 v14, s19, v18
	v_add3_u32 v13, v14, v13, v3
.LBB21_30:                              ;   in Loop: Header=BB21_3 Depth=1
	s_or_b64 exec, exec, s[52:53]
	v_pk_mov_b32 v[14:15], 0, 0
	s_and_saveexec_b64 s[6:7], s[4:5]
	s_cbranch_execz .LBB21_33
; %bb.31:                               ;   in Loop: Header=BB21_3 Depth=1
	s_and_b64 vcc, exec, s[2:3]
	v_pk_mov_b32 v[14:15], 0, 0
	s_mov_b64 s[52:53], s[34:35]
	s_mov_b32 s58, s65
	s_cbranch_vccz .LBB21_42
.LBB21_32:                              ;   in Loop: Header=BB21_3 Depth=1
	v_mad_u64_u32 v[14:15], s[4:5], s20, v16, v[14:15]
	v_mul_lo_u32 v3, s20, v17
	v_mul_lo_u32 v16, s21, v16
	v_add3_u32 v15, v16, v15, v3
.LBB21_33:                              ;   in Loop: Header=BB21_3 Depth=1
	s_or_b64 exec, exec, s[6:7]
	v_or_b32_e32 v20, 2, v0
	v_mov_b32_e32 v21, v1
	v_cmp_lt_i32_e64 s[4:5], 2, v38
	v_pk_mov_b32 v[16:17], 0, 0
	s_and_saveexec_b64 s[52:53], s[4:5]
	s_cbranch_execz .LBB21_47
; %bb.34:                               ;   in Loop: Header=BB21_3 Depth=1
	s_and_b64 vcc, exec, s[0:1]
	v_pk_mov_b32 v[16:17], 0, 0
	s_mov_b64 s[54:55], s[30:31]
	s_mov_b32 s60, s64
	v_pk_mov_b32 v[18:19], v[20:21], v[20:21] op_sel:[0,1]
	v_pk_mov_b32 v[22:23], v[20:21], v[20:21] op_sel:[0,1]
	s_cbranch_vccnz .LBB21_46
.LBB21_35:                              ;   Parent Loop BB21_3 Depth=1
                                        ; =>  This Inner Loop Header: Depth=2
	s_load_dwordx2 s[56:57], s[54:55], 0x0
                                        ; implicit-def: $vgpr22_vgpr23
	s_waitcnt lgkmcnt(0)
	v_or_b32_e32 v3, s57, v19
	v_cmp_ne_u64_e32 vcc, 0, v[2:3]
	s_and_saveexec_b64 s[6:7], vcc
	s_xor_b64 s[58:59], exec, s[6:7]
	s_cbranch_execz .LBB21_37
; %bb.36:                               ;   in Loop: Header=BB21_35 Depth=2
	v_cvt_f32_u32_e32 v3, s56
	v_cvt_f32_u32_e32 v22, s57
	s_sub_u32 s6, 0, s56
	s_subb_u32 s7, 0, s57
	v_mac_f32_e32 v3, 0x4f800000, v22
	v_rcp_f32_e32 v3, v3
	v_mul_f32_e32 v3, 0x5f7ffffc, v3
	v_mul_f32_e32 v22, 0x2f800000, v3
	v_trunc_f32_e32 v22, v22
	v_mac_f32_e32 v3, 0xcf800000, v22
	v_cvt_u32_f32_e32 v22, v22
	v_cvt_u32_f32_e32 v3, v3
	v_mul_lo_u32 v23, s6, v22
	v_mul_hi_u32 v25, s6, v3
	v_mul_lo_u32 v24, s7, v3
	v_add_u32_e32 v23, v25, v23
	v_mul_lo_u32 v26, s6, v3
	v_add_u32_e32 v23, v23, v24
	v_mul_hi_u32 v25, v3, v26
	v_mul_lo_u32 v27, v3, v23
	v_mul_hi_u32 v24, v3, v23
	v_add_co_u32_e32 v25, vcc, v25, v27
	v_addc_co_u32_e32 v24, vcc, 0, v24, vcc
	v_mul_hi_u32 v28, v22, v26
	v_mul_lo_u32 v26, v22, v26
	v_add_co_u32_e32 v25, vcc, v25, v26
	v_mul_hi_u32 v27, v22, v23
	v_addc_co_u32_e32 v24, vcc, v24, v28, vcc
	v_addc_co_u32_e32 v25, vcc, 0, v27, vcc
	v_mul_lo_u32 v23, v22, v23
	v_add_co_u32_e32 v23, vcc, v24, v23
	v_addc_co_u32_e32 v24, vcc, 0, v25, vcc
	v_add_co_u32_e32 v3, vcc, v3, v23
	v_addc_co_u32_e32 v22, vcc, v22, v24, vcc
	v_mul_lo_u32 v23, s6, v22
	v_mul_hi_u32 v24, s6, v3
	v_add_u32_e32 v23, v24, v23
	v_mul_lo_u32 v24, s7, v3
	v_add_u32_e32 v23, v23, v24
	v_mul_lo_u32 v25, s6, v3
	v_mul_hi_u32 v26, v22, v25
	v_mul_lo_u32 v27, v22, v25
	v_mul_lo_u32 v29, v3, v23
	v_mul_hi_u32 v25, v3, v25
	v_mul_hi_u32 v28, v3, v23
	v_add_co_u32_e32 v25, vcc, v25, v29
	v_addc_co_u32_e32 v28, vcc, 0, v28, vcc
	v_add_co_u32_e32 v25, vcc, v25, v27
	v_mul_hi_u32 v24, v22, v23
	v_addc_co_u32_e32 v25, vcc, v28, v26, vcc
	v_addc_co_u32_e32 v24, vcc, 0, v24, vcc
	v_mul_lo_u32 v23, v22, v23
	v_add_co_u32_e32 v23, vcc, v25, v23
	v_addc_co_u32_e32 v24, vcc, 0, v24, vcc
	v_add_co_u32_e32 v3, vcc, v3, v23
	v_addc_co_u32_e32 v24, vcc, v22, v24, vcc
	v_mad_u64_u32 v[22:23], s[6:7], v18, v24, 0
	v_mul_hi_u32 v25, v18, v3
	v_add_co_u32_e32 v26, vcc, v25, v22
	v_addc_co_u32_e32 v27, vcc, 0, v23, vcc
	v_mad_u64_u32 v[22:23], s[6:7], v19, v24, 0
	v_mad_u64_u32 v[24:25], s[6:7], v19, v3, 0
	v_add_co_u32_e32 v3, vcc, v26, v24
	v_addc_co_u32_e32 v3, vcc, v27, v25, vcc
	v_addc_co_u32_e32 v23, vcc, 0, v23, vcc
	v_add_co_u32_e32 v3, vcc, v3, v22
	v_addc_co_u32_e32 v24, vcc, 0, v23, vcc
	v_mul_lo_u32 v25, s57, v3
	v_mul_lo_u32 v26, s56, v24
	v_mad_u64_u32 v[22:23], s[6:7], s56, v3, 0
	v_add3_u32 v23, v23, v26, v25
	v_sub_u32_e32 v25, v19, v23
	v_mov_b32_e32 v26, s57
	v_sub_co_u32_e32 v22, vcc, v18, v22
	v_subb_co_u32_e64 v25, s[6:7], v25, v26, vcc
	v_subrev_co_u32_e64 v26, s[6:7], s56, v22
	v_subbrev_co_u32_e64 v25, s[6:7], 0, v25, s[6:7]
	v_cmp_le_u32_e64 s[6:7], s57, v25
	v_cndmask_b32_e64 v27, 0, -1, s[6:7]
	v_cmp_le_u32_e64 s[6:7], s56, v26
	v_cndmask_b32_e64 v26, 0, -1, s[6:7]
	v_cmp_eq_u32_e64 s[6:7], s57, v25
	v_cndmask_b32_e64 v25, v27, v26, s[6:7]
	v_add_co_u32_e64 v26, s[6:7], 2, v3
	v_addc_co_u32_e64 v27, s[6:7], 0, v24, s[6:7]
	v_add_co_u32_e64 v28, s[6:7], 1, v3
	v_addc_co_u32_e64 v29, s[6:7], 0, v24, s[6:7]
	v_subb_co_u32_e32 v23, vcc, v19, v23, vcc
	v_cmp_ne_u32_e64 s[6:7], 0, v25
	v_cmp_le_u32_e32 vcc, s57, v23
	v_cndmask_b32_e64 v25, v29, v27, s[6:7]
	v_cndmask_b32_e64 v27, 0, -1, vcc
	v_cmp_le_u32_e32 vcc, s56, v22
	v_cndmask_b32_e64 v22, 0, -1, vcc
	v_cmp_eq_u32_e32 vcc, s57, v23
	v_cndmask_b32_e32 v22, v27, v22, vcc
	v_cmp_ne_u32_e32 vcc, 0, v22
	v_cndmask_b32_e64 v22, v28, v26, s[6:7]
	v_cndmask_b32_e32 v23, v24, v25, vcc
	v_cndmask_b32_e32 v22, v3, v22, vcc
.LBB21_37:                              ;   in Loop: Header=BB21_35 Depth=2
	s_andn2_saveexec_b64 s[6:7], s[58:59]
	s_cbranch_execz .LBB21_39
; %bb.38:                               ;   in Loop: Header=BB21_35 Depth=2
	v_cvt_f32_u32_e32 v3, s56
	s_sub_i32 s58, 0, s56
	v_rcp_iflag_f32_e32 v3, v3
	v_mul_f32_e32 v3, 0x4f7ffffe, v3
	v_cvt_u32_f32_e32 v3, v3
	v_mul_lo_u32 v22, s58, v3
	v_mul_hi_u32 v22, v3, v22
	v_add_u32_e32 v3, v3, v22
	v_mul_hi_u32 v3, v18, v3
	v_mul_lo_u32 v22, v3, s56
	v_sub_u32_e32 v22, v18, v22
	v_add_u32_e32 v23, 1, v3
	v_subrev_u32_e32 v24, s56, v22
	v_cmp_le_u32_e32 vcc, s56, v22
	v_cndmask_b32_e32 v22, v22, v24, vcc
	v_cndmask_b32_e32 v3, v3, v23, vcc
	v_add_u32_e32 v23, 1, v3
	v_cmp_le_u32_e32 vcc, s56, v22
	v_cndmask_b32_e32 v22, v3, v23, vcc
	v_mov_b32_e32 v23, v2
.LBB21_39:                              ;   in Loop: Header=BB21_35 Depth=2
	s_or_b64 exec, exec, s[6:7]
	v_mad_u64_u32 v[24:25], s[6:7], v22, s56, 0
	s_load_dwordx2 s[6:7], s[54:55], 0xc8
	v_mul_lo_u32 v3, v23, s56
	v_mul_lo_u32 v26, v22, s57
	v_add3_u32 v3, v25, v26, v3
	v_sub_co_u32_e32 v18, vcc, v18, v24
	s_add_i32 s60, s60, -1
	v_subb_co_u32_e32 v3, vcc, v19, v3, vcc
	s_add_u32 s54, s54, -8
	s_waitcnt lgkmcnt(0)
	v_mul_lo_u32 v3, s6, v3
	v_mul_lo_u32 v19, s7, v18
	v_mad_u64_u32 v[16:17], s[6:7], s6, v18, v[16:17]
	s_addc_u32 s55, s55, -1
	s_cmp_gt_u32 s60, 2
	v_add3_u32 v17, v19, v17, v3
	s_cbranch_scc0 .LBB21_46
; %bb.40:                               ;   in Loop: Header=BB21_35 Depth=2
	v_pk_mov_b32 v[18:19], v[22:23], v[22:23] op_sel:[0,1]
	s_branch .LBB21_35
.LBB21_41:                              ;   in Loop: Header=BB21_42 Depth=2
	s_or_b64 exec, exec, s[4:5]
	v_mad_u64_u32 v[20:21], s[4:5], v18, s54, 0
	s_load_dwordx2 s[4:5], s[52:53], 0xc8
	v_mul_lo_u32 v3, v19, s54
	v_mul_lo_u32 v22, v18, s55
	v_add3_u32 v3, v21, v22, v3
	v_sub_co_u32_e32 v16, vcc, v16, v20
	s_add_i32 s58, s58, -1
	v_subb_co_u32_e32 v3, vcc, v17, v3, vcc
	s_add_u32 s52, s52, -8
	s_waitcnt lgkmcnt(0)
	v_mul_lo_u32 v3, s4, v3
	v_mul_lo_u32 v17, s5, v16
	v_mad_u64_u32 v[14:15], s[4:5], s4, v16, v[14:15]
	s_addc_u32 s53, s53, -1
	s_cmp_gt_u32 s58, 2
	v_add3_u32 v15, v17, v15, v3
	v_pk_mov_b32 v[16:17], v[18:19], v[18:19] op_sel:[0,1]
	s_cbranch_scc0 .LBB21_32
.LBB21_42:                              ;   Parent Loop BB21_3 Depth=1
                                        ; =>  This Inner Loop Header: Depth=2
	s_load_dwordx2 s[54:55], s[52:53], 0x0
                                        ; implicit-def: $vgpr18_vgpr19
	s_waitcnt lgkmcnt(0)
	v_or_b32_e32 v3, s55, v17
	v_cmp_ne_u64_e32 vcc, 0, v[2:3]
	s_and_saveexec_b64 s[4:5], vcc
	s_xor_b64 s[56:57], exec, s[4:5]
	s_cbranch_execz .LBB21_44
; %bb.43:                               ;   in Loop: Header=BB21_42 Depth=2
	v_cvt_f32_u32_e32 v3, s54
	v_cvt_f32_u32_e32 v18, s55
	s_sub_u32 s4, 0, s54
	s_subb_u32 s5, 0, s55
	v_mac_f32_e32 v3, 0x4f800000, v18
	v_rcp_f32_e32 v3, v3
	v_mul_f32_e32 v3, 0x5f7ffffc, v3
	v_mul_f32_e32 v18, 0x2f800000, v3
	v_trunc_f32_e32 v18, v18
	v_mac_f32_e32 v3, 0xcf800000, v18
	v_cvt_u32_f32_e32 v18, v18
	v_cvt_u32_f32_e32 v3, v3
	v_mul_lo_u32 v19, s4, v18
	v_mul_hi_u32 v21, s4, v3
	v_mul_lo_u32 v20, s5, v3
	v_add_u32_e32 v19, v21, v19
	v_mul_lo_u32 v22, s4, v3
	v_add_u32_e32 v19, v19, v20
	v_mul_hi_u32 v21, v3, v22
	v_mul_lo_u32 v23, v3, v19
	v_mul_hi_u32 v20, v3, v19
	v_add_co_u32_e32 v21, vcc, v21, v23
	v_addc_co_u32_e32 v20, vcc, 0, v20, vcc
	v_mul_hi_u32 v24, v18, v22
	v_mul_lo_u32 v22, v18, v22
	v_add_co_u32_e32 v21, vcc, v21, v22
	v_mul_hi_u32 v23, v18, v19
	v_addc_co_u32_e32 v20, vcc, v20, v24, vcc
	v_addc_co_u32_e32 v21, vcc, 0, v23, vcc
	v_mul_lo_u32 v19, v18, v19
	v_add_co_u32_e32 v19, vcc, v20, v19
	v_addc_co_u32_e32 v20, vcc, 0, v21, vcc
	v_add_co_u32_e32 v3, vcc, v3, v19
	v_addc_co_u32_e32 v18, vcc, v18, v20, vcc
	v_mul_lo_u32 v19, s4, v18
	v_mul_hi_u32 v20, s4, v3
	v_add_u32_e32 v19, v20, v19
	v_mul_lo_u32 v20, s5, v3
	v_add_u32_e32 v19, v19, v20
	v_mul_lo_u32 v21, s4, v3
	v_mul_hi_u32 v22, v18, v21
	v_mul_lo_u32 v23, v18, v21
	v_mul_lo_u32 v25, v3, v19
	v_mul_hi_u32 v21, v3, v21
	v_mul_hi_u32 v24, v3, v19
	v_add_co_u32_e32 v21, vcc, v21, v25
	v_addc_co_u32_e32 v24, vcc, 0, v24, vcc
	v_add_co_u32_e32 v21, vcc, v21, v23
	v_mul_hi_u32 v20, v18, v19
	v_addc_co_u32_e32 v21, vcc, v24, v22, vcc
	v_addc_co_u32_e32 v20, vcc, 0, v20, vcc
	v_mul_lo_u32 v19, v18, v19
	v_add_co_u32_e32 v19, vcc, v21, v19
	v_addc_co_u32_e32 v20, vcc, 0, v20, vcc
	v_add_co_u32_e32 v3, vcc, v3, v19
	v_addc_co_u32_e32 v20, vcc, v18, v20, vcc
	v_mad_u64_u32 v[18:19], s[4:5], v16, v20, 0
	v_mul_hi_u32 v21, v16, v3
	v_add_co_u32_e32 v22, vcc, v21, v18
	v_addc_co_u32_e32 v23, vcc, 0, v19, vcc
	v_mad_u64_u32 v[18:19], s[4:5], v17, v20, 0
	v_mad_u64_u32 v[20:21], s[4:5], v17, v3, 0
	v_add_co_u32_e32 v3, vcc, v22, v20
	v_addc_co_u32_e32 v3, vcc, v23, v21, vcc
	v_addc_co_u32_e32 v19, vcc, 0, v19, vcc
	v_add_co_u32_e32 v3, vcc, v3, v18
	v_addc_co_u32_e32 v20, vcc, 0, v19, vcc
	v_mul_lo_u32 v21, s55, v3
	v_mul_lo_u32 v22, s54, v20
	v_mad_u64_u32 v[18:19], s[4:5], s54, v3, 0
	v_add3_u32 v19, v19, v22, v21
	v_sub_u32_e32 v21, v17, v19
	v_mov_b32_e32 v22, s55
	v_sub_co_u32_e32 v18, vcc, v16, v18
	v_subb_co_u32_e64 v21, s[4:5], v21, v22, vcc
	v_subrev_co_u32_e64 v22, s[4:5], s54, v18
	v_subbrev_co_u32_e64 v21, s[4:5], 0, v21, s[4:5]
	v_cmp_le_u32_e64 s[4:5], s55, v21
	v_cndmask_b32_e64 v23, 0, -1, s[4:5]
	v_cmp_le_u32_e64 s[4:5], s54, v22
	v_cndmask_b32_e64 v22, 0, -1, s[4:5]
	v_cmp_eq_u32_e64 s[4:5], s55, v21
	v_cndmask_b32_e64 v21, v23, v22, s[4:5]
	v_add_co_u32_e64 v22, s[4:5], 2, v3
	v_addc_co_u32_e64 v23, s[4:5], 0, v20, s[4:5]
	v_add_co_u32_e64 v24, s[4:5], 1, v3
	v_addc_co_u32_e64 v25, s[4:5], 0, v20, s[4:5]
	v_subb_co_u32_e32 v19, vcc, v17, v19, vcc
	v_cmp_ne_u32_e64 s[4:5], 0, v21
	v_cmp_le_u32_e32 vcc, s55, v19
	v_cndmask_b32_e64 v21, v25, v23, s[4:5]
	v_cndmask_b32_e64 v23, 0, -1, vcc
	v_cmp_le_u32_e32 vcc, s54, v18
	v_cndmask_b32_e64 v18, 0, -1, vcc
	v_cmp_eq_u32_e32 vcc, s55, v19
	v_cndmask_b32_e32 v18, v23, v18, vcc
	v_cmp_ne_u32_e32 vcc, 0, v18
	v_cndmask_b32_e64 v18, v24, v22, s[4:5]
	v_cndmask_b32_e32 v19, v20, v21, vcc
	v_cndmask_b32_e32 v18, v3, v18, vcc
.LBB21_44:                              ;   in Loop: Header=BB21_42 Depth=2
	s_andn2_saveexec_b64 s[4:5], s[56:57]
	s_cbranch_execz .LBB21_41
; %bb.45:                               ;   in Loop: Header=BB21_42 Depth=2
	v_cvt_f32_u32_e32 v3, s54
	s_sub_i32 s56, 0, s54
	v_rcp_iflag_f32_e32 v3, v3
	v_mul_f32_e32 v3, 0x4f7ffffe, v3
	v_cvt_u32_f32_e32 v3, v3
	v_mul_lo_u32 v18, s56, v3
	v_mul_hi_u32 v18, v3, v18
	v_add_u32_e32 v3, v3, v18
	v_mul_hi_u32 v3, v16, v3
	v_mul_lo_u32 v18, v3, s54
	v_sub_u32_e32 v18, v16, v18
	v_add_u32_e32 v19, 1, v3
	v_subrev_u32_e32 v20, s54, v18
	v_cmp_le_u32_e32 vcc, s54, v18
	v_cndmask_b32_e32 v18, v18, v20, vcc
	v_cndmask_b32_e32 v3, v3, v19, vcc
	v_add_u32_e32 v19, 1, v3
	v_cmp_le_u32_e32 vcc, s54, v18
	v_cndmask_b32_e32 v18, v3, v19, vcc
	v_mov_b32_e32 v19, v2
	s_branch .LBB21_41
.LBB21_46:                              ;   in Loop: Header=BB21_3 Depth=1
	v_mad_u64_u32 v[16:17], s[6:7], s18, v22, v[16:17]
	v_mul_lo_u32 v3, s18, v23
	v_mul_lo_u32 v18, s19, v22
	v_add3_u32 v17, v18, v17, v3
.LBB21_47:                              ;   in Loop: Header=BB21_3 Depth=1
	s_or_b64 exec, exec, s[52:53]
	v_pk_mov_b32 v[18:19], 0, 0
	s_and_saveexec_b64 s[6:7], s[4:5]
	s_cbranch_execz .LBB21_50
; %bb.48:                               ;   in Loop: Header=BB21_3 Depth=1
	s_and_b64 vcc, exec, s[2:3]
	v_pk_mov_b32 v[18:19], 0, 0
	s_mov_b64 s[52:53], s[34:35]
	s_mov_b32 s58, s65
	s_cbranch_vccz .LBB21_59
.LBB21_49:                              ;   in Loop: Header=BB21_3 Depth=1
	v_mad_u64_u32 v[18:19], s[4:5], s20, v20, v[18:19]
	v_mul_lo_u32 v3, s20, v21
	v_mul_lo_u32 v20, s21, v20
	v_add3_u32 v19, v20, v19, v3
.LBB21_50:                              ;   in Loop: Header=BB21_3 Depth=1
	s_or_b64 exec, exec, s[6:7]
	v_or_b32_e32 v22, 3, v0
	v_mov_b32_e32 v23, v1
	v_cmp_lt_i32_e64 s[4:5], 3, v38
	v_pk_mov_b32 v[20:21], 0, 0
	s_and_saveexec_b64 s[6:7], s[4:5]
	s_cbranch_execz .LBB21_64
; %bb.51:                               ;   in Loop: Header=BB21_3 Depth=1
	s_and_b64 vcc, exec, s[0:1]
	v_pk_mov_b32 v[20:21], 0, 0
	s_mov_b64 s[52:53], s[30:31]
	s_mov_b32 s58, s64
	v_pk_mov_b32 v[24:25], v[22:23], v[22:23] op_sel:[0,1]
	v_pk_mov_b32 v[26:27], v[22:23], v[22:23] op_sel:[0,1]
	s_cbranch_vccnz .LBB21_63
.LBB21_52:                              ;   Parent Loop BB21_3 Depth=1
                                        ; =>  This Inner Loop Header: Depth=2
	s_load_dwordx2 s[54:55], s[52:53], 0x0
                                        ; implicit-def: $vgpr26_vgpr27
	s_waitcnt lgkmcnt(0)
	v_or_b32_e32 v3, s55, v25
	v_cmp_ne_u64_e32 vcc, 0, v[2:3]
	s_and_saveexec_b64 s[0:1], vcc
	s_xor_b64 s[56:57], exec, s[0:1]
	s_cbranch_execz .LBB21_54
; %bb.53:                               ;   in Loop: Header=BB21_52 Depth=2
	v_cvt_f32_u32_e32 v3, s54
	v_cvt_f32_u32_e32 v26, s55
	s_sub_u32 s0, 0, s54
	s_subb_u32 s1, 0, s55
	v_mac_f32_e32 v3, 0x4f800000, v26
	v_rcp_f32_e32 v3, v3
	v_mul_f32_e32 v3, 0x5f7ffffc, v3
	v_mul_f32_e32 v26, 0x2f800000, v3
	v_trunc_f32_e32 v26, v26
	v_mac_f32_e32 v3, 0xcf800000, v26
	v_cvt_u32_f32_e32 v26, v26
	v_cvt_u32_f32_e32 v3, v3
	v_mul_lo_u32 v27, s0, v26
	v_mul_hi_u32 v29, s0, v3
	v_mul_lo_u32 v28, s1, v3
	v_add_u32_e32 v27, v29, v27
	v_mul_lo_u32 v30, s0, v3
	v_add_u32_e32 v27, v27, v28
	v_mul_hi_u32 v29, v3, v30
	v_mul_lo_u32 v31, v3, v27
	v_mul_hi_u32 v28, v3, v27
	v_add_co_u32_e32 v29, vcc, v29, v31
	v_addc_co_u32_e32 v28, vcc, 0, v28, vcc
	v_mul_hi_u32 v32, v26, v30
	v_mul_lo_u32 v30, v26, v30
	v_add_co_u32_e32 v29, vcc, v29, v30
	v_mul_hi_u32 v31, v26, v27
	v_addc_co_u32_e32 v28, vcc, v28, v32, vcc
	v_addc_co_u32_e32 v29, vcc, 0, v31, vcc
	v_mul_lo_u32 v27, v26, v27
	v_add_co_u32_e32 v27, vcc, v28, v27
	v_addc_co_u32_e32 v28, vcc, 0, v29, vcc
	v_add_co_u32_e32 v3, vcc, v3, v27
	v_addc_co_u32_e32 v26, vcc, v26, v28, vcc
	v_mul_lo_u32 v27, s0, v26
	v_mul_hi_u32 v28, s0, v3
	v_add_u32_e32 v27, v28, v27
	v_mul_lo_u32 v28, s1, v3
	v_add_u32_e32 v27, v27, v28
	v_mul_lo_u32 v29, s0, v3
	v_mul_hi_u32 v30, v26, v29
	v_mul_lo_u32 v31, v26, v29
	v_mul_lo_u32 v33, v3, v27
	v_mul_hi_u32 v29, v3, v29
	v_mul_hi_u32 v32, v3, v27
	v_add_co_u32_e32 v29, vcc, v29, v33
	v_addc_co_u32_e32 v32, vcc, 0, v32, vcc
	v_add_co_u32_e32 v29, vcc, v29, v31
	v_mul_hi_u32 v28, v26, v27
	v_addc_co_u32_e32 v29, vcc, v32, v30, vcc
	v_addc_co_u32_e32 v28, vcc, 0, v28, vcc
	v_mul_lo_u32 v27, v26, v27
	v_add_co_u32_e32 v27, vcc, v29, v27
	v_addc_co_u32_e32 v28, vcc, 0, v28, vcc
	v_add_co_u32_e32 v3, vcc, v3, v27
	v_addc_co_u32_e32 v28, vcc, v26, v28, vcc
	v_mad_u64_u32 v[26:27], s[0:1], v24, v28, 0
	v_mul_hi_u32 v29, v24, v3
	v_add_co_u32_e32 v30, vcc, v29, v26
	v_addc_co_u32_e32 v31, vcc, 0, v27, vcc
	v_mad_u64_u32 v[26:27], s[0:1], v25, v28, 0
	v_mad_u64_u32 v[28:29], s[0:1], v25, v3, 0
	v_add_co_u32_e32 v3, vcc, v30, v28
	v_addc_co_u32_e32 v3, vcc, v31, v29, vcc
	v_addc_co_u32_e32 v27, vcc, 0, v27, vcc
	v_add_co_u32_e32 v3, vcc, v3, v26
	v_addc_co_u32_e32 v28, vcc, 0, v27, vcc
	v_mul_lo_u32 v29, s55, v3
	v_mul_lo_u32 v30, s54, v28
	v_mad_u64_u32 v[26:27], s[0:1], s54, v3, 0
	v_add3_u32 v27, v27, v30, v29
	v_sub_u32_e32 v29, v25, v27
	v_mov_b32_e32 v30, s55
	v_sub_co_u32_e32 v26, vcc, v24, v26
	v_subb_co_u32_e64 v29, s[0:1], v29, v30, vcc
	v_subrev_co_u32_e64 v30, s[0:1], s54, v26
	v_subbrev_co_u32_e64 v29, s[0:1], 0, v29, s[0:1]
	v_cmp_le_u32_e64 s[0:1], s55, v29
	v_cndmask_b32_e64 v31, 0, -1, s[0:1]
	v_cmp_le_u32_e64 s[0:1], s54, v30
	v_cndmask_b32_e64 v30, 0, -1, s[0:1]
	v_cmp_eq_u32_e64 s[0:1], s55, v29
	v_cndmask_b32_e64 v29, v31, v30, s[0:1]
	v_add_co_u32_e64 v30, s[0:1], 2, v3
	v_addc_co_u32_e64 v31, s[0:1], 0, v28, s[0:1]
	v_add_co_u32_e64 v32, s[0:1], 1, v3
	v_addc_co_u32_e64 v33, s[0:1], 0, v28, s[0:1]
	v_subb_co_u32_e32 v27, vcc, v25, v27, vcc
	v_cmp_ne_u32_e64 s[0:1], 0, v29
	v_cmp_le_u32_e32 vcc, s55, v27
	v_cndmask_b32_e64 v29, v33, v31, s[0:1]
	v_cndmask_b32_e64 v31, 0, -1, vcc
	v_cmp_le_u32_e32 vcc, s54, v26
	v_cndmask_b32_e64 v26, 0, -1, vcc
	v_cmp_eq_u32_e32 vcc, s55, v27
	v_cndmask_b32_e32 v26, v31, v26, vcc
	v_cmp_ne_u32_e32 vcc, 0, v26
	v_cndmask_b32_e64 v26, v32, v30, s[0:1]
	v_cndmask_b32_e32 v27, v28, v29, vcc
	v_cndmask_b32_e32 v26, v3, v26, vcc
.LBB21_54:                              ;   in Loop: Header=BB21_52 Depth=2
	s_andn2_saveexec_b64 s[0:1], s[56:57]
	s_cbranch_execz .LBB21_56
; %bb.55:                               ;   in Loop: Header=BB21_52 Depth=2
	v_cvt_f32_u32_e32 v3, s54
	s_sub_i32 s56, 0, s54
	v_rcp_iflag_f32_e32 v3, v3
	v_mul_f32_e32 v3, 0x4f7ffffe, v3
	v_cvt_u32_f32_e32 v3, v3
	v_mul_lo_u32 v26, s56, v3
	v_mul_hi_u32 v26, v3, v26
	v_add_u32_e32 v3, v3, v26
	v_mul_hi_u32 v3, v24, v3
	v_mul_lo_u32 v26, v3, s54
	v_sub_u32_e32 v26, v24, v26
	v_add_u32_e32 v27, 1, v3
	v_subrev_u32_e32 v28, s54, v26
	v_cmp_le_u32_e32 vcc, s54, v26
	v_cndmask_b32_e32 v26, v26, v28, vcc
	v_cndmask_b32_e32 v3, v3, v27, vcc
	v_add_u32_e32 v27, 1, v3
	v_cmp_le_u32_e32 vcc, s54, v26
	v_cndmask_b32_e32 v26, v3, v27, vcc
	v_mov_b32_e32 v27, v2
.LBB21_56:                              ;   in Loop: Header=BB21_52 Depth=2
	s_or_b64 exec, exec, s[0:1]
	v_mad_u64_u32 v[28:29], s[0:1], v26, s54, 0
	s_load_dwordx2 s[0:1], s[52:53], 0xc8
	v_mul_lo_u32 v3, v27, s54
	v_mul_lo_u32 v30, v26, s55
	v_add3_u32 v3, v29, v30, v3
	v_sub_co_u32_e32 v24, vcc, v24, v28
	s_add_i32 s58, s58, -1
	v_subb_co_u32_e32 v3, vcc, v25, v3, vcc
	s_add_u32 s52, s52, -8
	s_waitcnt lgkmcnt(0)
	v_mul_lo_u32 v3, s0, v3
	v_mul_lo_u32 v25, s1, v24
	v_mad_u64_u32 v[20:21], s[0:1], s0, v24, v[20:21]
	s_addc_u32 s53, s53, -1
	s_cmp_gt_u32 s58, 2
	v_add3_u32 v21, v25, v21, v3
	s_cbranch_scc0 .LBB21_63
; %bb.57:                               ;   in Loop: Header=BB21_52 Depth=2
	v_pk_mov_b32 v[24:25], v[26:27], v[26:27] op_sel:[0,1]
	s_branch .LBB21_52
.LBB21_58:                              ;   in Loop: Header=BB21_59 Depth=2
	s_or_b64 exec, exec, s[4:5]
	v_mad_u64_u32 v[24:25], s[4:5], v22, s54, 0
	s_load_dwordx2 s[4:5], s[52:53], 0xc8
	v_mul_lo_u32 v3, v23, s54
	v_mul_lo_u32 v26, v22, s55
	v_add3_u32 v3, v25, v26, v3
	v_sub_co_u32_e32 v20, vcc, v20, v24
	s_add_i32 s58, s58, -1
	v_subb_co_u32_e32 v3, vcc, v21, v3, vcc
	s_add_u32 s52, s52, -8
	s_waitcnt lgkmcnt(0)
	v_mul_lo_u32 v3, s4, v3
	v_mul_lo_u32 v21, s5, v20
	v_mad_u64_u32 v[18:19], s[4:5], s4, v20, v[18:19]
	s_addc_u32 s53, s53, -1
	s_cmp_gt_u32 s58, 2
	v_add3_u32 v19, v21, v19, v3
	v_pk_mov_b32 v[20:21], v[22:23], v[22:23] op_sel:[0,1]
	s_cbranch_scc0 .LBB21_49
.LBB21_59:                              ;   Parent Loop BB21_3 Depth=1
                                        ; =>  This Inner Loop Header: Depth=2
	s_load_dwordx2 s[54:55], s[52:53], 0x0
                                        ; implicit-def: $vgpr22_vgpr23
	s_waitcnt lgkmcnt(0)
	v_or_b32_e32 v3, s55, v21
	v_cmp_ne_u64_e32 vcc, 0, v[2:3]
	s_and_saveexec_b64 s[4:5], vcc
	s_xor_b64 s[56:57], exec, s[4:5]
	s_cbranch_execz .LBB21_61
; %bb.60:                               ;   in Loop: Header=BB21_59 Depth=2
	v_cvt_f32_u32_e32 v3, s54
	v_cvt_f32_u32_e32 v22, s55
	s_sub_u32 s4, 0, s54
	s_subb_u32 s5, 0, s55
	v_mac_f32_e32 v3, 0x4f800000, v22
	v_rcp_f32_e32 v3, v3
	v_mul_f32_e32 v3, 0x5f7ffffc, v3
	v_mul_f32_e32 v22, 0x2f800000, v3
	v_trunc_f32_e32 v22, v22
	v_mac_f32_e32 v3, 0xcf800000, v22
	v_cvt_u32_f32_e32 v22, v22
	v_cvt_u32_f32_e32 v3, v3
	v_mul_lo_u32 v23, s4, v22
	v_mul_hi_u32 v25, s4, v3
	v_mul_lo_u32 v24, s5, v3
	v_add_u32_e32 v23, v25, v23
	v_mul_lo_u32 v26, s4, v3
	v_add_u32_e32 v23, v23, v24
	v_mul_hi_u32 v25, v3, v26
	v_mul_lo_u32 v27, v3, v23
	v_mul_hi_u32 v24, v3, v23
	v_add_co_u32_e32 v25, vcc, v25, v27
	v_addc_co_u32_e32 v24, vcc, 0, v24, vcc
	v_mul_hi_u32 v28, v22, v26
	v_mul_lo_u32 v26, v22, v26
	v_add_co_u32_e32 v25, vcc, v25, v26
	v_mul_hi_u32 v27, v22, v23
	v_addc_co_u32_e32 v24, vcc, v24, v28, vcc
	v_addc_co_u32_e32 v25, vcc, 0, v27, vcc
	v_mul_lo_u32 v23, v22, v23
	v_add_co_u32_e32 v23, vcc, v24, v23
	v_addc_co_u32_e32 v24, vcc, 0, v25, vcc
	v_add_co_u32_e32 v3, vcc, v3, v23
	v_addc_co_u32_e32 v22, vcc, v22, v24, vcc
	v_mul_lo_u32 v23, s4, v22
	v_mul_hi_u32 v24, s4, v3
	v_add_u32_e32 v23, v24, v23
	v_mul_lo_u32 v24, s5, v3
	v_add_u32_e32 v23, v23, v24
	v_mul_lo_u32 v25, s4, v3
	v_mul_hi_u32 v26, v22, v25
	v_mul_lo_u32 v27, v22, v25
	v_mul_lo_u32 v29, v3, v23
	v_mul_hi_u32 v25, v3, v25
	v_mul_hi_u32 v28, v3, v23
	v_add_co_u32_e32 v25, vcc, v25, v29
	v_addc_co_u32_e32 v28, vcc, 0, v28, vcc
	v_add_co_u32_e32 v25, vcc, v25, v27
	v_mul_hi_u32 v24, v22, v23
	v_addc_co_u32_e32 v25, vcc, v28, v26, vcc
	v_addc_co_u32_e32 v24, vcc, 0, v24, vcc
	v_mul_lo_u32 v23, v22, v23
	v_add_co_u32_e32 v23, vcc, v25, v23
	v_addc_co_u32_e32 v24, vcc, 0, v24, vcc
	v_add_co_u32_e32 v3, vcc, v3, v23
	v_addc_co_u32_e32 v24, vcc, v22, v24, vcc
	v_mad_u64_u32 v[22:23], s[4:5], v20, v24, 0
	v_mul_hi_u32 v25, v20, v3
	v_add_co_u32_e32 v26, vcc, v25, v22
	v_addc_co_u32_e32 v27, vcc, 0, v23, vcc
	v_mad_u64_u32 v[22:23], s[4:5], v21, v24, 0
	v_mad_u64_u32 v[24:25], s[4:5], v21, v3, 0
	v_add_co_u32_e32 v3, vcc, v26, v24
	v_addc_co_u32_e32 v3, vcc, v27, v25, vcc
	v_addc_co_u32_e32 v23, vcc, 0, v23, vcc
	v_add_co_u32_e32 v3, vcc, v3, v22
	v_addc_co_u32_e32 v24, vcc, 0, v23, vcc
	v_mul_lo_u32 v25, s55, v3
	v_mul_lo_u32 v26, s54, v24
	v_mad_u64_u32 v[22:23], s[4:5], s54, v3, 0
	v_add3_u32 v23, v23, v26, v25
	v_sub_u32_e32 v25, v21, v23
	v_mov_b32_e32 v26, s55
	v_sub_co_u32_e32 v22, vcc, v20, v22
	v_subb_co_u32_e64 v25, s[4:5], v25, v26, vcc
	v_subrev_co_u32_e64 v26, s[4:5], s54, v22
	v_subbrev_co_u32_e64 v25, s[4:5], 0, v25, s[4:5]
	v_cmp_le_u32_e64 s[4:5], s55, v25
	v_cndmask_b32_e64 v27, 0, -1, s[4:5]
	v_cmp_le_u32_e64 s[4:5], s54, v26
	v_cndmask_b32_e64 v26, 0, -1, s[4:5]
	v_cmp_eq_u32_e64 s[4:5], s55, v25
	v_cndmask_b32_e64 v25, v27, v26, s[4:5]
	v_add_co_u32_e64 v26, s[4:5], 2, v3
	v_addc_co_u32_e64 v27, s[4:5], 0, v24, s[4:5]
	v_add_co_u32_e64 v28, s[4:5], 1, v3
	v_addc_co_u32_e64 v29, s[4:5], 0, v24, s[4:5]
	v_subb_co_u32_e32 v23, vcc, v21, v23, vcc
	v_cmp_ne_u32_e64 s[4:5], 0, v25
	v_cmp_le_u32_e32 vcc, s55, v23
	v_cndmask_b32_e64 v25, v29, v27, s[4:5]
	v_cndmask_b32_e64 v27, 0, -1, vcc
	v_cmp_le_u32_e32 vcc, s54, v22
	v_cndmask_b32_e64 v22, 0, -1, vcc
	v_cmp_eq_u32_e32 vcc, s55, v23
	v_cndmask_b32_e32 v22, v27, v22, vcc
	v_cmp_ne_u32_e32 vcc, 0, v22
	v_cndmask_b32_e64 v22, v28, v26, s[4:5]
	v_cndmask_b32_e32 v23, v24, v25, vcc
	v_cndmask_b32_e32 v22, v3, v22, vcc
.LBB21_61:                              ;   in Loop: Header=BB21_59 Depth=2
	s_andn2_saveexec_b64 s[4:5], s[56:57]
	s_cbranch_execz .LBB21_58
; %bb.62:                               ;   in Loop: Header=BB21_59 Depth=2
	v_cvt_f32_u32_e32 v3, s54
	s_sub_i32 s56, 0, s54
	v_rcp_iflag_f32_e32 v3, v3
	v_mul_f32_e32 v3, 0x4f7ffffe, v3
	v_cvt_u32_f32_e32 v3, v3
	v_mul_lo_u32 v22, s56, v3
	v_mul_hi_u32 v22, v3, v22
	v_add_u32_e32 v3, v3, v22
	v_mul_hi_u32 v3, v20, v3
	v_mul_lo_u32 v22, v3, s54
	v_sub_u32_e32 v22, v20, v22
	v_add_u32_e32 v23, 1, v3
	v_subrev_u32_e32 v24, s54, v22
	v_cmp_le_u32_e32 vcc, s54, v22
	v_cndmask_b32_e32 v22, v22, v24, vcc
	v_cndmask_b32_e32 v3, v3, v23, vcc
	v_add_u32_e32 v23, 1, v3
	v_cmp_le_u32_e32 vcc, s54, v22
	v_cndmask_b32_e32 v22, v3, v23, vcc
	v_mov_b32_e32 v23, v2
	s_branch .LBB21_58
.LBB21_63:                              ;   in Loop: Header=BB21_3 Depth=1
	v_mad_u64_u32 v[20:21], s[0:1], s18, v26, v[20:21]
	v_mul_lo_u32 v3, s18, v27
	v_mul_lo_u32 v24, s19, v26
	v_add3_u32 v21, v24, v21, v3
.LBB21_64:                              ;   in Loop: Header=BB21_3 Depth=1
	s_or_b64 exec, exec, s[6:7]
	v_pk_mov_b32 v[24:25], 0, 0
	s_and_saveexec_b64 s[6:7], s[4:5]
	s_cbranch_execz .LBB21_67
; %bb.65:                               ;   in Loop: Header=BB21_3 Depth=1
	s_and_b64 vcc, exec, s[2:3]
	v_pk_mov_b32 v[24:25], 0, 0
	s_mov_b64 s[2:3], s[34:35]
	s_mov_b32 s54, s65
	s_cbranch_vccz .LBB21_97
.LBB21_66:                              ;   in Loop: Header=BB21_3 Depth=1
	v_mad_u64_u32 v[24:25], s[0:1], s20, v22, v[24:25]
	v_mul_lo_u32 v3, s20, v23
	v_mul_lo_u32 v22, s21, v22
	v_add3_u32 v25, v22, v25, v3
.LBB21_67:                              ;   in Loop: Header=BB21_3 Depth=1
	s_or_b64 exec, exec, s[6:7]
	v_lshlrev_b64 v[22:23], 2, v[24:25]
	v_mov_b32_e32 v3, s17
	v_add_co_u32_e32 v22, vcc, s16, v22
	v_addc_co_u32_e32 v23, vcc, v3, v23, vcc
	global_load_dword v39, v[22:23], off
	s_andn2_b64 vcc, exec, s[26:27]
	v_pk_mov_b32 v[22:23], s[12:13], s[12:13] op_sel:[0,1]
	v_pk_mov_b32 v[24:25], s[10:11], s[10:11] op_sel:[0,1]
	s_cbranch_vccnz .LBB21_69
; %bb.68:                               ;   in Loop: Header=BB21_3 Depth=1
	v_pk_mov_b32 v[22:23], s[12:13], s[12:13] op_sel:[0,1]
	flat_load_dwordx2 v[22:23], v[22:23]
	v_pk_mov_b32 v[24:25], s[10:11], s[10:11] op_sel:[0,1]
	flat_load_dwordx2 v[24:25], v[24:25]
	v_mov_b32_e32 v3, s15
	s_waitcnt vmcnt(0) lgkmcnt(0)
	v_add_co_u32_e32 v22, vcc, s14, v22
	v_addc_co_u32_e32 v23, vcc, v23, v3, vcc
.LBB21_69:                              ;   in Loop: Header=BB21_3 Depth=1
	v_alignbit_b32 v3, v23, v22, 2
	v_lshrrev_b32_e32 v34, 2, v23
	v_xor_b32_e32 v26, v6, v24
	v_and_b32_e32 v40, 3, v22
	v_mad_u64_u32 v[22:23], s[0:1], v3, s66, 0
	v_xor_b32_e32 v26, v26, v34
	v_xor_b32_e32 v23, v23, v25
	v_add_u32_e32 v44, 0xbb67ae85, v25
	v_mad_u64_u32 v[26:27], s[0:1], v26, s66, 0
	v_mad_u64_u32 v[28:29], s[0:1], v23, s33, 0
	v_xor_b32_e32 v27, v44, v27
	v_add_u32_e32 v43, 0x9e3779b9, v24
	v_xor_b32_e32 v23, v4, v29
	v_xor_b32_e32 v27, v27, v22
	v_xor_b32_e32 v23, v23, v43
	v_add_u32_e32 v45, 0x3c6ef372, v24
	v_mad_u64_u32 v[30:31], s[0:1], v27, s33, 0
	v_add_u32_e32 v46, 0x76cf5d0a, v25
	v_mad_u64_u32 v[22:23], s[0:1], v23, s66, 0
	v_xor_b32_e32 v27, v45, v31
	v_xor_b32_e32 v27, v27, v28
	v_xor_b32_e32 v23, v46, v23
	v_xor_b32_e32 v23, v23, v26
	v_add_u32_e32 v48, 0x32370b8f, v25
	v_mad_u64_u32 v[26:27], s[0:1], v27, s66, 0
	v_add_u32_e32 v47, 0xdaa66d2b, v24
	v_mad_u64_u32 v[28:29], s[0:1], v23, s33, 0
	v_xor_b32_e32 v27, v48, v27
	;; [unrolled: 8-line block ×5, first 2 shown]
	v_xor_b32_e32 v27, v27, v28
	v_xor_b32_e32 v23, v54, v23
	;; [unrolled: 1-line block ×3, first 2 shown]
	v_add_u32_e32 v56, 0x1fd5c5a3, v25
	v_mad_u64_u32 v[26:27], s[0:1], v27, s66, 0
	v_xor_b32_e32 v27, v56, v27
	v_xor_b32_e32 v22, v27, v22
	v_add_u32_e32 v55, 0x5384540f, v24
	v_mad_u64_u32 v[32:33], s[0:1], v23, s33, 0
	v_add_co_u32_e32 v41, vcc, s67, v24
	v_mad_u64_u32 v[28:29], s[0:1], v22, s33, 0
	v_xor_b32_e32 v23, v55, v33
	v_xor_b32_e32 v22, v41, v29
	;; [unrolled: 1-line block ×4, first 2 shown]
	v_mad_u64_u32 v[30:31], s[0:1], v23, s66, 0
	v_mad_u64_u32 v[22:23], s[0:1], v22, s66, 0
	v_add_co_u32_e32 v3, vcc, 1, v3
	v_xor_b32_e32 v23, v23, v30
	v_cndmask_b32_e64 v30, 0, 1, vcc
	v_addc_co_u32_e32 v36, vcc, 0, v34, vcc
	v_cmp_eq_u32_e32 vcc, 0, v36
	v_cndmask_b32_e32 v30, 0, v30, vcc
	v_add_u32_e32 v34, v30, v7
	v_cmp_eq_u32_e32 vcc, 0, v34
	v_mad_u64_u32 v[32:33], s[0:1], v3, s66, 0
	v_mad_u64_u32 v[34:35], s[0:1], v34, s33, 0
	v_add_u32_e32 v29, 0x8ff34781, v24
	v_cndmask_b32_e32 v30, 0, v30, vcc
	v_xor_b32_e32 v3, v35, v24
	v_xor_b32_e32 v24, v33, v25
	;; [unrolled: 1-line block ×4, first 2 shown]
	v_mad_u64_u32 v[36:37], s[0:1], v30, s33, 0
	v_add_u32_e32 v27, 0xdb3d7428, v25
	v_add_u32_e32 v42, 0x96a522ad, v25
	v_mad_u64_u32 v[24:25], s[0:1], v3, s66, 0
	v_xor_b32_e32 v3, v43, v37
	v_xor_b32_e32 v3, v3, v34
	v_xor_b32_e32 v25, v44, v25
	v_xor_b32_e32 v25, v25, v32
	v_mad_u64_u32 v[32:33], s[0:1], v3, s66, 0
	v_mad_u64_u32 v[34:35], s[0:1], v25, s33, 0
	v_xor_b32_e32 v25, v46, v33
	v_xor_b32_e32 v3, v45, v35
	v_xor_b32_e32 v30, v25, v24
	v_xor_b32_e32 v3, v3, v36
	v_mad_u64_u32 v[36:37], s[0:1], v30, s33, 0
	;; [unrolled: 6-line block ×7, first 2 shown]
	v_xor_b32_e32 v3, v27, v35
	v_xor_b32_e32 v3, v3, v24
	v_mad_u64_u32 v[36:37], s[0:1], v25, s33, 0
	v_mad_u64_u32 v[24:25], s[0:1], v3, s33, 0
	v_xor_b32_e32 v3, v25, v36
	v_xor_b32_e32 v23, v42, v23
	;; [unrolled: 1-line block ×3, first 2 shown]
	v_cmp_lt_i32_e32 vcc, 1, v40
                                        ; implicit-def: $vgpr25
	s_and_saveexec_b64 s[0:1], vcc
	s_xor_b64 s[0:1], exec, s[0:1]
	s_cbranch_execz .LBB21_75
; %bb.70:                               ;   in Loop: Header=BB21_3 Depth=1
	v_cmp_lt_i32_e32 vcc, 2, v40
                                        ; implicit-def: $vgpr25
	s_and_saveexec_b64 s[2:3], vcc
	s_xor_b64 s[2:3], exec, s[2:3]
; %bb.71:                               ;   in Loop: Header=BB21_3 Depth=1
	v_xor_b32_e32 v23, v41, v37
	v_xor_b32_e32 v23, v23, v32
	v_mul_hi_u32 v23, v23, s66
	v_xor_b32_e32 v23, v23, v34
	v_xor_b32_e32 v25, v42, v23
                                        ; implicit-def: $vgpr23
; %bb.72:                               ;   in Loop: Header=BB21_3 Depth=1
	s_andn2_saveexec_b64 s[2:3], s[2:3]
; %bb.73:                               ;   in Loop: Header=BB21_3 Depth=1
	v_mov_b32_e32 v25, v24
	v_mov_b32_e32 v24, v3
	;; [unrolled: 1-line block ×4, first 2 shown]
; %bb.74:                               ;   in Loop: Header=BB21_3 Depth=1
	s_or_b64 exec, exec, s[2:3]
                                        ; implicit-def: $vgpr26_vgpr27
                                        ; implicit-def: $vgpr28_vgpr29
                                        ; implicit-def: $vgpr40
                                        ; implicit-def: $vgpr23
                                        ; implicit-def: $vgpr30_vgpr31
                                        ; implicit-def: $vgpr27
                                        ; implicit-def: $vgpr29
.LBB21_75:                              ;   in Loop: Header=BB21_3 Depth=1
	s_andn2_saveexec_b64 s[0:1], s[0:1]
	s_cbranch_execz .LBB21_79
; %bb.76:                               ;   in Loop: Header=BB21_3 Depth=1
	v_xor_b32_e32 v24, v27, v31
	v_xor_b32_e32 v24, v24, v26
	v_mad_u64_u32 v[26:27], s[2:3], v24, s33, 0
	v_xor_b32_e32 v24, v27, v28
	v_xor_b32_e32 v27, v29, v24
	v_cmp_eq_u32_e32 vcc, 1, v40
	v_mov_b32_e32 v25, v22
	v_mov_b32_e32 v24, v23
	;; [unrolled: 1-line block ×3, first 2 shown]
	s_and_saveexec_b64 s[2:3], vcc
; %bb.77:                               ;   in Loop: Header=BB21_3 Depth=1
	v_mov_b32_e32 v25, v3
	v_mov_b32_e32 v24, v22
	v_mov_b32_e32 v28, v23
	v_mov_b32_e32 v27, v26
; %bb.78:                               ;   in Loop: Header=BB21_3 Depth=1
	s_or_b64 exec, exec, s[2:3]
	v_mov_b32_e32 v22, v27
	v_mov_b32_e32 v3, v28
.LBB21_79:                              ;   in Loop: Header=BB21_3 Depth=1
	s_or_b64 exec, exec, s[0:1]
	v_min_i32_e32 v23, 4, v38
	v_cmp_lt_i32_e32 vcc, 2, v23
	s_mov_b64 s[2:3], 0
	s_mov_b64 s[58:59], 0
	;; [unrolled: 1-line block ×3, first 2 shown]
                                        ; implicit-def: $sgpr6_sgpr7
                                        ; implicit-def: $sgpr52_sgpr53
                                        ; implicit-def: $sgpr54_sgpr55
	s_and_saveexec_b64 s[0:1], vcc
	s_xor_b64 s[56:57], exec, s[0:1]
	s_cbranch_execz .LBB21_91
; %bb.80:                               ;   in Loop: Header=BB21_3 Depth=1
	v_cmp_lt_i32_e32 vcc, 3, v23
	s_mov_b64 s[0:1], -1
	s_mov_b64 s[60:61], 0
                                        ; implicit-def: $sgpr4_sgpr5
                                        ; implicit-def: $sgpr6_sgpr7
	s_and_saveexec_b64 s[52:53], vcc
	s_cbranch_execz .LBB21_86
; %bb.81:                               ;   in Loop: Header=BB21_3 Depth=1
	v_cmp_eq_u32_e32 vcc, 4, v23
	s_mov_b64 s[0:1], 0
	s_mov_b64 s[60:61], -1
                                        ; implicit-def: $sgpr4_sgpr5
                                        ; implicit-def: $sgpr6_sgpr7
	s_and_saveexec_b64 s[54:55], vcc
	s_cbranch_execz .LBB21_85
; %bb.82:                               ;   in Loop: Header=BB21_3 Depth=1
	s_waitcnt vmcnt(0)
	v_cmp_le_f32_e32 vcc, 0, v39
	v_cmp_ge_f32_e64 s[0:1], 1.0, v39
	s_and_b64 s[60:61], vcc, s[0:1]
	s_mov_b64 s[4:5], 0
	s_mov_b64 s[0:1], 0
	s_and_saveexec_b64 s[6:7], s[60:61]
	s_cbranch_execz .LBB21_84
; %bb.83:                               ;   in Loop: Header=BB21_3 Depth=1
	v_cvt_f32_u32_e32 v25, v25
	v_mov_b32_e32 v26, 0x2f800000
	v_mov_b32_e32 v27, s25
	v_add_co_u32_e32 v20, vcc, s24, v20
	v_fmac_f32_e32 v26, 0x2f800000, v25
	v_addc_co_u32_e32 v21, vcc, v27, v21, vcc
	v_cmp_le_f32_e32 vcc, v26, v39
	s_mov_b64 s[0:1], exec
	v_cndmask_b32_e64 v25, 0, 1, vcc
	global_store_byte v[20:21], v25, off
.LBB21_84:                              ;   in Loop: Header=BB21_3 Depth=1
	s_or_b64 exec, exec, s[6:7]
	s_mov_b64 s[6:7], -1
	s_xor_b64 s[60:61], exec, -1
	s_and_b64 s[0:1], s[0:1], exec
.LBB21_85:                              ;   in Loop: Header=BB21_3 Depth=1
	s_or_b64 exec, exec, s[54:55]
	s_and_b64 s[60:61], s[60:61], exec
	s_orn2_b64 s[0:1], s[0:1], exec
.LBB21_86:                              ;   in Loop: Header=BB21_3 Depth=1
	s_or_b64 exec, exec, s[52:53]
	s_mov_b64 s[54:55], s[4:5]
	s_and_saveexec_b64 s[52:53], s[0:1]
	s_cbranch_execz .LBB21_90
; %bb.87:                               ;   in Loop: Header=BB21_3 Depth=1
	v_lshlrev_b64 v[18:19], 2, v[18:19]
	v_mov_b32_e32 v20, s17
	v_add_co_u32_e32 v18, vcc, s16, v18
	v_addc_co_u32_e32 v19, vcc, v20, v19, vcc
	global_load_dword v18, v[18:19], off
	s_waitcnt vmcnt(0)
	v_cmp_le_f32_e32 vcc, 0, v18
	v_cmp_ge_f32_e64 s[0:1], 1.0, v18
	s_and_b64 s[54:55], vcc, s[0:1]
	s_mov_b64 s[0:1], 0
	s_and_saveexec_b64 s[58:59], s[54:55]
	s_xor_b64 s[54:55], exec, s[58:59]
	s_cbranch_execz .LBB21_89
; %bb.88:                               ;   in Loop: Header=BB21_3 Depth=1
	v_cvt_f32_u32_e32 v19, v24
	v_mov_b32_e32 v20, 0x2f800000
	v_mov_b32_e32 v21, s25
	v_add_co_u32_e32 v16, vcc, s24, v16
	v_fmac_f32_e32 v20, 0x2f800000, v19
	v_addc_co_u32_e32 v17, vcc, v21, v17, vcc
	v_cmp_le_f32_e32 vcc, v20, v18
	v_cndmask_b32_e64 v18, 0, 1, vcc
	s_mov_b64 s[0:1], exec
	global_store_byte v[16:17], v18, off
.LBB21_89:                              ;   in Loop: Header=BB21_3 Depth=1
	s_or_b64 exec, exec, s[54:55]
	s_andn2_b64 s[54:55], s[4:5], exec
	s_or_b64 s[4:5], s[4:5], exec
	s_andn2_b64 s[6:7], s[6:7], exec
	s_and_b64 s[58:59], s[0:1], exec
.LBB21_90:                              ;   in Loop: Header=BB21_3 Depth=1
	s_or_b64 exec, exec, s[52:53]
	s_and_b64 s[54:55], s[54:55], exec
	s_and_b64 s[52:53], s[4:5], exec
	;; [unrolled: 1-line block ×5, first 2 shown]
.LBB21_91:                              ;   in Loop: Header=BB21_3 Depth=1
	s_andn2_saveexec_b64 s[0:1], s[56:57]
; %bb.92:                               ;   in Loop: Header=BB21_3 Depth=1
	v_cmp_lt_i32_e32 vcc, 1, v23
	s_andn2_b64 s[56:57], s[58:59], exec
	s_and_b64 s[58:59], vcc, exec
	s_mov_b64 s[2:3], exec
	s_andn2_b64 s[54:55], s[54:55], exec
	s_andn2_b64 s[52:53], s[52:53], exec
	;; [unrolled: 1-line block ×3, first 2 shown]
	s_or_b64 s[58:59], s[56:57], s[58:59]
; %bb.93:                               ;   in Loop: Header=BB21_3 Depth=1
	s_or_b64 exec, exec, s[0:1]
	s_mov_b64 s[0:1], 0
	s_mov_b64 s[56:57], s[54:55]
	s_and_saveexec_b64 s[60:61], s[58:59]
	s_cbranch_execnz .LBB21_101
; %bb.94:                               ;   in Loop: Header=BB21_3 Depth=1
	s_or_b64 exec, exec, s[60:61]
	s_and_saveexec_b64 s[58:59], s[2:3]
	s_cbranch_execnz .LBB21_104
.LBB21_95:                              ;   in Loop: Header=BB21_3 Depth=1
	s_or_b64 exec, exec, s[58:59]
	s_and_saveexec_b64 s[2:3], s[0:1]
	s_cbranch_execnz .LBB21_105
	s_branch .LBB21_108
.LBB21_96:                              ;   in Loop: Header=BB21_97 Depth=2
	s_or_b64 exec, exec, s[0:1]
	v_mad_u64_u32 v[28:29], s[0:1], v26, s4, 0
	s_load_dwordx2 s[0:1], s[2:3], 0xc8
	v_mul_lo_u32 v3, v27, s4
	v_mul_lo_u32 v30, v26, s5
	v_add3_u32 v3, v29, v30, v3
	v_sub_co_u32_e32 v22, vcc, v22, v28
	s_add_i32 s54, s54, -1
	v_subb_co_u32_e32 v3, vcc, v23, v3, vcc
	s_add_u32 s2, s2, -8
	s_waitcnt lgkmcnt(0)
	v_mul_lo_u32 v3, s0, v3
	v_mul_lo_u32 v23, s1, v22
	v_mad_u64_u32 v[24:25], s[0:1], s0, v22, v[24:25]
	s_addc_u32 s3, s3, -1
	s_cmp_gt_u32 s54, 2
	v_add3_u32 v25, v23, v25, v3
	v_pk_mov_b32 v[22:23], v[26:27], v[26:27] op_sel:[0,1]
	s_cbranch_scc0 .LBB21_66
.LBB21_97:                              ;   Parent Loop BB21_3 Depth=1
                                        ; =>  This Inner Loop Header: Depth=2
	s_load_dwordx2 s[4:5], s[2:3], 0x0
                                        ; implicit-def: $vgpr26_vgpr27
	s_waitcnt lgkmcnt(0)
	v_or_b32_e32 v3, s5, v23
	v_cmp_ne_u64_e32 vcc, 0, v[2:3]
	s_and_saveexec_b64 s[0:1], vcc
	s_xor_b64 s[52:53], exec, s[0:1]
	s_cbranch_execz .LBB21_99
; %bb.98:                               ;   in Loop: Header=BB21_97 Depth=2
	v_cvt_f32_u32_e32 v3, s4
	v_cvt_f32_u32_e32 v26, s5
	s_sub_u32 s0, 0, s4
	s_subb_u32 s1, 0, s5
	v_mac_f32_e32 v3, 0x4f800000, v26
	v_rcp_f32_e32 v3, v3
	v_mul_f32_e32 v3, 0x5f7ffffc, v3
	v_mul_f32_e32 v26, 0x2f800000, v3
	v_trunc_f32_e32 v26, v26
	v_mac_f32_e32 v3, 0xcf800000, v26
	v_cvt_u32_f32_e32 v26, v26
	v_cvt_u32_f32_e32 v3, v3
	v_mul_lo_u32 v27, s0, v26
	v_mul_hi_u32 v29, s0, v3
	v_mul_lo_u32 v28, s1, v3
	v_add_u32_e32 v27, v29, v27
	v_mul_lo_u32 v30, s0, v3
	v_add_u32_e32 v27, v27, v28
	v_mul_hi_u32 v29, v3, v30
	v_mul_lo_u32 v31, v3, v27
	v_mul_hi_u32 v28, v3, v27
	v_add_co_u32_e32 v29, vcc, v29, v31
	v_addc_co_u32_e32 v28, vcc, 0, v28, vcc
	v_mul_hi_u32 v32, v26, v30
	v_mul_lo_u32 v30, v26, v30
	v_add_co_u32_e32 v29, vcc, v29, v30
	v_mul_hi_u32 v31, v26, v27
	v_addc_co_u32_e32 v28, vcc, v28, v32, vcc
	v_addc_co_u32_e32 v29, vcc, 0, v31, vcc
	v_mul_lo_u32 v27, v26, v27
	v_add_co_u32_e32 v27, vcc, v28, v27
	v_addc_co_u32_e32 v28, vcc, 0, v29, vcc
	v_add_co_u32_e32 v3, vcc, v3, v27
	v_addc_co_u32_e32 v26, vcc, v26, v28, vcc
	v_mul_lo_u32 v27, s0, v26
	v_mul_hi_u32 v28, s0, v3
	v_add_u32_e32 v27, v28, v27
	v_mul_lo_u32 v28, s1, v3
	v_add_u32_e32 v27, v27, v28
	v_mul_lo_u32 v29, s0, v3
	v_mul_hi_u32 v30, v26, v29
	v_mul_lo_u32 v31, v26, v29
	v_mul_lo_u32 v33, v3, v27
	v_mul_hi_u32 v29, v3, v29
	v_mul_hi_u32 v32, v3, v27
	v_add_co_u32_e32 v29, vcc, v29, v33
	v_addc_co_u32_e32 v32, vcc, 0, v32, vcc
	v_add_co_u32_e32 v29, vcc, v29, v31
	v_mul_hi_u32 v28, v26, v27
	v_addc_co_u32_e32 v29, vcc, v32, v30, vcc
	v_addc_co_u32_e32 v28, vcc, 0, v28, vcc
	v_mul_lo_u32 v27, v26, v27
	v_add_co_u32_e32 v27, vcc, v29, v27
	v_addc_co_u32_e32 v28, vcc, 0, v28, vcc
	v_add_co_u32_e32 v3, vcc, v3, v27
	v_addc_co_u32_e32 v28, vcc, v26, v28, vcc
	v_mad_u64_u32 v[26:27], s[0:1], v22, v28, 0
	v_mul_hi_u32 v29, v22, v3
	v_add_co_u32_e32 v30, vcc, v29, v26
	v_addc_co_u32_e32 v31, vcc, 0, v27, vcc
	v_mad_u64_u32 v[26:27], s[0:1], v23, v28, 0
	v_mad_u64_u32 v[28:29], s[0:1], v23, v3, 0
	v_add_co_u32_e32 v3, vcc, v30, v28
	v_addc_co_u32_e32 v3, vcc, v31, v29, vcc
	v_addc_co_u32_e32 v27, vcc, 0, v27, vcc
	v_add_co_u32_e32 v3, vcc, v3, v26
	v_addc_co_u32_e32 v28, vcc, 0, v27, vcc
	v_mul_lo_u32 v29, s5, v3
	v_mul_lo_u32 v30, s4, v28
	v_mad_u64_u32 v[26:27], s[0:1], s4, v3, 0
	v_add3_u32 v27, v27, v30, v29
	v_sub_u32_e32 v29, v23, v27
	v_mov_b32_e32 v30, s5
	v_sub_co_u32_e32 v26, vcc, v22, v26
	v_subb_co_u32_e64 v29, s[0:1], v29, v30, vcc
	v_subrev_co_u32_e64 v30, s[0:1], s4, v26
	v_subbrev_co_u32_e64 v29, s[0:1], 0, v29, s[0:1]
	v_cmp_le_u32_e64 s[0:1], s5, v29
	v_cndmask_b32_e64 v31, 0, -1, s[0:1]
	v_cmp_le_u32_e64 s[0:1], s4, v30
	v_cndmask_b32_e64 v30, 0, -1, s[0:1]
	v_cmp_eq_u32_e64 s[0:1], s5, v29
	v_cndmask_b32_e64 v29, v31, v30, s[0:1]
	v_add_co_u32_e64 v30, s[0:1], 2, v3
	v_addc_co_u32_e64 v31, s[0:1], 0, v28, s[0:1]
	v_add_co_u32_e64 v32, s[0:1], 1, v3
	v_addc_co_u32_e64 v33, s[0:1], 0, v28, s[0:1]
	v_subb_co_u32_e32 v27, vcc, v23, v27, vcc
	v_cmp_ne_u32_e64 s[0:1], 0, v29
	v_cmp_le_u32_e32 vcc, s5, v27
	v_cndmask_b32_e64 v29, v33, v31, s[0:1]
	v_cndmask_b32_e64 v31, 0, -1, vcc
	v_cmp_le_u32_e32 vcc, s4, v26
	v_cndmask_b32_e64 v26, 0, -1, vcc
	v_cmp_eq_u32_e32 vcc, s5, v27
	v_cndmask_b32_e32 v26, v31, v26, vcc
	v_cmp_ne_u32_e32 vcc, 0, v26
	v_cndmask_b32_e64 v26, v32, v30, s[0:1]
	v_cndmask_b32_e32 v27, v28, v29, vcc
	v_cndmask_b32_e32 v26, v3, v26, vcc
.LBB21_99:                              ;   in Loop: Header=BB21_97 Depth=2
	s_andn2_saveexec_b64 s[0:1], s[52:53]
	s_cbranch_execz .LBB21_96
; %bb.100:                              ;   in Loop: Header=BB21_97 Depth=2
	v_cvt_f32_u32_e32 v3, s4
	s_sub_i32 s52, 0, s4
	v_rcp_iflag_f32_e32 v3, v3
	v_mul_f32_e32 v3, 0x4f7ffffe, v3
	v_cvt_u32_f32_e32 v3, v3
	v_mul_lo_u32 v26, s52, v3
	v_mul_hi_u32 v26, v3, v26
	v_add_u32_e32 v3, v3, v26
	v_mul_hi_u32 v3, v22, v3
	v_mul_lo_u32 v26, v3, s4
	v_sub_u32_e32 v26, v22, v26
	v_add_u32_e32 v27, 1, v3
	v_subrev_u32_e32 v28, s4, v26
	v_cmp_le_u32_e32 vcc, s4, v26
	v_cndmask_b32_e32 v26, v26, v28, vcc
	v_cndmask_b32_e32 v3, v3, v27, vcc
	v_add_u32_e32 v27, 1, v3
	v_cmp_le_u32_e32 vcc, s4, v26
	v_cndmask_b32_e32 v26, v3, v27, vcc
	v_mov_b32_e32 v27, v2
	s_branch .LBB21_96
.LBB21_101:                             ;   in Loop: Header=BB21_3 Depth=1
	v_lshlrev_b64 v[14:15], 2, v[14:15]
	v_mov_b32_e32 v16, s17
	v_add_co_u32_e32 v14, vcc, s16, v14
	v_addc_co_u32_e32 v15, vcc, v16, v15, vcc
	global_load_dword v14, v[14:15], off
	s_waitcnt vmcnt(0)
	v_cmp_le_f32_e32 vcc, 0, v14
	v_cmp_ge_f32_e64 s[0:1], 1.0, v14
	s_and_b64 s[56:57], vcc, s[0:1]
	s_mov_b64 s[0:1], 0
	s_and_saveexec_b64 s[58:59], s[56:57]
	s_xor_b64 s[56:57], exec, s[58:59]
	s_cbranch_execz .LBB21_103
; %bb.102:                              ;   in Loop: Header=BB21_3 Depth=1
	v_cvt_f32_u32_e32 v3, v3
	v_mov_b32_e32 v15, 0x2f800000
	v_mov_b32_e32 v16, s25
	v_add_co_u32_e32 v12, vcc, s24, v12
	v_fmac_f32_e32 v15, 0x2f800000, v3
	v_addc_co_u32_e32 v13, vcc, v16, v13, vcc
	v_cmp_le_f32_e32 vcc, v15, v14
	v_cndmask_b32_e64 v3, 0, 1, vcc
	s_mov_b64 s[0:1], exec
	global_store_byte v[12:13], v3, off
.LBB21_103:                             ;   in Loop: Header=BB21_3 Depth=1
	s_or_b64 exec, exec, s[56:57]
	s_andn2_b64 s[56:57], s[54:55], exec
	s_or_b64 s[54:55], s[54:55], exec
	s_andn2_b64 s[52:53], s[52:53], exec
	s_andn2_b64 s[6:7], s[6:7], exec
	s_and_b64 s[0:1], s[0:1], exec
	s_andn2_b64 s[2:3], s[2:3], exec
	s_or_b64 exec, exec, s[60:61]
	s_and_saveexec_b64 s[58:59], s[2:3]
	s_cbranch_execz .LBB21_95
.LBB21_104:                             ;   in Loop: Header=BB21_3 Depth=1
	v_cmp_eq_u32_e32 vcc, 1, v23
	s_andn2_b64 s[0:1], s[0:1], exec
	s_and_b64 s[2:3], vcc, exec
	s_andn2_b64 s[56:57], s[56:57], exec
	s_andn2_b64 s[54:55], s[54:55], exec
	s_andn2_b64 s[52:53], s[52:53], exec
	s_andn2_b64 s[6:7], s[6:7], exec
	s_or_b64 s[4:5], s[4:5], exec
	s_or_b64 s[0:1], s[0:1], s[2:3]
	s_or_b64 exec, exec, s[58:59]
	s_and_saveexec_b64 s[2:3], s[0:1]
	s_cbranch_execz .LBB21_108
.LBB21_105:                             ;   in Loop: Header=BB21_3 Depth=1
	v_lshlrev_b64 v[10:11], 2, v[10:11]
	v_mov_b32_e32 v3, s17
	v_add_co_u32_e32 v10, vcc, s16, v10
	v_addc_co_u32_e32 v11, vcc, v3, v11, vcc
	global_load_dword v3, v[10:11], off
	s_waitcnt vmcnt(0)
	v_cmp_le_f32_e32 vcc, 0, v3
	v_cmp_ge_f32_e64 s[0:1], 1.0, v3
	s_and_b64 s[60:61], vcc, s[0:1]
	s_mov_b64 s[0:1], 0
	s_and_saveexec_b64 s[58:59], s[60:61]
	s_cbranch_execz .LBB21_107
; %bb.106:                              ;   in Loop: Header=BB21_3 Depth=1
	v_cvt_f32_u32_e32 v10, v22
	v_mov_b32_e32 v11, 0x2f800000
	v_mov_b32_e32 v12, s25
	v_add_co_u32_e32 v8, vcc, s24, v8
	v_fmac_f32_e32 v11, 0x2f800000, v10
	v_addc_co_u32_e32 v9, vcc, v12, v9, vcc
	v_cmp_le_f32_e32 vcc, v11, v3
	s_mov_b64 s[0:1], exec
	v_cndmask_b32_e64 v3, 0, 1, vcc
	global_store_byte v[8:9], v3, off
.LBB21_107:                             ;   in Loop: Header=BB21_3 Depth=1
	s_or_b64 exec, exec, s[58:59]
	s_andn2_b64 s[4:5], s[4:5], exec
	s_and_b64 s[0:1], s[0:1], exec
	s_or_b64 s[56:57], s[56:57], exec
	s_andn2_b64 s[54:55], s[54:55], exec
	s_andn2_b64 s[52:53], s[52:53], exec
	;; [unrolled: 1-line block ×3, first 2 shown]
	s_or_b64 s[4:5], s[4:5], s[0:1]
.LBB21_108:                             ;   in Loop: Header=BB21_3 Depth=1
	s_or_b64 exec, exec, s[2:3]
	s_andn2_b64 s[2:3], s[50:51], exec
	s_and_b64 s[50:51], s[56:57], exec
	s_or_b64 s[50:51], s[2:3], s[50:51]
	s_andn2_b64 s[2:3], s[48:49], exec
	s_and_b64 s[48:49], s[54:55], exec
	s_or_b64 s[48:49], s[2:3], s[48:49]
	;; [unrolled: 3-line block ×3, first 2 shown]
	s_andn2_b64 s[2:3], s[44:45], exec
	s_and_b64 s[6:7], s[6:7], exec
	s_mov_b64 s[0:1], -1
	s_or_b64 s[44:45], s[2:3], s[6:7]
	s_and_saveexec_b64 s[2:3], s[4:5]
	s_cbranch_execz .LBB21_2
; %bb.109:                              ;   in Loop: Header=BB21_3 Depth=1
	v_mov_b32_e32 v3, s63
	v_add_co_u32_e32 v0, vcc, s62, v0
	v_addc_co_u32_e32 v1, vcc, v1, v3, vcc
	v_cmp_le_u64_e32 vcc, s[8:9], v[0:1]
	s_andn2_b64 s[50:51], s[50:51], exec
	s_andn2_b64 s[48:49], s[48:49], exec
	;; [unrolled: 1-line block ×4, first 2 shown]
	s_orn2_b64 s[0:1], vcc, exec
	s_branch .LBB21_2
.LBB21_110:
	s_or_b64 exec, exec, s[36:37]
	s_xor_b64 s[6:7], s[42:43], -1
	s_xor_b64 s[8:9], s[40:41], -1
	;; [unrolled: 1-line block ×3, first 2 shown]
	s_mov_b64 s[2:3], 0
	s_and_saveexec_b64 s[4:5], s[0:1]
	s_xor_b64 s[0:1], exec, s[4:5]
	s_cbranch_execnz .LBB21_115
; %bb.111:
	s_andn2_saveexec_b64 s[0:1], s[0:1]
	s_cbranch_execnz .LBB21_123
.LBB21_112:
	s_or_b64 exec, exec, s[0:1]
	s_and_b64 exec, exec, s[2:3]
.LBB21_113:
	; divergent unreachable
.LBB21_114:
	s_endpgm
.LBB21_115:
	s_mov_b64 s[4:5], 0
	s_and_saveexec_b64 s[2:3], s[8:9]
	s_xor_b64 s[2:3], exec, s[2:3]
	s_cbranch_execz .LBB21_121
; %bb.116:
	s_and_saveexec_b64 s[8:9], s[6:7]
	s_xor_b64 s[6:7], exec, s[8:9]
	s_cbranch_execz .LBB21_119
; %bb.117:
	s_and_saveexec_b64 s[8:9], s[28:29]
	s_xor_b64 s[8:9], exec, s[8:9]
	s_cbranch_execnz .LBB21_126
.LBB21_118:
	s_or_b64 exec, exec, s[8:9]
	s_and_b64 s[4:5], s[4:5], exec
.LBB21_119:
	s_andn2_saveexec_b64 s[6:7], s[6:7]
	s_cbranch_execnz .LBB21_125
.LBB21_120:
	s_or_b64 exec, exec, s[6:7]
	s_and_b64 s[4:5], s[4:5], exec
.LBB21_121:
	s_andn2_saveexec_b64 s[2:3], s[2:3]
	s_cbranch_execnz .LBB21_124
.LBB21_122:
	s_or_b64 exec, exec, s[2:3]
	s_and_b64 s[2:3], s[4:5], exec
	s_andn2_saveexec_b64 s[0:1], s[0:1]
	s_cbranch_execz .LBB21_112
.LBB21_123:
	s_or_b64 s[2:3], s[2:3], exec
	s_trap 2
	s_or_b64 exec, exec, s[0:1]
	s_and_b64 exec, exec, s[2:3]
	s_cbranch_execnz .LBB21_113
	s_branch .LBB21_114
.LBB21_124:
	s_or_b64 s[4:5], s[4:5], exec
	s_trap 2
	s_branch .LBB21_122
.LBB21_125:
	s_trap 2
	s_or_b64 s[4:5], s[4:5], exec
	s_branch .LBB21_120
.LBB21_126:
	s_mov_b64 s[4:5], exec
	s_trap 2
	s_branch .LBB21_118
	.section	.rodata,"a",@progbits
	.p2align	6, 0x0
	.amdhsa_kernel _ZN2at4cuda12_GLOBAL__N_121kernelPointwiseApply2IZNS_6native9templates4cuda28bernoulli_tensor_cuda_kernelIhfEEvRKNS_10TensorBaseES9_NS_15PhiloxCudaStateEEUliRhSB_SB_SB_RKfSD_SD_SD_E_hSC_mLin1ELin1ELi4ELi512ELi2EEEvNS0_6detail10TensorInfoIT0_T2_EENSG_IT1_SI_EESI_T_
		.amdhsa_group_segment_fixed_size 0
		.amdhsa_private_segment_fixed_size 0
		.amdhsa_kernarg_size 1128
		.amdhsa_user_sgpr_count 6
		.amdhsa_user_sgpr_private_segment_buffer 1
		.amdhsa_user_sgpr_dispatch_ptr 0
		.amdhsa_user_sgpr_queue_ptr 0
		.amdhsa_user_sgpr_kernarg_segment_ptr 1
		.amdhsa_user_sgpr_dispatch_id 0
		.amdhsa_user_sgpr_flat_scratch_init 0
		.amdhsa_user_sgpr_kernarg_preload_length 0
		.amdhsa_user_sgpr_kernarg_preload_offset 0
		.amdhsa_user_sgpr_private_segment_size 0
		.amdhsa_uses_dynamic_stack 0
		.amdhsa_system_sgpr_private_segment_wavefront_offset 0
		.amdhsa_system_sgpr_workgroup_id_x 1
		.amdhsa_system_sgpr_workgroup_id_y 0
		.amdhsa_system_sgpr_workgroup_id_z 0
		.amdhsa_system_sgpr_workgroup_info 0
		.amdhsa_system_vgpr_workitem_id 0
		.amdhsa_next_free_vgpr 57
		.amdhsa_next_free_sgpr 68
		.amdhsa_accum_offset 60
		.amdhsa_reserve_vcc 1
		.amdhsa_reserve_flat_scratch 0
		.amdhsa_float_round_mode_32 0
		.amdhsa_float_round_mode_16_64 0
		.amdhsa_float_denorm_mode_32 3
		.amdhsa_float_denorm_mode_16_64 3
		.amdhsa_dx10_clamp 1
		.amdhsa_ieee_mode 1
		.amdhsa_fp16_overflow 0
		.amdhsa_tg_split 0
		.amdhsa_exception_fp_ieee_invalid_op 0
		.amdhsa_exception_fp_denorm_src 0
		.amdhsa_exception_fp_ieee_div_zero 0
		.amdhsa_exception_fp_ieee_overflow 0
		.amdhsa_exception_fp_ieee_underflow 0
		.amdhsa_exception_fp_ieee_inexact 0
		.amdhsa_exception_int_div_zero 0
	.end_amdhsa_kernel
	.section	.text._ZN2at4cuda12_GLOBAL__N_121kernelPointwiseApply2IZNS_6native9templates4cuda28bernoulli_tensor_cuda_kernelIhfEEvRKNS_10TensorBaseES9_NS_15PhiloxCudaStateEEUliRhSB_SB_SB_RKfSD_SD_SD_E_hSC_mLin1ELin1ELi4ELi512ELi2EEEvNS0_6detail10TensorInfoIT0_T2_EENSG_IT1_SI_EESI_T_,"axG",@progbits,_ZN2at4cuda12_GLOBAL__N_121kernelPointwiseApply2IZNS_6native9templates4cuda28bernoulli_tensor_cuda_kernelIhfEEvRKNS_10TensorBaseES9_NS_15PhiloxCudaStateEEUliRhSB_SB_SB_RKfSD_SD_SD_E_hSC_mLin1ELin1ELi4ELi512ELi2EEEvNS0_6detail10TensorInfoIT0_T2_EENSG_IT1_SI_EESI_T_,comdat
.Lfunc_end21:
	.size	_ZN2at4cuda12_GLOBAL__N_121kernelPointwiseApply2IZNS_6native9templates4cuda28bernoulli_tensor_cuda_kernelIhfEEvRKNS_10TensorBaseES9_NS_15PhiloxCudaStateEEUliRhSB_SB_SB_RKfSD_SD_SD_E_hSC_mLin1ELin1ELi4ELi512ELi2EEEvNS0_6detail10TensorInfoIT0_T2_EENSG_IT1_SI_EESI_T_, .Lfunc_end21-_ZN2at4cuda12_GLOBAL__N_121kernelPointwiseApply2IZNS_6native9templates4cuda28bernoulli_tensor_cuda_kernelIhfEEvRKNS_10TensorBaseES9_NS_15PhiloxCudaStateEEUliRhSB_SB_SB_RKfSD_SD_SD_E_hSC_mLin1ELin1ELi4ELi512ELi2EEEvNS0_6detail10TensorInfoIT0_T2_EENSG_IT1_SI_EESI_T_
                                        ; -- End function
	.section	.AMDGPU.csdata,"",@progbits
; Kernel info:
; codeLenInByte = 10240
; NumSgprs: 72
; NumVgprs: 57
; NumAgprs: 0
; TotalNumVgprs: 57
; ScratchSize: 0
; MemoryBound: 0
; FloatMode: 240
; IeeeMode: 1
; LDSByteSize: 0 bytes/workgroup (compile time only)
; SGPRBlocks: 8
; VGPRBlocks: 7
; NumSGPRsForWavesPerEU: 72
; NumVGPRsForWavesPerEU: 57
; AccumOffset: 60
; Occupancy: 8
; WaveLimiterHint : 1
; COMPUTE_PGM_RSRC2:SCRATCH_EN: 0
; COMPUTE_PGM_RSRC2:USER_SGPR: 6
; COMPUTE_PGM_RSRC2:TRAP_HANDLER: 0
; COMPUTE_PGM_RSRC2:TGID_X_EN: 1
; COMPUTE_PGM_RSRC2:TGID_Y_EN: 0
; COMPUTE_PGM_RSRC2:TGID_Z_EN: 0
; COMPUTE_PGM_RSRC2:TIDIG_COMP_CNT: 0
; COMPUTE_PGM_RSRC3_GFX90A:ACCUM_OFFSET: 14
; COMPUTE_PGM_RSRC3_GFX90A:TG_SPLIT: 0
	.section	.text._ZN2at4cuda12_GLOBAL__N_121kernelPointwiseApply2IZNS_6native9templates4cuda28bernoulli_tensor_cuda_kernelIafEEvRKNS_10TensorBaseES9_NS_15PhiloxCudaStateEEUliRaSB_SB_SB_RKfSD_SD_SD_E_aSC_jLi1ELi1ELi4ELi512ELi2EEEvNS0_6detail10TensorInfoIT0_T2_EENSG_IT1_SI_EESI_T_,"axG",@progbits,_ZN2at4cuda12_GLOBAL__N_121kernelPointwiseApply2IZNS_6native9templates4cuda28bernoulli_tensor_cuda_kernelIafEEvRKNS_10TensorBaseES9_NS_15PhiloxCudaStateEEUliRaSB_SB_SB_RKfSD_SD_SD_E_aSC_jLi1ELi1ELi4ELi512ELi2EEEvNS0_6detail10TensorInfoIT0_T2_EENSG_IT1_SI_EESI_T_,comdat
	.globl	_ZN2at4cuda12_GLOBAL__N_121kernelPointwiseApply2IZNS_6native9templates4cuda28bernoulli_tensor_cuda_kernelIafEEvRKNS_10TensorBaseES9_NS_15PhiloxCudaStateEEUliRaSB_SB_SB_RKfSD_SD_SD_E_aSC_jLi1ELi1ELi4ELi512ELi2EEEvNS0_6detail10TensorInfoIT0_T2_EENSG_IT1_SI_EESI_T_ ; -- Begin function _ZN2at4cuda12_GLOBAL__N_121kernelPointwiseApply2IZNS_6native9templates4cuda28bernoulli_tensor_cuda_kernelIafEEvRKNS_10TensorBaseES9_NS_15PhiloxCudaStateEEUliRaSB_SB_SB_RKfSD_SD_SD_E_aSC_jLi1ELi1ELi4ELi512ELi2EEEvNS0_6detail10TensorInfoIT0_T2_EENSG_IT1_SI_EESI_T_
	.p2align	8
	.type	_ZN2at4cuda12_GLOBAL__N_121kernelPointwiseApply2IZNS_6native9templates4cuda28bernoulli_tensor_cuda_kernelIafEEvRKNS_10TensorBaseES9_NS_15PhiloxCudaStateEEUliRaSB_SB_SB_RKfSD_SD_SD_E_aSC_jLi1ELi1ELi4ELi512ELi2EEEvNS0_6detail10TensorInfoIT0_T2_EENSG_IT1_SI_EESI_T_,@function
_ZN2at4cuda12_GLOBAL__N_121kernelPointwiseApply2IZNS_6native9templates4cuda28bernoulli_tensor_cuda_kernelIafEEvRKNS_10TensorBaseES9_NS_15PhiloxCudaStateEEUliRaSB_SB_SB_RKfSD_SD_SD_E_aSC_jLi1ELi1ELi4ELi512ELi2EEEvNS0_6detail10TensorInfoIT0_T2_EENSG_IT1_SI_EESI_T_: ; @_ZN2at4cuda12_GLOBAL__N_121kernelPointwiseApply2IZNS_6native9templates4cuda28bernoulli_tensor_cuda_kernelIafEEvRKNS_10TensorBaseES9_NS_15PhiloxCudaStateEEUliRaSB_SB_SB_RKfSD_SD_SD_E_aSC_jLi1ELi1ELi4ELi512ELi2EEEvNS0_6detail10TensorInfoIT0_T2_EENSG_IT1_SI_EESI_T_
; %bb.0:
	s_load_dword s2, s[4:5], 0x1e4
	s_load_dword s33, s[4:5], 0x1b0
	s_add_u32 s0, s4, 0x1d8
	s_addc_u32 s1, s5, 0
	s_waitcnt lgkmcnt(0)
	s_and_b32 s2, s2, 0xffff
	s_mul_i32 s6, s6, s2
	v_add_u32_e32 v5, s6, v0
	v_lshlrev_b32_e32 v22, 2, v5
	v_cmp_gt_u32_e32 vcc, s33, v22
	s_and_saveexec_b64 s[6:7], vcc
	s_cbranch_execz .LBB22_43
; %bb.1:
	s_load_dword s3, s[0:1], 0x0
	s_load_dword s16, s[4:5], 0x1d0
	s_load_dwordx2 s[6:7], s[4:5], 0x0
	s_load_dword s17, s[4:5], 0x6c
	s_load_dwordx2 s[12:13], s[4:5], 0xd8
	;; [unrolled: 2-line block ×3, first 2 shown]
	s_load_dwordx4 s[8:11], s[4:5], 0x1b8
	s_mov_b32 s50, 0xcd9e8d57
	s_waitcnt lgkmcnt(0)
	v_mul_lo_u32 v2, s17, v22
	s_bitcmp1_b32 s16, 0
	v_mad_u64_u32 v[0:1], s[0:1], v5, s50, 0
	v_add_u32_e32 v23, s17, v2
	v_add_u32_e32 v2, 2, v22
	s_mul_i32 s2, s3, s2
	s_cselect_b64 s[0:1], -1, 0
	v_mul_lo_u32 v24, s17, v2
	v_mul_lo_u32 v7, s17, v5
	;; [unrolled: 1-line block ×4, first 2 shown]
	s_lshl_b32 s52, s2, 2
	s_mul_i32 s3, s2, s17
	v_add_u32_e32 v6, 3, v22
	v_lshlrev_b32_e32 v26, 2, v7
	v_mul_lo_u32 v7, s18, v22
	s_mul_i32 s2, s2, s18
	v_lshlrev_b32_e32 v30, 2, v2
	v_cndmask_b32_e64 v2, 0, 1, s[0:1]
	s_mov_b32 s51, 0
	v_mov_b32_e32 v3, 0
	v_mov_b32_e32 v4, v1
	v_sub_u32_e32 v1, s33, v22
	s_lshl_b32 s53, s3, 2
	v_mul_lo_u32 v25, s17, v6
	v_add_u32_e32 v27, s18, v7
	s_lshl_b32 s54, s2, 2
	v_mul_lo_u32 v29, s18, v6
	s_mov_b64 s[18:19], 0
	v_mov_b32_e32 v31, s13
	v_cmp_ne_u32_e64 s[0:1], 1, v2
	s_mov_b32 s55, 0xd2511f53
	s_mov_b32 s56, 0xf1bbcdc8
	;; [unrolled: 1-line block ×3, first 2 shown]
                                        ; implicit-def: $sgpr20_sgpr21
                                        ; implicit-def: $sgpr22_sgpr23
                                        ; implicit-def: $sgpr24_sgpr25
                                        ; implicit-def: $sgpr16_sgpr17
                                        ; implicit-def: $sgpr26_sgpr27
                                        ; implicit-def: $sgpr28_sgpr29
                                        ; implicit-def: $sgpr30_sgpr31
                                        ; implicit-def: $sgpr34_sgpr35
	s_branch .LBB22_3
.LBB22_2:                               ;   in Loop: Header=BB22_3 Depth=1
	s_or_b64 exec, exec, s[4:5]
	s_and_b64 s[2:3], exec, s[2:3]
	s_or_b64 s[18:19], s[2:3], s[18:19]
	s_andn2_b64 s[2:3], s[16:17], exec
	s_and_b64 s[4:5], s[34:35], exec
	s_or_b64 s[16:17], s[2:3], s[4:5]
	s_andn2_b64 s[2:3], s[24:25], exec
	s_and_b64 s[4:5], s[30:31], exec
	;; [unrolled: 3-line block ×4, first 2 shown]
	s_or_b64 s[20:21], s[2:3], s[4:5]
	s_andn2_b64 exec, exec, s[18:19]
	s_cbranch_execz .LBB22_39
.LBB22_3:                               ; =>This Inner Loop Header: Depth=1
	s_waitcnt vmcnt(0)
	v_add_u32_e32 v2, s51, v29
	v_cmp_lt_i32_e64 s[2:3], 3, v1
	v_cndmask_b32_e64 v2, 0, v2, s[2:3]
	v_lshlrev_b64 v[6:7], 2, v[2:3]
	v_add_co_u32_e32 v6, vcc, s12, v6
	v_addc_co_u32_e32 v7, vcc, v31, v7, vcc
	global_load_dword v2, v[6:7], off
	s_and_b64 vcc, exec, s[0:1]
	v_pk_mov_b32 v[6:7], s[10:11], s[10:11] op_sel:[0,1]
	v_pk_mov_b32 v[8:9], s[8:9], s[8:9] op_sel:[0,1]
	s_cbranch_vccnz .LBB22_5
; %bb.4:                                ;   in Loop: Header=BB22_3 Depth=1
	v_pk_mov_b32 v[6:7], s[10:11], s[10:11] op_sel:[0,1]
	flat_load_dwordx2 v[6:7], v[6:7]
	v_pk_mov_b32 v[8:9], s[8:9], s[8:9] op_sel:[0,1]
	flat_load_dwordx2 v[8:9], v[8:9]
	v_mov_b32_e32 v10, s15
	s_waitcnt vmcnt(0) lgkmcnt(0)
	v_add_co_u32_e32 v6, vcc, s14, v6
	v_addc_co_u32_e32 v7, vcc, v7, v10, vcc
.LBB22_5:                               ;   in Loop: Header=BB22_3 Depth=1
	v_alignbit_b32 v18, v7, v6, 2
	v_lshrrev_b32_e32 v19, 2, v7
	v_xor_b32_e32 v10, v4, v8
	v_and_b32_e32 v32, 3, v6
	v_mad_u64_u32 v[6:7], s[4:5], v18, s55, 0
	v_xor_b32_e32 v10, v10, v19
	v_xor_b32_e32 v7, v7, v9
	v_add_u32_e32 v37, 0xbb67ae85, v9
	v_mad_u64_u32 v[10:11], s[4:5], v10, s55, 0
	v_mad_u64_u32 v[12:13], s[4:5], v7, s50, 0
	v_xor_b32_e32 v11, v37, v11
	v_add_u32_e32 v36, 0x9e3779b9, v8
	v_xor_b32_e32 v7, v0, v13
	v_xor_b32_e32 v11, v11, v6
	v_xor_b32_e32 v7, v7, v36
	v_add_u32_e32 v38, 0x3c6ef372, v8
	v_mad_u64_u32 v[14:15], s[4:5], v11, s50, 0
	v_add_u32_e32 v39, 0x76cf5d0a, v9
	v_mad_u64_u32 v[6:7], s[4:5], v7, s55, 0
	v_xor_b32_e32 v11, v38, v15
	v_xor_b32_e32 v11, v11, v12
	v_xor_b32_e32 v7, v39, v7
	v_xor_b32_e32 v7, v7, v10
	v_add_u32_e32 v41, 0x32370b8f, v9
	v_mad_u64_u32 v[10:11], s[4:5], v11, s55, 0
	v_add_u32_e32 v40, 0xdaa66d2b, v8
	v_mad_u64_u32 v[12:13], s[4:5], v7, s50, 0
	v_xor_b32_e32 v11, v41, v11
	;; [unrolled: 8-line block ×5, first 2 shown]
	v_xor_b32_e32 v11, v11, v12
	v_xor_b32_e32 v7, v47, v7
	;; [unrolled: 1-line block ×3, first 2 shown]
	v_add_u32_e32 v49, 0x1fd5c5a3, v9
	v_mad_u64_u32 v[10:11], s[4:5], v11, s55, 0
	v_xor_b32_e32 v11, v49, v11
	v_xor_b32_e32 v6, v11, v6
	v_add_u32_e32 v48, 0x5384540f, v8
	v_mad_u64_u32 v[16:17], s[4:5], v7, s50, 0
	v_add_co_u32_e32 v34, vcc, s56, v8
	v_mad_u64_u32 v[12:13], s[4:5], v6, s50, 0
	v_xor_b32_e32 v7, v48, v17
	v_xor_b32_e32 v6, v34, v13
	;; [unrolled: 1-line block ×4, first 2 shown]
	v_mad_u64_u32 v[14:15], s[4:5], v7, s55, 0
	v_mad_u64_u32 v[6:7], s[4:5], v6, s55, 0
	v_add_u32_e32 v35, 0x96a522ad, v9
	v_xor_b32_e32 v7, v7, v14
	v_xor_b32_e32 v33, v35, v7
	v_add_co_u32_e32 v7, vcc, 1, v18
	v_cndmask_b32_e64 v14, 0, 1, vcc
	v_addc_co_u32_e32 v20, vcc, 0, v19, vcc
	v_cmp_eq_u32_e32 vcc, 0, v20
	v_cndmask_b32_e32 v14, 0, v14, vcc
	v_add_u32_e32 v18, v14, v5
	v_cmp_eq_u32_e32 vcc, 0, v18
	v_mad_u64_u32 v[16:17], s[4:5], v7, s55, 0
	v_mad_u64_u32 v[18:19], s[4:5], v18, s50, 0
	v_add_u32_e32 v13, 0x8ff34781, v8
	v_cndmask_b32_e32 v14, 0, v14, vcc
	v_xor_b32_e32 v7, v19, v8
	v_xor_b32_e32 v8, v17, v9
	;; [unrolled: 1-line block ×4, first 2 shown]
	v_mad_u64_u32 v[20:21], s[4:5], v14, s50, 0
	v_add_u32_e32 v11, 0xdb3d7428, v9
	v_mad_u64_u32 v[8:9], s[4:5], v7, s55, 0
	v_xor_b32_e32 v7, v36, v21
	v_xor_b32_e32 v7, v7, v18
	v_xor_b32_e32 v9, v37, v9
	v_xor_b32_e32 v9, v9, v16
	v_mad_u64_u32 v[16:17], s[4:5], v7, s55, 0
	v_mad_u64_u32 v[18:19], s[4:5], v9, s50, 0
	v_xor_b32_e32 v9, v39, v17
	v_xor_b32_e32 v7, v38, v19
	v_xor_b32_e32 v14, v9, v8
	v_xor_b32_e32 v7, v7, v20
	v_mad_u64_u32 v[20:21], s[4:5], v14, s50, 0
	;; [unrolled: 6-line block ×7, first 2 shown]
	v_xor_b32_e32 v7, v11, v19
	v_xor_b32_e32 v7, v7, v8
	v_mad_u64_u32 v[20:21], s[4:5], v9, s50, 0
	v_mad_u64_u32 v[8:9], s[4:5], v7, s50, 0
	v_xor_b32_e32 v7, v9, v20
	v_xor_b32_e32 v7, v13, v7
	v_cmp_lt_i32_e32 vcc, 1, v32
                                        ; implicit-def: $vgpr17
	s_and_saveexec_b64 s[4:5], vcc
	s_xor_b64 s[4:5], exec, s[4:5]
	s_cbranch_execz .LBB22_11
; %bb.6:                                ;   in Loop: Header=BB22_3 Depth=1
	v_cmp_lt_i32_e32 vcc, 2, v32
                                        ; implicit-def: $vgpr17
	s_and_saveexec_b64 s[36:37], vcc
	s_xor_b64 s[36:37], exec, s[36:37]
; %bb.7:                                ;   in Loop: Header=BB22_3 Depth=1
	v_xor_b32_e32 v9, v34, v21
	v_xor_b32_e32 v9, v9, v16
	v_mul_hi_u32 v9, v9, s55
	v_xor_b32_e32 v9, v9, v18
	v_xor_b32_e32 v17, v35, v9
                                        ; implicit-def: $vgpr33
; %bb.8:                                ;   in Loop: Header=BB22_3 Depth=1
	s_andn2_saveexec_b64 s[36:37], s[36:37]
; %bb.9:                                ;   in Loop: Header=BB22_3 Depth=1
	v_mov_b32_e32 v17, v8
	v_mov_b32_e32 v8, v7
	;; [unrolled: 1-line block ×4, first 2 shown]
; %bb.10:                               ;   in Loop: Header=BB22_3 Depth=1
	s_or_b64 exec, exec, s[36:37]
                                        ; implicit-def: $vgpr10_vgpr11
                                        ; implicit-def: $vgpr12_vgpr13
                                        ; implicit-def: $vgpr32
                                        ; implicit-def: $vgpr33
                                        ; implicit-def: $vgpr14_vgpr15
                                        ; implicit-def: $vgpr11
                                        ; implicit-def: $vgpr13
.LBB22_11:                              ;   in Loop: Header=BB22_3 Depth=1
	s_andn2_saveexec_b64 s[4:5], s[4:5]
	s_cbranch_execz .LBB22_15
; %bb.12:                               ;   in Loop: Header=BB22_3 Depth=1
	v_xor_b32_e32 v8, v11, v15
	v_xor_b32_e32 v8, v8, v10
	v_mad_u64_u32 v[10:11], s[36:37], v8, s50, 0
	v_xor_b32_e32 v8, v11, v12
	v_xor_b32_e32 v9, v13, v8
	v_cmp_eq_u32_e32 vcc, 1, v32
	v_mov_b32_e32 v17, v6
	v_mov_b32_e32 v8, v33
	;; [unrolled: 1-line block ×3, first 2 shown]
	s_and_saveexec_b64 s[36:37], vcc
; %bb.13:                               ;   in Loop: Header=BB22_3 Depth=1
	v_mov_b32_e32 v17, v7
	v_mov_b32_e32 v8, v6
	;; [unrolled: 1-line block ×4, first 2 shown]
; %bb.14:                               ;   in Loop: Header=BB22_3 Depth=1
	s_or_b64 exec, exec, s[36:37]
	v_mov_b32_e32 v6, v9
	v_mov_b32_e32 v7, v11
.LBB22_15:                              ;   in Loop: Header=BB22_3 Depth=1
	s_or_b64 exec, exec, s[4:5]
	v_min_i32_e32 v9, 4, v1
	v_cmp_lt_i32_e32 vcc, 2, v9
	s_mov_b64 s[36:37], 0
	s_mov_b64 s[4:5], 0
                                        ; implicit-def: $sgpr38_sgpr39
                                        ; implicit-def: $sgpr40_sgpr41
                                        ; implicit-def: $sgpr42_sgpr43
	s_and_saveexec_b64 s[44:45], vcc
	s_xor_b64 s[44:45], exec, s[44:45]
	s_cbranch_execz .LBB22_25
; %bb.16:                               ;   in Loop: Header=BB22_3 Depth=1
	v_cmp_lt_i32_e32 vcc, 3, v9
	s_mov_b64 s[4:5], -1
                                        ; implicit-def: $sgpr38_sgpr39
                                        ; implicit-def: $sgpr46_sgpr47
	s_and_saveexec_b64 s[40:41], vcc
	s_cbranch_execz .LBB22_20
; %bb.17:                               ;   in Loop: Header=BB22_3 Depth=1
	s_waitcnt vmcnt(0)
	v_cmp_le_f32_e32 vcc, 0, v2
	v_cmp_ge_f32_e64 s[4:5], 1.0, v2
	s_and_b64 s[46:47], vcc, s[4:5]
	s_mov_b64 s[38:39], 0
	s_mov_b64 s[4:5], 0
	s_and_saveexec_b64 s[42:43], s[46:47]
	s_cbranch_execz .LBB22_19
; %bb.18:                               ;   in Loop: Header=BB22_3 Depth=1
	v_cvt_f32_u32_e32 v10, v17
	v_mov_b32_e32 v11, 0x2f800000
	v_add_u32_e32 v12, s57, v25
	s_mov_b64 s[4:5], exec
	v_fmac_f32_e32 v11, 0x2f800000, v10
	v_cmp_le_f32_e32 vcc, v11, v2
	v_cndmask_b32_e64 v10, 0, v12, s[2:3]
	v_cndmask_b32_e64 v2, 0, 1, vcc
	global_store_byte v10, v2, s[6:7]
.LBB22_19:                              ;   in Loop: Header=BB22_3 Depth=1
	s_or_b64 exec, exec, s[42:43]
	s_mov_b64 s[46:47], -1
	s_orn2_b64 s[4:5], s[4:5], exec
.LBB22_20:                              ;   in Loop: Header=BB22_3 Depth=1
	s_or_b64 exec, exec, s[40:41]
	s_mov_b64 s[2:3], 0
	s_mov_b64 s[42:43], s[38:39]
	s_and_saveexec_b64 s[40:41], s[4:5]
	s_cbranch_execz .LBB22_24
; %bb.21:                               ;   in Loop: Header=BB22_3 Depth=1
	s_waitcnt vmcnt(0)
	v_add_u32_e32 v2, s51, v28
	v_cmp_lt_i32_e32 vcc, 2, v1
	v_cndmask_b32_e32 v2, 0, v2, vcc
	v_lshlrev_b64 v[10:11], 2, v[2:3]
	v_mov_b32_e32 v2, s13
	v_add_co_u32_e64 v10, s[2:3], s12, v10
	v_addc_co_u32_e64 v11, s[2:3], v2, v11, s[2:3]
	global_load_dword v2, v[10:11], off
	s_waitcnt vmcnt(0)
	v_cmp_le_f32_e64 s[2:3], 0, v2
	v_cmp_ge_f32_e64 s[4:5], 1.0, v2
	s_and_b64 s[4:5], s[2:3], s[4:5]
	s_mov_b64 s[2:3], 0
	s_and_saveexec_b64 s[42:43], s[4:5]
	s_xor_b64 s[4:5], exec, s[42:43]
	s_cbranch_execz .LBB22_23
; %bb.22:                               ;   in Loop: Header=BB22_3 Depth=1
	v_cvt_f32_u32_e32 v8, v8
	v_mov_b32_e32 v10, 0x2f800000
	v_add_u32_e32 v11, s57, v24
	s_mov_b64 s[2:3], exec
	v_fmac_f32_e32 v10, 0x2f800000, v8
	v_cndmask_b32_e32 v8, 0, v11, vcc
	v_cmp_le_f32_e32 vcc, v10, v2
	v_cndmask_b32_e64 v2, 0, 1, vcc
	global_store_byte v8, v2, s[6:7]
.LBB22_23:                              ;   in Loop: Header=BB22_3 Depth=1
	s_or_b64 exec, exec, s[4:5]
	s_andn2_b64 s[42:43], s[38:39], exec
	s_or_b64 s[38:39], s[38:39], exec
	s_andn2_b64 s[46:47], s[46:47], exec
	s_and_b64 s[2:3], s[2:3], exec
.LBB22_24:                              ;   in Loop: Header=BB22_3 Depth=1
	s_or_b64 exec, exec, s[40:41]
	s_and_b64 s[42:43], s[42:43], exec
	s_and_b64 s[40:41], s[38:39], exec
	s_and_b64 s[38:39], s[46:47], exec
	s_and_b64 s[4:5], s[2:3], exec
.LBB22_25:                              ;   in Loop: Header=BB22_3 Depth=1
	s_andn2_saveexec_b64 s[2:3], s[44:45]
; %bb.26:                               ;   in Loop: Header=BB22_3 Depth=1
	v_cmp_lt_i32_e32 vcc, 1, v9
	s_andn2_b64 s[4:5], s[4:5], exec
	s_and_b64 s[44:45], vcc, exec
	s_mov_b64 s[36:37], exec
	s_andn2_b64 s[42:43], s[42:43], exec
	s_andn2_b64 s[40:41], s[40:41], exec
	;; [unrolled: 1-line block ×3, first 2 shown]
	s_or_b64 s[4:5], s[4:5], s[44:45]
; %bb.27:                               ;   in Loop: Header=BB22_3 Depth=1
	s_or_b64 exec, exec, s[2:3]
	s_mov_b64 s[44:45], 0
	s_mov_b64 s[2:3], 0
	s_mov_b64 s[46:47], s[42:43]
	s_and_saveexec_b64 s[48:49], s[4:5]
	s_cbranch_execnz .LBB22_30
; %bb.28:                               ;   in Loop: Header=BB22_3 Depth=1
	s_or_b64 exec, exec, s[48:49]
	s_and_saveexec_b64 s[4:5], s[36:37]
	s_cbranch_execnz .LBB22_33
.LBB22_29:                              ;   in Loop: Header=BB22_3 Depth=1
	s_or_b64 exec, exec, s[4:5]
	s_and_saveexec_b64 s[36:37], s[2:3]
	s_cbranch_execnz .LBB22_34
	s_branch .LBB22_37
.LBB22_30:                              ;   in Loop: Header=BB22_3 Depth=1
	s_waitcnt vmcnt(0)
	v_add_u32_e32 v2, s51, v27
	v_cmp_lt_i32_e32 vcc, 1, v1
	v_cndmask_b32_e32 v2, 0, v2, vcc
	v_lshlrev_b64 v[10:11], 2, v[2:3]
	v_mov_b32_e32 v2, s13
	v_add_co_u32_e64 v10, s[2:3], s12, v10
	v_addc_co_u32_e64 v11, s[2:3], v2, v11, s[2:3]
	global_load_dword v2, v[10:11], off
	s_waitcnt vmcnt(0)
	v_cmp_le_f32_e64 s[2:3], 0, v2
	v_cmp_ge_f32_e64 s[4:5], 1.0, v2
	s_and_b64 s[4:5], s[2:3], s[4:5]
	s_mov_b64 s[2:3], 0
	s_and_saveexec_b64 s[46:47], s[4:5]
	s_xor_b64 s[4:5], exec, s[46:47]
	s_cbranch_execz .LBB22_32
; %bb.31:                               ;   in Loop: Header=BB22_3 Depth=1
	v_cvt_f32_u32_e32 v7, v7
	v_mov_b32_e32 v8, 0x2f800000
	v_add_u32_e32 v10, s57, v23
	s_mov_b64 s[2:3], exec
	v_fmac_f32_e32 v8, 0x2f800000, v7
	v_cndmask_b32_e32 v7, 0, v10, vcc
	v_cmp_le_f32_e32 vcc, v8, v2
	v_cndmask_b32_e64 v2, 0, 1, vcc
	global_store_byte v7, v2, s[6:7]
.LBB22_32:                              ;   in Loop: Header=BB22_3 Depth=1
	s_or_b64 exec, exec, s[4:5]
	s_andn2_b64 s[46:47], s[42:43], exec
	s_or_b64 s[42:43], s[42:43], exec
	s_andn2_b64 s[40:41], s[40:41], exec
	s_andn2_b64 s[38:39], s[38:39], exec
	s_and_b64 s[2:3], s[2:3], exec
	s_andn2_b64 s[36:37], s[36:37], exec
	s_or_b64 exec, exec, s[48:49]
	s_and_saveexec_b64 s[4:5], s[36:37]
	s_cbranch_execz .LBB22_29
.LBB22_33:                              ;   in Loop: Header=BB22_3 Depth=1
	v_cmp_eq_u32_e32 vcc, 1, v9
	s_andn2_b64 s[2:3], s[2:3], exec
	s_and_b64 s[36:37], vcc, exec
	s_mov_b64 s[44:45], exec
	s_andn2_b64 s[46:47], s[46:47], exec
	s_andn2_b64 s[42:43], s[42:43], exec
	;; [unrolled: 1-line block ×4, first 2 shown]
	s_or_b64 s[2:3], s[2:3], s[36:37]
	s_or_b64 exec, exec, s[4:5]
	s_and_saveexec_b64 s[36:37], s[2:3]
	s_cbranch_execz .LBB22_37
.LBB22_34:                              ;   in Loop: Header=BB22_3 Depth=1
	s_waitcnt vmcnt(0)
	v_add_u32_e32 v2, s51, v30
	v_cmp_lt_i32_e32 vcc, 0, v1
	v_cndmask_b32_e32 v2, 0, v2, vcc
	v_lshlrev_b64 v[8:9], 2, v[2:3]
	v_mov_b32_e32 v2, s13
	v_add_co_u32_e64 v8, s[2:3], s12, v8
	v_addc_co_u32_e64 v9, s[2:3], v2, v9, s[2:3]
	global_load_dword v2, v[8:9], off
	s_waitcnt vmcnt(0)
	v_cmp_le_f32_e64 s[2:3], 0, v2
	v_cmp_ge_f32_e64 s[4:5], 1.0, v2
	s_and_b64 s[48:49], s[2:3], s[4:5]
	s_mov_b64 s[2:3], 0
	s_and_saveexec_b64 s[4:5], s[48:49]
	s_cbranch_execz .LBB22_36
; %bb.35:                               ;   in Loop: Header=BB22_3 Depth=1
	v_cvt_f32_u32_e32 v6, v6
	v_mov_b32_e32 v7, 0x2f800000
	v_add_u32_e32 v8, s57, v26
	s_mov_b64 s[2:3], exec
	v_fmac_f32_e32 v7, 0x2f800000, v6
	v_cndmask_b32_e32 v6, 0, v8, vcc
	v_cmp_le_f32_e32 vcc, v7, v2
	v_cndmask_b32_e64 v2, 0, 1, vcc
	global_store_byte v6, v2, s[6:7]
.LBB22_36:                              ;   in Loop: Header=BB22_3 Depth=1
	s_or_b64 exec, exec, s[4:5]
	s_andn2_b64 s[4:5], s[44:45], exec
	s_and_b64 s[2:3], s[2:3], exec
	s_or_b64 s[46:47], s[46:47], exec
	s_andn2_b64 s[42:43], s[42:43], exec
	s_andn2_b64 s[40:41], s[40:41], exec
	;; [unrolled: 1-line block ×3, first 2 shown]
	s_or_b64 s[44:45], s[4:5], s[2:3]
.LBB22_37:                              ;   in Loop: Header=BB22_3 Depth=1
	s_or_b64 exec, exec, s[36:37]
	s_andn2_b64 s[4:5], s[34:35], exec
	s_and_b64 s[34:35], s[46:47], exec
	s_or_b64 s[34:35], s[4:5], s[34:35]
	s_andn2_b64 s[4:5], s[30:31], exec
	s_and_b64 s[30:31], s[42:43], exec
	s_or_b64 s[30:31], s[4:5], s[30:31]
	;; [unrolled: 3-line block ×3, first 2 shown]
	s_andn2_b64 s[4:5], s[26:27], exec
	s_and_b64 s[26:27], s[38:39], exec
	s_mov_b64 s[2:3], -1
	s_or_b64 s[26:27], s[4:5], s[26:27]
	s_and_saveexec_b64 s[4:5], s[44:45]
	s_cbranch_execz .LBB22_2
; %bb.38:                               ;   in Loop: Header=BB22_3 Depth=1
	v_add_u32_e32 v22, s52, v22
	v_cmp_le_u32_e32 vcc, s33, v22
	v_subrev_u32_e32 v1, s52, v1
	s_add_i32 s57, s57, s53
	s_add_i32 s51, s51, s54
	s_andn2_b64 s[34:35], s[34:35], exec
	s_andn2_b64 s[30:31], s[30:31], exec
	;; [unrolled: 1-line block ×4, first 2 shown]
	s_orn2_b64 s[2:3], vcc, exec
	s_branch .LBB22_2
.LBB22_39:
	s_or_b64 exec, exec, s[18:19]
	s_xor_b64 s[6:7], s[24:25], -1
	s_xor_b64 s[8:9], s[22:23], -1
	s_xor_b64 s[0:1], s[20:21], -1
	s_mov_b64 s[2:3], 0
	s_and_saveexec_b64 s[4:5], s[0:1]
	s_xor_b64 s[0:1], exec, s[4:5]
	s_cbranch_execnz .LBB22_44
; %bb.40:
	s_andn2_saveexec_b64 s[0:1], s[0:1]
	s_cbranch_execnz .LBB22_52
.LBB22_41:
	s_or_b64 exec, exec, s[0:1]
	s_and_b64 exec, exec, s[2:3]
.LBB22_42:
	; divergent unreachable
.LBB22_43:
	s_endpgm
.LBB22_44:
	s_mov_b64 s[4:5], 0
	s_and_saveexec_b64 s[2:3], s[8:9]
	s_xor_b64 s[2:3], exec, s[2:3]
	s_cbranch_execz .LBB22_50
; %bb.45:
	s_and_saveexec_b64 s[8:9], s[6:7]
	s_xor_b64 s[6:7], exec, s[8:9]
	s_cbranch_execz .LBB22_48
; %bb.46:
	s_and_saveexec_b64 s[8:9], s[16:17]
	s_xor_b64 s[8:9], exec, s[8:9]
	s_cbranch_execnz .LBB22_55
.LBB22_47:
	s_or_b64 exec, exec, s[8:9]
	s_and_b64 s[4:5], s[4:5], exec
.LBB22_48:
	s_andn2_saveexec_b64 s[6:7], s[6:7]
	s_cbranch_execnz .LBB22_54
.LBB22_49:
	s_or_b64 exec, exec, s[6:7]
	s_and_b64 s[4:5], s[4:5], exec
.LBB22_50:
	s_andn2_saveexec_b64 s[2:3], s[2:3]
	s_cbranch_execnz .LBB22_53
.LBB22_51:
	s_or_b64 exec, exec, s[2:3]
	s_and_b64 s[2:3], s[4:5], exec
	s_andn2_saveexec_b64 s[0:1], s[0:1]
	s_cbranch_execz .LBB22_41
.LBB22_52:
	s_or_b64 s[2:3], s[2:3], exec
	s_trap 2
	s_or_b64 exec, exec, s[0:1]
	s_and_b64 exec, exec, s[2:3]
	s_cbranch_execnz .LBB22_42
	s_branch .LBB22_43
.LBB22_53:
	s_or_b64 s[4:5], s[4:5], exec
	s_trap 2
	s_branch .LBB22_51
.LBB22_54:
	s_trap 2
	s_or_b64 s[4:5], s[4:5], exec
	s_branch .LBB22_49
.LBB22_55:
	s_mov_b64 s[4:5], exec
	s_trap 2
	s_branch .LBB22_47
	.section	.rodata,"a",@progbits
	.p2align	6, 0x0
	.amdhsa_kernel _ZN2at4cuda12_GLOBAL__N_121kernelPointwiseApply2IZNS_6native9templates4cuda28bernoulli_tensor_cuda_kernelIafEEvRKNS_10TensorBaseES9_NS_15PhiloxCudaStateEEUliRaSB_SB_SB_RKfSD_SD_SD_E_aSC_jLi1ELi1ELi4ELi512ELi2EEEvNS0_6detail10TensorInfoIT0_T2_EENSG_IT1_SI_EESI_T_
		.amdhsa_group_segment_fixed_size 0
		.amdhsa_private_segment_fixed_size 0
		.amdhsa_kernarg_size 728
		.amdhsa_user_sgpr_count 6
		.amdhsa_user_sgpr_private_segment_buffer 1
		.amdhsa_user_sgpr_dispatch_ptr 0
		.amdhsa_user_sgpr_queue_ptr 0
		.amdhsa_user_sgpr_kernarg_segment_ptr 1
		.amdhsa_user_sgpr_dispatch_id 0
		.amdhsa_user_sgpr_flat_scratch_init 0
		.amdhsa_user_sgpr_kernarg_preload_length 0
		.amdhsa_user_sgpr_kernarg_preload_offset 0
		.amdhsa_user_sgpr_private_segment_size 0
		.amdhsa_uses_dynamic_stack 0
		.amdhsa_system_sgpr_private_segment_wavefront_offset 0
		.amdhsa_system_sgpr_workgroup_id_x 1
		.amdhsa_system_sgpr_workgroup_id_y 0
		.amdhsa_system_sgpr_workgroup_id_z 0
		.amdhsa_system_sgpr_workgroup_info 0
		.amdhsa_system_vgpr_workitem_id 0
		.amdhsa_next_free_vgpr 50
		.amdhsa_next_free_sgpr 58
		.amdhsa_accum_offset 52
		.amdhsa_reserve_vcc 1
		.amdhsa_reserve_flat_scratch 0
		.amdhsa_float_round_mode_32 0
		.amdhsa_float_round_mode_16_64 0
		.amdhsa_float_denorm_mode_32 3
		.amdhsa_float_denorm_mode_16_64 3
		.amdhsa_dx10_clamp 1
		.amdhsa_ieee_mode 1
		.amdhsa_fp16_overflow 0
		.amdhsa_tg_split 0
		.amdhsa_exception_fp_ieee_invalid_op 0
		.amdhsa_exception_fp_denorm_src 0
		.amdhsa_exception_fp_ieee_div_zero 0
		.amdhsa_exception_fp_ieee_overflow 0
		.amdhsa_exception_fp_ieee_underflow 0
		.amdhsa_exception_fp_ieee_inexact 0
		.amdhsa_exception_int_div_zero 0
	.end_amdhsa_kernel
	.section	.text._ZN2at4cuda12_GLOBAL__N_121kernelPointwiseApply2IZNS_6native9templates4cuda28bernoulli_tensor_cuda_kernelIafEEvRKNS_10TensorBaseES9_NS_15PhiloxCudaStateEEUliRaSB_SB_SB_RKfSD_SD_SD_E_aSC_jLi1ELi1ELi4ELi512ELi2EEEvNS0_6detail10TensorInfoIT0_T2_EENSG_IT1_SI_EESI_T_,"axG",@progbits,_ZN2at4cuda12_GLOBAL__N_121kernelPointwiseApply2IZNS_6native9templates4cuda28bernoulli_tensor_cuda_kernelIafEEvRKNS_10TensorBaseES9_NS_15PhiloxCudaStateEEUliRaSB_SB_SB_RKfSD_SD_SD_E_aSC_jLi1ELi1ELi4ELi512ELi2EEEvNS0_6detail10TensorInfoIT0_T2_EENSG_IT1_SI_EESI_T_,comdat
.Lfunc_end22:
	.size	_ZN2at4cuda12_GLOBAL__N_121kernelPointwiseApply2IZNS_6native9templates4cuda28bernoulli_tensor_cuda_kernelIafEEvRKNS_10TensorBaseES9_NS_15PhiloxCudaStateEEUliRaSB_SB_SB_RKfSD_SD_SD_E_aSC_jLi1ELi1ELi4ELi512ELi2EEEvNS0_6detail10TensorInfoIT0_T2_EENSG_IT1_SI_EESI_T_, .Lfunc_end22-_ZN2at4cuda12_GLOBAL__N_121kernelPointwiseApply2IZNS_6native9templates4cuda28bernoulli_tensor_cuda_kernelIafEEvRKNS_10TensorBaseES9_NS_15PhiloxCudaStateEEUliRaSB_SB_SB_RKfSD_SD_SD_E_aSC_jLi1ELi1ELi4ELi512ELi2EEEvNS0_6detail10TensorInfoIT0_T2_EENSG_IT1_SI_EESI_T_
                                        ; -- End function
	.section	.AMDGPU.csdata,"",@progbits
; Kernel info:
; codeLenInByte = 2604
; NumSgprs: 62
; NumVgprs: 50
; NumAgprs: 0
; TotalNumVgprs: 50
; ScratchSize: 0
; MemoryBound: 0
; FloatMode: 240
; IeeeMode: 1
; LDSByteSize: 0 bytes/workgroup (compile time only)
; SGPRBlocks: 7
; VGPRBlocks: 6
; NumSGPRsForWavesPerEU: 62
; NumVGPRsForWavesPerEU: 50
; AccumOffset: 52
; Occupancy: 8
; WaveLimiterHint : 1
; COMPUTE_PGM_RSRC2:SCRATCH_EN: 0
; COMPUTE_PGM_RSRC2:USER_SGPR: 6
; COMPUTE_PGM_RSRC2:TRAP_HANDLER: 0
; COMPUTE_PGM_RSRC2:TGID_X_EN: 1
; COMPUTE_PGM_RSRC2:TGID_Y_EN: 0
; COMPUTE_PGM_RSRC2:TGID_Z_EN: 0
; COMPUTE_PGM_RSRC2:TIDIG_COMP_CNT: 0
; COMPUTE_PGM_RSRC3_GFX90A:ACCUM_OFFSET: 12
; COMPUTE_PGM_RSRC3_GFX90A:TG_SPLIT: 0
	.section	.text._ZN2at4cuda12_GLOBAL__N_121kernelPointwiseApply2IZNS_6native9templates4cuda28bernoulli_tensor_cuda_kernelIafEEvRKNS_10TensorBaseES9_NS_15PhiloxCudaStateEEUliRaSB_SB_SB_RKfSD_SD_SD_E_aSC_jLi1ELi2ELi4ELi512ELi2EEEvNS0_6detail10TensorInfoIT0_T2_EENSG_IT1_SI_EESI_T_,"axG",@progbits,_ZN2at4cuda12_GLOBAL__N_121kernelPointwiseApply2IZNS_6native9templates4cuda28bernoulli_tensor_cuda_kernelIafEEvRKNS_10TensorBaseES9_NS_15PhiloxCudaStateEEUliRaSB_SB_SB_RKfSD_SD_SD_E_aSC_jLi1ELi2ELi4ELi512ELi2EEEvNS0_6detail10TensorInfoIT0_T2_EENSG_IT1_SI_EESI_T_,comdat
	.globl	_ZN2at4cuda12_GLOBAL__N_121kernelPointwiseApply2IZNS_6native9templates4cuda28bernoulli_tensor_cuda_kernelIafEEvRKNS_10TensorBaseES9_NS_15PhiloxCudaStateEEUliRaSB_SB_SB_RKfSD_SD_SD_E_aSC_jLi1ELi2ELi4ELi512ELi2EEEvNS0_6detail10TensorInfoIT0_T2_EENSG_IT1_SI_EESI_T_ ; -- Begin function _ZN2at4cuda12_GLOBAL__N_121kernelPointwiseApply2IZNS_6native9templates4cuda28bernoulli_tensor_cuda_kernelIafEEvRKNS_10TensorBaseES9_NS_15PhiloxCudaStateEEUliRaSB_SB_SB_RKfSD_SD_SD_E_aSC_jLi1ELi2ELi4ELi512ELi2EEEvNS0_6detail10TensorInfoIT0_T2_EENSG_IT1_SI_EESI_T_
	.p2align	8
	.type	_ZN2at4cuda12_GLOBAL__N_121kernelPointwiseApply2IZNS_6native9templates4cuda28bernoulli_tensor_cuda_kernelIafEEvRKNS_10TensorBaseES9_NS_15PhiloxCudaStateEEUliRaSB_SB_SB_RKfSD_SD_SD_E_aSC_jLi1ELi2ELi4ELi512ELi2EEEvNS0_6detail10TensorInfoIT0_T2_EENSG_IT1_SI_EESI_T_,@function
_ZN2at4cuda12_GLOBAL__N_121kernelPointwiseApply2IZNS_6native9templates4cuda28bernoulli_tensor_cuda_kernelIafEEvRKNS_10TensorBaseES9_NS_15PhiloxCudaStateEEUliRaSB_SB_SB_RKfSD_SD_SD_E_aSC_jLi1ELi2ELi4ELi512ELi2EEEvNS0_6detail10TensorInfoIT0_T2_EENSG_IT1_SI_EESI_T_: ; @_ZN2at4cuda12_GLOBAL__N_121kernelPointwiseApply2IZNS_6native9templates4cuda28bernoulli_tensor_cuda_kernelIafEEvRKNS_10TensorBaseES9_NS_15PhiloxCudaStateEEUliRaSB_SB_SB_RKfSD_SD_SD_E_aSC_jLi1ELi2ELi4ELi512ELi2EEEvNS0_6detail10TensorInfoIT0_T2_EENSG_IT1_SI_EESI_T_
; %bb.0:
	s_load_dword s2, s[4:5], 0x1e4
	s_load_dword s33, s[4:5], 0x1b0
	s_add_u32 s0, s4, 0x1d8
	s_addc_u32 s1, s5, 0
	s_waitcnt lgkmcnt(0)
	s_and_b32 s2, s2, 0xffff
	s_mul_i32 s6, s6, s2
	v_add_u32_e32 v1, s6, v0
	v_lshlrev_b32_e32 v0, 2, v1
	v_cmp_gt_u32_e32 vcc, s33, v0
	s_and_saveexec_b64 s[6:7], vcc
	s_cbranch_execz .LBB23_51
; %bb.1:
	s_load_dwordx2 s[12:13], s[4:5], 0x0
	s_load_dword s3, s[4:5], 0x6c
	s_load_dwordx2 s[14:15], s[4:5], 0xd8
	s_load_dword s56, s[4:5], 0xe4
	s_load_dword s6, s[0:1], 0x0
	s_load_dwordx2 s[16:17], s[4:5], 0x1c8
	s_load_dword s7, s[4:5], 0x1d0
	s_load_dwordx2 s[18:19], s[4:5], 0x144
	s_load_dwordx4 s[8:11], s[4:5], 0x1b8
	s_waitcnt lgkmcnt(0)
	v_cvt_f32_u32_e32 v2, s56
	s_mov_b32 s57, 0xcd9e8d57
	s_bitcmp1_b32 s7, 0
	s_cselect_b64 s[22:23], -1, 0
	v_rcp_iflag_f32_e32 v4, v2
	v_mad_u64_u32 v[2:3], s[0:1], v1, s57, 0
	s_sub_i32 s60, 0, s56
	v_mul_f32_e32 v4, 0x4f7ffffe, v4
	v_cvt_u32_f32_e32 v4, v4
	v_mov_b32_e32 v6, v3
	s_mul_i32 s6, s6, s2
	s_lshl_b32 s59, s6, 2
	v_mul_lo_u32 v3, s60, v4
	v_mul_hi_u32 v3, v4, v3
	v_add_u32_e32 v3, v4, v3
	v_add_u32_e32 v4, 2, v0
	v_mul_lo_u32 v32, v0, s3
	v_mul_lo_u32 v34, s3, v4
	v_add_u32_e32 v4, 3, v0
	s_mov_b32 s58, 0
	v_mov_b32_e32 v5, 0
	v_sub_u32_e32 v7, s33, v0
	v_add_u32_e32 v33, s3, v32
	s_mul_i32 s61, s59, s3
	v_mul_lo_u32 v35, s3, v4
	s_mov_b64 s[24:25], 0
	s_mov_b32 s62, 0xd2511f53
	s_mov_b32 s63, 0xf1bbcdc8
                                        ; implicit-def: $sgpr26_sgpr27
                                        ; implicit-def: $sgpr28_sgpr29
                                        ; implicit-def: $sgpr30_sgpr31
                                        ; implicit-def: $sgpr20_sgpr21
                                        ; implicit-def: $sgpr34_sgpr35
                                        ; implicit-def: $sgpr36_sgpr37
                                        ; implicit-def: $sgpr38_sgpr39
                                        ; implicit-def: $sgpr40_sgpr41
	s_branch .LBB23_3
.LBB23_2:                               ;   in Loop: Header=BB23_3 Depth=1
	s_or_b64 exec, exec, s[2:3]
	s_and_b64 s[0:1], exec, s[0:1]
	s_or_b64 s[24:25], s[0:1], s[24:25]
	s_andn2_b64 s[0:1], s[20:21], exec
	s_and_b64 s[2:3], s[40:41], exec
	s_or_b64 s[20:21], s[0:1], s[2:3]
	s_andn2_b64 s[0:1], s[30:31], exec
	s_and_b64 s[2:3], s[38:39], exec
	;; [unrolled: 3-line block ×4, first 2 shown]
	s_or_b64 s[26:27], s[0:1], s[2:3]
	s_andn2_b64 exec, exec, s[24:25]
	s_cbranch_execz .LBB23_47
.LBB23_3:                               ; =>This Inner Loop Header: Depth=1
	v_pk_mov_b32 v[10:11], 0, 0
	v_cmp_lt_i32_e64 s[0:1], 0, v7
	v_pk_mov_b32 v[8:9], v[10:11], v[10:11] op_sel:[0,1]
	s_and_saveexec_b64 s[2:3], s[0:1]
	s_cbranch_execz .LBB23_5
; %bb.4:                                ;   in Loop: Header=BB23_3 Depth=1
	s_waitcnt vmcnt(0)
	v_mul_hi_u32 v4, v3, v0
	v_not_b32_e32 v12, v4
	v_mad_u64_u32 v[8:9], s[4:5], s60, v4, v[0:1]
	v_add_u32_e32 v9, 1, v4
	v_cmp_le_u32_e32 vcc, s56, v8
	v_mad_u64_u32 v[12:13], s[4:5], s56, v12, v[0:1]
	v_cndmask_b32_e32 v4, v4, v9, vcc
	v_cndmask_b32_e32 v8, v8, v12, vcc
	v_add_u32_e32 v9, 1, v4
	v_cmp_le_u32_e32 vcc, s56, v8
	v_cndmask_b32_e32 v12, v4, v9, vcc
	v_mad_u64_u32 v[8:9], s[4:5], s60, v12, v[0:1]
	v_mul_lo_u32 v4, v8, s19
	v_mad_u64_u32 v[8:9], s[4:5], v12, s18, v[4:5]
	v_mov_b32_e32 v9, v5
.LBB23_5:                               ;   in Loop: Header=BB23_3 Depth=1
	s_or_b64 exec, exec, s[2:3]
	v_cmp_lt_i32_e64 s[2:3], 1, v7
	s_and_saveexec_b64 s[4:5], s[2:3]
	s_cbranch_execz .LBB23_7
; %bb.6:                                ;   in Loop: Header=BB23_3 Depth=1
	s_waitcnt vmcnt(0)
	v_add_u32_e32 v4, 1, v0
	v_mul_hi_u32 v10, v4, v3
	v_mul_lo_u32 v11, v10, s56
	v_sub_u32_e32 v11, v4, v11
	v_add_u32_e32 v12, 1, v10
	v_cmp_le_u32_e32 vcc, s56, v11
	v_cndmask_b32_e32 v10, v10, v12, vcc
	v_subrev_u32_e32 v12, s56, v11
	v_cndmask_b32_e32 v11, v11, v12, vcc
	v_add_u32_e32 v12, 1, v10
	v_cmp_le_u32_e32 vcc, s56, v11
	v_cndmask_b32_e32 v10, v10, v12, vcc
	v_mul_lo_u32 v11, v10, s56
	v_sub_u32_e32 v4, v4, v11
	v_mul_lo_u32 v4, v4, s19
	v_mad_u64_u32 v[10:11], s[6:7], v10, s18, v[4:5]
	v_mov_b32_e32 v11, v5
.LBB23_7:                               ;   in Loop: Header=BB23_3 Depth=1
	s_or_b64 exec, exec, s[4:5]
	v_pk_mov_b32 v[16:17], 0, 0
	v_cmp_lt_i32_e64 s[4:5], 2, v7
	v_pk_mov_b32 v[14:15], v[16:17], v[16:17] op_sel:[0,1]
	s_and_saveexec_b64 s[6:7], s[4:5]
	s_cbranch_execz .LBB23_9
; %bb.8:                                ;   in Loop: Header=BB23_3 Depth=1
	s_waitcnt vmcnt(0)
	v_add_u32_e32 v4, 2, v0
	v_mul_hi_u32 v12, v4, v3
	v_mul_lo_u32 v13, v12, s56
	v_sub_u32_e32 v13, v4, v13
	v_add_u32_e32 v14, 1, v12
	v_cmp_le_u32_e32 vcc, s56, v13
	v_cndmask_b32_e32 v12, v12, v14, vcc
	v_subrev_u32_e32 v14, s56, v13
	v_cndmask_b32_e32 v13, v13, v14, vcc
	v_add_u32_e32 v14, 1, v12
	v_cmp_le_u32_e32 vcc, s56, v13
	v_cndmask_b32_e32 v12, v12, v14, vcc
	v_mul_lo_u32 v13, v12, s56
	v_sub_u32_e32 v4, v4, v13
	v_mul_lo_u32 v4, v4, s19
	v_mad_u64_u32 v[14:15], s[42:43], v12, s18, v[4:5]
	v_mov_b32_e32 v15, v5
.LBB23_9:                               ;   in Loop: Header=BB23_3 Depth=1
	s_or_b64 exec, exec, s[6:7]
	v_cmp_lt_i32_e32 vcc, 3, v7
	v_pk_mov_b32 v[12:13], v[16:17], v[16:17] op_sel:[0,1]
	s_and_saveexec_b64 s[6:7], vcc
	s_cbranch_execz .LBB23_11
; %bb.10:                               ;   in Loop: Header=BB23_3 Depth=1
	v_add_u32_e32 v12, 3, v0
	v_mul_hi_u32 v13, v12, v3
	v_mul_lo_u32 v16, v13, s56
	v_sub_u32_e32 v16, v12, v16
	v_add_u32_e32 v17, 1, v13
	v_cmp_le_u32_e32 vcc, s56, v16
	v_cndmask_b32_e32 v13, v13, v17, vcc
	v_subrev_u32_e32 v17, s56, v16
	v_cndmask_b32_e32 v16, v16, v17, vcc
	v_add_u32_e32 v17, 1, v13
	v_cmp_le_u32_e32 vcc, s56, v16
	v_cndmask_b32_e32 v13, v13, v17, vcc
	v_mul_lo_u32 v16, v13, s56
	v_sub_u32_e32 v12, v12, v16
	v_mul_lo_u32 v12, v12, s19
	s_waitcnt vmcnt(0)
	v_add_u32_e32 v4, s58, v35
	v_mad_u64_u32 v[12:13], s[42:43], v13, s18, v[12:13]
	v_mov_b32_e32 v13, v5
	v_pk_mov_b32 v[16:17], v[4:5], v[4:5] op_sel:[0,1]
.LBB23_11:                              ;   in Loop: Header=BB23_3 Depth=1
	s_or_b64 exec, exec, s[6:7]
	v_lshlrev_b64 v[12:13], 2, v[12:13]
	s_waitcnt vmcnt(0)
	v_mov_b32_e32 v4, s15
	v_add_co_u32_e32 v12, vcc, s14, v12
	v_addc_co_u32_e32 v13, vcc, v4, v13, vcc
	global_load_dword v4, v[12:13], off
	s_andn2_b64 vcc, exec, s[22:23]
	v_pk_mov_b32 v[12:13], s[10:11], s[10:11] op_sel:[0,1]
	v_pk_mov_b32 v[18:19], s[8:9], s[8:9] op_sel:[0,1]
	s_cbranch_vccnz .LBB23_13
; %bb.12:                               ;   in Loop: Header=BB23_3 Depth=1
	v_pk_mov_b32 v[12:13], s[10:11], s[10:11] op_sel:[0,1]
	flat_load_dwordx2 v[12:13], v[12:13]
	v_pk_mov_b32 v[18:19], s[8:9], s[8:9] op_sel:[0,1]
	flat_load_dwordx2 v[18:19], v[18:19]
	v_mov_b32_e32 v20, s17
	s_waitcnt vmcnt(0) lgkmcnt(0)
	v_add_co_u32_e32 v12, vcc, s16, v12
	v_addc_co_u32_e32 v13, vcc, v13, v20, vcc
.LBB23_13:                              ;   in Loop: Header=BB23_3 Depth=1
	v_alignbit_b32 v28, v13, v12, 2
	v_lshrrev_b32_e32 v29, 2, v13
	v_xor_b32_e32 v20, v6, v18
	v_and_b32_e32 v36, 3, v12
	v_mad_u64_u32 v[12:13], s[6:7], v28, s62, 0
	v_xor_b32_e32 v20, v20, v29
	v_xor_b32_e32 v13, v13, v19
	v_add_u32_e32 v41, 0xbb67ae85, v19
	v_mad_u64_u32 v[20:21], s[6:7], v20, s62, 0
	v_mad_u64_u32 v[22:23], s[6:7], v13, s57, 0
	v_xor_b32_e32 v21, v41, v21
	v_add_u32_e32 v40, 0x9e3779b9, v18
	v_xor_b32_e32 v13, v2, v23
	v_xor_b32_e32 v21, v21, v12
	v_xor_b32_e32 v13, v13, v40
	v_add_u32_e32 v42, 0x3c6ef372, v18
	v_mad_u64_u32 v[24:25], s[6:7], v21, s57, 0
	v_add_u32_e32 v43, 0x76cf5d0a, v19
	v_mad_u64_u32 v[12:13], s[6:7], v13, s62, 0
	v_xor_b32_e32 v21, v42, v25
	v_xor_b32_e32 v21, v21, v22
	v_xor_b32_e32 v13, v43, v13
	v_xor_b32_e32 v13, v13, v20
	v_add_u32_e32 v45, 0x32370b8f, v19
	v_mad_u64_u32 v[20:21], s[6:7], v21, s62, 0
	v_add_u32_e32 v44, 0xdaa66d2b, v18
	v_mad_u64_u32 v[22:23], s[6:7], v13, s57, 0
	v_xor_b32_e32 v21, v45, v21
	;; [unrolled: 8-line block ×5, first 2 shown]
	v_xor_b32_e32 v21, v21, v22
	v_xor_b32_e32 v13, v51, v13
	;; [unrolled: 1-line block ×3, first 2 shown]
	v_add_u32_e32 v53, 0x1fd5c5a3, v19
	v_mad_u64_u32 v[20:21], s[6:7], v21, s62, 0
	v_xor_b32_e32 v21, v53, v21
	v_xor_b32_e32 v12, v21, v12
	v_add_u32_e32 v52, 0x5384540f, v18
	v_mad_u64_u32 v[26:27], s[6:7], v13, s57, 0
	v_add_co_u32_e32 v38, vcc, s63, v18
	v_mad_u64_u32 v[22:23], s[6:7], v12, s57, 0
	v_xor_b32_e32 v13, v52, v27
	v_xor_b32_e32 v12, v38, v23
	v_xor_b32_e32 v13, v13, v24
	v_xor_b32_e32 v12, v12, v26
	v_mad_u64_u32 v[24:25], s[6:7], v13, s62, 0
	v_mad_u64_u32 v[12:13], s[6:7], v12, s62, 0
	v_add_u32_e32 v39, 0x96a522ad, v19
	v_xor_b32_e32 v13, v13, v24
	v_xor_b32_e32 v37, v39, v13
	v_add_co_u32_e32 v13, vcc, 1, v28
	v_cndmask_b32_e64 v24, 0, 1, vcc
	v_addc_co_u32_e32 v30, vcc, 0, v29, vcc
	v_cmp_eq_u32_e32 vcc, 0, v30
	v_cndmask_b32_e32 v24, 0, v24, vcc
	v_add_u32_e32 v28, v24, v1
	v_cmp_eq_u32_e32 vcc, 0, v28
	v_mad_u64_u32 v[26:27], s[6:7], v13, s62, 0
	v_mad_u64_u32 v[28:29], s[6:7], v28, s57, 0
	v_add_u32_e32 v23, 0x8ff34781, v18
	v_cndmask_b32_e32 v24, 0, v24, vcc
	v_xor_b32_e32 v13, v29, v18
	v_xor_b32_e32 v18, v27, v19
	;; [unrolled: 1-line block ×4, first 2 shown]
	v_mad_u64_u32 v[30:31], s[6:7], v24, s57, 0
	v_add_u32_e32 v21, 0xdb3d7428, v19
	v_mad_u64_u32 v[18:19], s[6:7], v13, s62, 0
	v_xor_b32_e32 v13, v40, v31
	v_xor_b32_e32 v13, v13, v28
	v_xor_b32_e32 v19, v41, v19
	v_xor_b32_e32 v19, v19, v26
	v_mad_u64_u32 v[26:27], s[6:7], v13, s62, 0
	v_mad_u64_u32 v[28:29], s[6:7], v19, s57, 0
	v_xor_b32_e32 v19, v43, v27
	v_xor_b32_e32 v13, v42, v29
	v_xor_b32_e32 v24, v19, v18
	v_xor_b32_e32 v13, v13, v30
	v_mad_u64_u32 v[30:31], s[6:7], v24, s57, 0
	;; [unrolled: 6-line block ×7, first 2 shown]
	v_xor_b32_e32 v13, v21, v29
	v_xor_b32_e32 v13, v13, v18
	v_mad_u64_u32 v[30:31], s[6:7], v19, s57, 0
	v_mad_u64_u32 v[18:19], s[6:7], v13, s57, 0
	v_xor_b32_e32 v13, v19, v30
	v_xor_b32_e32 v13, v23, v13
	v_cmp_lt_i32_e32 vcc, 1, v36
                                        ; implicit-def: $vgpr27
	s_and_saveexec_b64 s[6:7], vcc
	s_xor_b64 s[6:7], exec, s[6:7]
	s_cbranch_execz .LBB23_19
; %bb.14:                               ;   in Loop: Header=BB23_3 Depth=1
	v_cmp_lt_i32_e32 vcc, 2, v36
                                        ; implicit-def: $vgpr27
	s_and_saveexec_b64 s[42:43], vcc
	s_xor_b64 s[42:43], exec, s[42:43]
; %bb.15:                               ;   in Loop: Header=BB23_3 Depth=1
	v_xor_b32_e32 v19, v38, v31
	v_xor_b32_e32 v19, v19, v26
	v_mul_hi_u32 v19, v19, s62
	v_xor_b32_e32 v19, v19, v28
	v_xor_b32_e32 v27, v39, v19
                                        ; implicit-def: $vgpr37
; %bb.16:                               ;   in Loop: Header=BB23_3 Depth=1
	s_andn2_saveexec_b64 s[42:43], s[42:43]
; %bb.17:                               ;   in Loop: Header=BB23_3 Depth=1
	v_mov_b32_e32 v27, v18
	v_mov_b32_e32 v18, v13
	;; [unrolled: 1-line block ×4, first 2 shown]
; %bb.18:                               ;   in Loop: Header=BB23_3 Depth=1
	s_or_b64 exec, exec, s[42:43]
                                        ; implicit-def: $vgpr20_vgpr21
                                        ; implicit-def: $vgpr22_vgpr23
                                        ; implicit-def: $vgpr36
                                        ; implicit-def: $vgpr37
                                        ; implicit-def: $vgpr24_vgpr25
                                        ; implicit-def: $vgpr21
                                        ; implicit-def: $vgpr23
.LBB23_19:                              ;   in Loop: Header=BB23_3 Depth=1
	s_andn2_saveexec_b64 s[6:7], s[6:7]
	s_cbranch_execz .LBB23_23
; %bb.20:                               ;   in Loop: Header=BB23_3 Depth=1
	v_xor_b32_e32 v18, v21, v25
	v_xor_b32_e32 v18, v18, v20
	v_mad_u64_u32 v[20:21], s[42:43], v18, s57, 0
	v_xor_b32_e32 v18, v21, v22
	v_xor_b32_e32 v19, v23, v18
	v_cmp_eq_u32_e32 vcc, 1, v36
	v_mov_b32_e32 v27, v12
	v_mov_b32_e32 v18, v37
	;; [unrolled: 1-line block ×3, first 2 shown]
	s_and_saveexec_b64 s[42:43], vcc
; %bb.21:                               ;   in Loop: Header=BB23_3 Depth=1
	v_mov_b32_e32 v27, v13
	v_mov_b32_e32 v18, v12
	;; [unrolled: 1-line block ×4, first 2 shown]
; %bb.22:                               ;   in Loop: Header=BB23_3 Depth=1
	s_or_b64 exec, exec, s[42:43]
	v_mov_b32_e32 v12, v19
	v_mov_b32_e32 v13, v21
.LBB23_23:                              ;   in Loop: Header=BB23_3 Depth=1
	s_or_b64 exec, exec, s[6:7]
	v_min_i32_e32 v19, 4, v7
	v_cmp_lt_i32_e32 vcc, 2, v19
	s_mov_b64 s[42:43], 0
	s_mov_b64 s[52:53], 0
                                        ; implicit-def: $sgpr6_sgpr7
                                        ; implicit-def: $sgpr44_sgpr45
                                        ; implicit-def: $sgpr46_sgpr47
	s_and_saveexec_b64 s[48:49], vcc
	s_xor_b64 s[48:49], exec, s[48:49]
	s_cbranch_execz .LBB23_33
; %bb.24:                               ;   in Loop: Header=BB23_3 Depth=1
	v_cmp_lt_i32_e32 vcc, 3, v19
	s_mov_b64 s[6:7], -1
                                        ; implicit-def: $sgpr44_sgpr45
                                        ; implicit-def: $sgpr50_sgpr51
	s_and_saveexec_b64 s[46:47], vcc
	s_cbranch_execz .LBB23_28
; %bb.25:                               ;   in Loop: Header=BB23_3 Depth=1
	s_waitcnt vmcnt(0)
	v_cmp_le_f32_e32 vcc, 0, v4
	v_cmp_ge_f32_e64 s[6:7], 1.0, v4
	s_and_b64 s[52:53], vcc, s[6:7]
	s_mov_b64 s[44:45], 0
	s_mov_b64 s[6:7], 0
	s_and_saveexec_b64 s[50:51], s[52:53]
	s_cbranch_execz .LBB23_27
; %bb.26:                               ;   in Loop: Header=BB23_3 Depth=1
	v_cvt_f32_u32_e32 v20, v27
	v_mov_b32_e32 v21, 0x2f800000
	v_mov_b32_e32 v22, s13
	v_add_co_u32_e32 v16, vcc, s12, v16
	v_fmac_f32_e32 v21, 0x2f800000, v20
	v_addc_co_u32_e32 v17, vcc, v22, v17, vcc
	v_cmp_le_f32_e32 vcc, v21, v4
	s_mov_b64 s[6:7], exec
	v_cndmask_b32_e64 v4, 0, 1, vcc
	global_store_byte v[16:17], v4, off
.LBB23_27:                              ;   in Loop: Header=BB23_3 Depth=1
	s_or_b64 exec, exec, s[50:51]
	s_mov_b64 s[50:51], -1
	s_orn2_b64 s[6:7], s[6:7], exec
.LBB23_28:                              ;   in Loop: Header=BB23_3 Depth=1
	s_or_b64 exec, exec, s[46:47]
	s_mov_b64 s[52:53], 0
	s_mov_b64 s[54:55], s[44:45]
	s_and_saveexec_b64 s[46:47], s[6:7]
	s_cbranch_execz .LBB23_32
; %bb.29:                               ;   in Loop: Header=BB23_3 Depth=1
	v_lshlrev_b64 v[14:15], 2, v[14:15]
	s_waitcnt vmcnt(0)
	v_mov_b32_e32 v4, s15
	v_add_co_u32_e32 v14, vcc, s14, v14
	v_addc_co_u32_e32 v15, vcc, v4, v15, vcc
	global_load_dword v4, v[14:15], off
	s_waitcnt vmcnt(0)
	v_cmp_le_f32_e32 vcc, 0, v4
	v_cmp_ge_f32_e64 s[6:7], 1.0, v4
	s_and_b64 s[52:53], vcc, s[6:7]
	s_mov_b64 s[6:7], 0
	s_and_saveexec_b64 s[54:55], s[52:53]
	s_xor_b64 s[52:53], exec, s[54:55]
	s_cbranch_execz .LBB23_31
; %bb.30:                               ;   in Loop: Header=BB23_3 Depth=1
	v_cvt_f32_u32_e32 v14, v18
	v_mov_b32_e32 v15, 0x2f800000
	v_add_u32_e32 v16, s58, v34
	s_mov_b64 s[6:7], exec
	v_fmac_f32_e32 v15, 0x2f800000, v14
	v_cmp_le_f32_e32 vcc, v15, v4
	v_cndmask_b32_e64 v14, 0, v16, s[4:5]
	v_cndmask_b32_e64 v4, 0, 1, vcc
	global_store_byte v14, v4, s[12:13]
.LBB23_31:                              ;   in Loop: Header=BB23_3 Depth=1
	s_or_b64 exec, exec, s[52:53]
	s_andn2_b64 s[54:55], s[44:45], exec
	s_or_b64 s[44:45], s[44:45], exec
	s_andn2_b64 s[50:51], s[50:51], exec
	s_and_b64 s[52:53], s[6:7], exec
.LBB23_32:                              ;   in Loop: Header=BB23_3 Depth=1
	s_or_b64 exec, exec, s[46:47]
	s_and_b64 s[46:47], s[54:55], exec
	s_and_b64 s[44:45], s[44:45], exec
	;; [unrolled: 1-line block ×4, first 2 shown]
.LBB23_33:                              ;   in Loop: Header=BB23_3 Depth=1
	s_andn2_saveexec_b64 s[4:5], s[48:49]
; %bb.34:                               ;   in Loop: Header=BB23_3 Depth=1
	v_cmp_lt_i32_e32 vcc, 1, v19
	s_andn2_b64 s[48:49], s[52:53], exec
	s_and_b64 s[50:51], vcc, exec
	s_mov_b64 s[42:43], exec
	s_andn2_b64 s[46:47], s[46:47], exec
	s_andn2_b64 s[44:45], s[44:45], exec
	;; [unrolled: 1-line block ×3, first 2 shown]
	s_or_b64 s[52:53], s[48:49], s[50:51]
; %bb.35:                               ;   in Loop: Header=BB23_3 Depth=1
	s_or_b64 exec, exec, s[4:5]
	s_mov_b64 s[48:49], 0
	s_mov_b64 s[50:51], 0
	;; [unrolled: 1-line block ×3, first 2 shown]
	s_and_saveexec_b64 s[54:55], s[52:53]
	s_cbranch_execnz .LBB23_38
; %bb.36:                               ;   in Loop: Header=BB23_3 Depth=1
	s_or_b64 exec, exec, s[54:55]
	s_and_saveexec_b64 s[2:3], s[42:43]
	s_cbranch_execnz .LBB23_41
.LBB23_37:                              ;   in Loop: Header=BB23_3 Depth=1
	s_or_b64 exec, exec, s[2:3]
	s_and_saveexec_b64 s[42:43], s[50:51]
	s_cbranch_execnz .LBB23_42
	s_branch .LBB23_45
.LBB23_38:                              ;   in Loop: Header=BB23_3 Depth=1
	v_lshlrev_b64 v[10:11], 2, v[10:11]
	s_waitcnt vmcnt(0)
	v_mov_b32_e32 v4, s15
	v_add_co_u32_e32 v10, vcc, s14, v10
	v_addc_co_u32_e32 v11, vcc, v4, v11, vcc
	global_load_dword v4, v[10:11], off
	s_waitcnt vmcnt(0)
	v_cmp_le_f32_e32 vcc, 0, v4
	v_cmp_ge_f32_e64 s[4:5], 1.0, v4
	s_and_b64 s[4:5], vcc, s[4:5]
	s_and_saveexec_b64 s[52:53], s[4:5]
	s_xor_b64 s[4:5], exec, s[52:53]
	s_cbranch_execz .LBB23_40
; %bb.39:                               ;   in Loop: Header=BB23_3 Depth=1
	v_cvt_f32_u32_e32 v10, v13
	v_mov_b32_e32 v11, 0x2f800000
	v_add_u32_e32 v13, s58, v33
	s_mov_b64 s[50:51], exec
	v_fmac_f32_e32 v11, 0x2f800000, v10
	v_cmp_le_f32_e32 vcc, v11, v4
	v_cndmask_b32_e64 v10, 0, v13, s[2:3]
	v_cndmask_b32_e64 v4, 0, 1, vcc
	global_store_byte v10, v4, s[12:13]
.LBB23_40:                              ;   in Loop: Header=BB23_3 Depth=1
	s_or_b64 exec, exec, s[4:5]
	s_andn2_b64 s[4:5], s[46:47], exec
	s_or_b64 s[46:47], s[46:47], exec
	s_andn2_b64 s[44:45], s[44:45], exec
	s_andn2_b64 s[6:7], s[6:7], exec
	s_and_b64 s[50:51], s[50:51], exec
	s_andn2_b64 s[42:43], s[42:43], exec
	s_or_b64 exec, exec, s[54:55]
	s_and_saveexec_b64 s[2:3], s[42:43]
	s_cbranch_execz .LBB23_37
.LBB23_41:                              ;   in Loop: Header=BB23_3 Depth=1
	v_cmp_eq_u32_e32 vcc, 1, v19
	s_andn2_b64 s[42:43], s[50:51], exec
	s_and_b64 s[50:51], vcc, exec
	s_mov_b64 s[48:49], exec
	s_andn2_b64 s[4:5], s[4:5], exec
	s_andn2_b64 s[46:47], s[46:47], exec
	;; [unrolled: 1-line block ×4, first 2 shown]
	s_or_b64 s[50:51], s[42:43], s[50:51]
	s_or_b64 exec, exec, s[2:3]
	s_and_saveexec_b64 s[42:43], s[50:51]
	s_cbranch_execz .LBB23_45
.LBB23_42:                              ;   in Loop: Header=BB23_3 Depth=1
	v_lshlrev_b64 v[8:9], 2, v[8:9]
	s_waitcnt vmcnt(0)
	v_mov_b32_e32 v4, s15
	v_add_co_u32_e32 v8, vcc, s14, v8
	v_addc_co_u32_e32 v9, vcc, v4, v9, vcc
	global_load_dword v4, v[8:9], off
	s_waitcnt vmcnt(0)
	v_cmp_le_f32_e32 vcc, 0, v4
	v_cmp_ge_f32_e64 s[2:3], 1.0, v4
	s_and_b64 s[52:53], vcc, s[2:3]
	s_mov_b64 s[2:3], 0
	s_and_saveexec_b64 s[50:51], s[52:53]
	s_cbranch_execz .LBB23_44
; %bb.43:                               ;   in Loop: Header=BB23_3 Depth=1
	v_cvt_f32_u32_e32 v8, v12
	v_mov_b32_e32 v9, 0x2f800000
	v_add_u32_e32 v10, s58, v32
	s_mov_b64 s[2:3], exec
	v_fmac_f32_e32 v9, 0x2f800000, v8
	v_cmp_le_f32_e32 vcc, v9, v4
	v_cndmask_b32_e64 v8, 0, v10, s[0:1]
	v_cndmask_b32_e64 v4, 0, 1, vcc
	global_store_byte v8, v4, s[12:13]
.LBB23_44:                              ;   in Loop: Header=BB23_3 Depth=1
	s_or_b64 exec, exec, s[50:51]
	s_andn2_b64 s[0:1], s[48:49], exec
	s_and_b64 s[2:3], s[2:3], exec
	s_or_b64 s[4:5], s[4:5], exec
	s_andn2_b64 s[46:47], s[46:47], exec
	s_andn2_b64 s[44:45], s[44:45], exec
	;; [unrolled: 1-line block ×3, first 2 shown]
	s_or_b64 s[48:49], s[0:1], s[2:3]
.LBB23_45:                              ;   in Loop: Header=BB23_3 Depth=1
	s_or_b64 exec, exec, s[42:43]
	s_andn2_b64 s[2:3], s[40:41], exec
	s_and_b64 s[4:5], s[4:5], exec
	s_or_b64 s[40:41], s[2:3], s[4:5]
	s_andn2_b64 s[2:3], s[38:39], exec
	s_and_b64 s[4:5], s[46:47], exec
	s_or_b64 s[38:39], s[2:3], s[4:5]
	;; [unrolled: 3-line block ×3, first 2 shown]
	s_andn2_b64 s[2:3], s[34:35], exec
	s_and_b64 s[4:5], s[6:7], exec
	s_mov_b64 s[0:1], -1
	s_or_b64 s[34:35], s[2:3], s[4:5]
	s_and_saveexec_b64 s[2:3], s[48:49]
	s_cbranch_execz .LBB23_2
; %bb.46:                               ;   in Loop: Header=BB23_3 Depth=1
	v_add_u32_e32 v0, s59, v0
	v_cmp_le_u32_e32 vcc, s33, v0
	v_subrev_u32_e32 v7, s59, v7
	s_add_i32 s58, s58, s61
	s_andn2_b64 s[40:41], s[40:41], exec
	s_andn2_b64 s[38:39], s[38:39], exec
	;; [unrolled: 1-line block ×4, first 2 shown]
	s_orn2_b64 s[0:1], vcc, exec
	s_branch .LBB23_2
.LBB23_47:
	s_or_b64 exec, exec, s[24:25]
	s_xor_b64 s[6:7], s[30:31], -1
	s_xor_b64 s[8:9], s[28:29], -1
	s_xor_b64 s[0:1], s[26:27], -1
	s_mov_b64 s[2:3], 0
	s_and_saveexec_b64 s[4:5], s[0:1]
	s_xor_b64 s[0:1], exec, s[4:5]
	s_cbranch_execnz .LBB23_52
; %bb.48:
	s_andn2_saveexec_b64 s[0:1], s[0:1]
	s_cbranch_execnz .LBB23_60
.LBB23_49:
	s_or_b64 exec, exec, s[0:1]
	s_and_b64 exec, exec, s[2:3]
.LBB23_50:
	; divergent unreachable
.LBB23_51:
	s_endpgm
.LBB23_52:
	s_mov_b64 s[4:5], 0
	s_and_saveexec_b64 s[2:3], s[8:9]
	s_xor_b64 s[2:3], exec, s[2:3]
	s_cbranch_execz .LBB23_58
; %bb.53:
	s_and_saveexec_b64 s[8:9], s[6:7]
	s_xor_b64 s[6:7], exec, s[8:9]
	s_cbranch_execz .LBB23_56
; %bb.54:
	s_and_saveexec_b64 s[8:9], s[20:21]
	s_xor_b64 s[8:9], exec, s[8:9]
	s_cbranch_execnz .LBB23_63
.LBB23_55:
	s_or_b64 exec, exec, s[8:9]
	s_and_b64 s[4:5], s[4:5], exec
.LBB23_56:
	s_andn2_saveexec_b64 s[6:7], s[6:7]
	s_cbranch_execnz .LBB23_62
.LBB23_57:
	s_or_b64 exec, exec, s[6:7]
	s_and_b64 s[4:5], s[4:5], exec
.LBB23_58:
	s_andn2_saveexec_b64 s[2:3], s[2:3]
	s_cbranch_execnz .LBB23_61
.LBB23_59:
	s_or_b64 exec, exec, s[2:3]
	s_and_b64 s[2:3], s[4:5], exec
	s_andn2_saveexec_b64 s[0:1], s[0:1]
	s_cbranch_execz .LBB23_49
.LBB23_60:
	s_or_b64 s[2:3], s[2:3], exec
	s_trap 2
	s_or_b64 exec, exec, s[0:1]
	s_and_b64 exec, exec, s[2:3]
	s_cbranch_execnz .LBB23_50
	s_branch .LBB23_51
.LBB23_61:
	s_or_b64 s[4:5], s[4:5], exec
	s_trap 2
	s_branch .LBB23_59
.LBB23_62:
	s_trap 2
	s_or_b64 s[4:5], s[4:5], exec
	s_branch .LBB23_57
.LBB23_63:
	s_mov_b64 s[4:5], exec
	s_trap 2
	s_branch .LBB23_55
	.section	.rodata,"a",@progbits
	.p2align	6, 0x0
	.amdhsa_kernel _ZN2at4cuda12_GLOBAL__N_121kernelPointwiseApply2IZNS_6native9templates4cuda28bernoulli_tensor_cuda_kernelIafEEvRKNS_10TensorBaseES9_NS_15PhiloxCudaStateEEUliRaSB_SB_SB_RKfSD_SD_SD_E_aSC_jLi1ELi2ELi4ELi512ELi2EEEvNS0_6detail10TensorInfoIT0_T2_EENSG_IT1_SI_EESI_T_
		.amdhsa_group_segment_fixed_size 0
		.amdhsa_private_segment_fixed_size 0
		.amdhsa_kernarg_size 728
		.amdhsa_user_sgpr_count 6
		.amdhsa_user_sgpr_private_segment_buffer 1
		.amdhsa_user_sgpr_dispatch_ptr 0
		.amdhsa_user_sgpr_queue_ptr 0
		.amdhsa_user_sgpr_kernarg_segment_ptr 1
		.amdhsa_user_sgpr_dispatch_id 0
		.amdhsa_user_sgpr_flat_scratch_init 0
		.amdhsa_user_sgpr_kernarg_preload_length 0
		.amdhsa_user_sgpr_kernarg_preload_offset 0
		.amdhsa_user_sgpr_private_segment_size 0
		.amdhsa_uses_dynamic_stack 0
		.amdhsa_system_sgpr_private_segment_wavefront_offset 0
		.amdhsa_system_sgpr_workgroup_id_x 1
		.amdhsa_system_sgpr_workgroup_id_y 0
		.amdhsa_system_sgpr_workgroup_id_z 0
		.amdhsa_system_sgpr_workgroup_info 0
		.amdhsa_system_vgpr_workitem_id 0
		.amdhsa_next_free_vgpr 54
		.amdhsa_next_free_sgpr 64
		.amdhsa_accum_offset 56
		.amdhsa_reserve_vcc 1
		.amdhsa_reserve_flat_scratch 0
		.amdhsa_float_round_mode_32 0
		.amdhsa_float_round_mode_16_64 0
		.amdhsa_float_denorm_mode_32 3
		.amdhsa_float_denorm_mode_16_64 3
		.amdhsa_dx10_clamp 1
		.amdhsa_ieee_mode 1
		.amdhsa_fp16_overflow 0
		.amdhsa_tg_split 0
		.amdhsa_exception_fp_ieee_invalid_op 0
		.amdhsa_exception_fp_denorm_src 0
		.amdhsa_exception_fp_ieee_div_zero 0
		.amdhsa_exception_fp_ieee_overflow 0
		.amdhsa_exception_fp_ieee_underflow 0
		.amdhsa_exception_fp_ieee_inexact 0
		.amdhsa_exception_int_div_zero 0
	.end_amdhsa_kernel
	.section	.text._ZN2at4cuda12_GLOBAL__N_121kernelPointwiseApply2IZNS_6native9templates4cuda28bernoulli_tensor_cuda_kernelIafEEvRKNS_10TensorBaseES9_NS_15PhiloxCudaStateEEUliRaSB_SB_SB_RKfSD_SD_SD_E_aSC_jLi1ELi2ELi4ELi512ELi2EEEvNS0_6detail10TensorInfoIT0_T2_EENSG_IT1_SI_EESI_T_,"axG",@progbits,_ZN2at4cuda12_GLOBAL__N_121kernelPointwiseApply2IZNS_6native9templates4cuda28bernoulli_tensor_cuda_kernelIafEEvRKNS_10TensorBaseES9_NS_15PhiloxCudaStateEEUliRaSB_SB_SB_RKfSD_SD_SD_E_aSC_jLi1ELi2ELi4ELi512ELi2EEEvNS0_6detail10TensorInfoIT0_T2_EENSG_IT1_SI_EESI_T_,comdat
.Lfunc_end23:
	.size	_ZN2at4cuda12_GLOBAL__N_121kernelPointwiseApply2IZNS_6native9templates4cuda28bernoulli_tensor_cuda_kernelIafEEvRKNS_10TensorBaseES9_NS_15PhiloxCudaStateEEUliRaSB_SB_SB_RKfSD_SD_SD_E_aSC_jLi1ELi2ELi4ELi512ELi2EEEvNS0_6detail10TensorInfoIT0_T2_EENSG_IT1_SI_EESI_T_, .Lfunc_end23-_ZN2at4cuda12_GLOBAL__N_121kernelPointwiseApply2IZNS_6native9templates4cuda28bernoulli_tensor_cuda_kernelIafEEvRKNS_10TensorBaseES9_NS_15PhiloxCudaStateEEUliRaSB_SB_SB_RKfSD_SD_SD_E_aSC_jLi1ELi2ELi4ELi512ELi2EEEvNS0_6detail10TensorInfoIT0_T2_EENSG_IT1_SI_EESI_T_
                                        ; -- End function
	.section	.AMDGPU.csdata,"",@progbits
; Kernel info:
; codeLenInByte = 2976
; NumSgprs: 68
; NumVgprs: 54
; NumAgprs: 0
; TotalNumVgprs: 54
; ScratchSize: 0
; MemoryBound: 0
; FloatMode: 240
; IeeeMode: 1
; LDSByteSize: 0 bytes/workgroup (compile time only)
; SGPRBlocks: 8
; VGPRBlocks: 6
; NumSGPRsForWavesPerEU: 68
; NumVGPRsForWavesPerEU: 54
; AccumOffset: 56
; Occupancy: 8
; WaveLimiterHint : 1
; COMPUTE_PGM_RSRC2:SCRATCH_EN: 0
; COMPUTE_PGM_RSRC2:USER_SGPR: 6
; COMPUTE_PGM_RSRC2:TRAP_HANDLER: 0
; COMPUTE_PGM_RSRC2:TGID_X_EN: 1
; COMPUTE_PGM_RSRC2:TGID_Y_EN: 0
; COMPUTE_PGM_RSRC2:TGID_Z_EN: 0
; COMPUTE_PGM_RSRC2:TIDIG_COMP_CNT: 0
; COMPUTE_PGM_RSRC3_GFX90A:ACCUM_OFFSET: 13
; COMPUTE_PGM_RSRC3_GFX90A:TG_SPLIT: 0
	.section	.text._ZN2at4cuda12_GLOBAL__N_121kernelPointwiseApply2IZNS_6native9templates4cuda28bernoulli_tensor_cuda_kernelIafEEvRKNS_10TensorBaseES9_NS_15PhiloxCudaStateEEUliRaSB_SB_SB_RKfSD_SD_SD_E_aSC_jLi1ELin1ELi4ELi512ELi2EEEvNS0_6detail10TensorInfoIT0_T2_EENSG_IT1_SI_EESI_T_,"axG",@progbits,_ZN2at4cuda12_GLOBAL__N_121kernelPointwiseApply2IZNS_6native9templates4cuda28bernoulli_tensor_cuda_kernelIafEEvRKNS_10TensorBaseES9_NS_15PhiloxCudaStateEEUliRaSB_SB_SB_RKfSD_SD_SD_E_aSC_jLi1ELin1ELi4ELi512ELi2EEEvNS0_6detail10TensorInfoIT0_T2_EENSG_IT1_SI_EESI_T_,comdat
	.globl	_ZN2at4cuda12_GLOBAL__N_121kernelPointwiseApply2IZNS_6native9templates4cuda28bernoulli_tensor_cuda_kernelIafEEvRKNS_10TensorBaseES9_NS_15PhiloxCudaStateEEUliRaSB_SB_SB_RKfSD_SD_SD_E_aSC_jLi1ELin1ELi4ELi512ELi2EEEvNS0_6detail10TensorInfoIT0_T2_EENSG_IT1_SI_EESI_T_ ; -- Begin function _ZN2at4cuda12_GLOBAL__N_121kernelPointwiseApply2IZNS_6native9templates4cuda28bernoulli_tensor_cuda_kernelIafEEvRKNS_10TensorBaseES9_NS_15PhiloxCudaStateEEUliRaSB_SB_SB_RKfSD_SD_SD_E_aSC_jLi1ELin1ELi4ELi512ELi2EEEvNS0_6detail10TensorInfoIT0_T2_EENSG_IT1_SI_EESI_T_
	.p2align	8
	.type	_ZN2at4cuda12_GLOBAL__N_121kernelPointwiseApply2IZNS_6native9templates4cuda28bernoulli_tensor_cuda_kernelIafEEvRKNS_10TensorBaseES9_NS_15PhiloxCudaStateEEUliRaSB_SB_SB_RKfSD_SD_SD_E_aSC_jLi1ELin1ELi4ELi512ELi2EEEvNS0_6detail10TensorInfoIT0_T2_EENSG_IT1_SI_EESI_T_,@function
_ZN2at4cuda12_GLOBAL__N_121kernelPointwiseApply2IZNS_6native9templates4cuda28bernoulli_tensor_cuda_kernelIafEEvRKNS_10TensorBaseES9_NS_15PhiloxCudaStateEEUliRaSB_SB_SB_RKfSD_SD_SD_E_aSC_jLi1ELin1ELi4ELi512ELi2EEEvNS0_6detail10TensorInfoIT0_T2_EENSG_IT1_SI_EESI_T_: ; @_ZN2at4cuda12_GLOBAL__N_121kernelPointwiseApply2IZNS_6native9templates4cuda28bernoulli_tensor_cuda_kernelIafEEvRKNS_10TensorBaseES9_NS_15PhiloxCudaStateEEUliRaSB_SB_SB_RKfSD_SD_SD_E_aSC_jLi1ELin1ELi4ELi512ELi2EEEvNS0_6detail10TensorInfoIT0_T2_EENSG_IT1_SI_EESI_T_
; %bb.0:
	s_load_dword s2, s[4:5], 0x1e4
	s_load_dword s33, s[4:5], 0x1b0
	s_add_u32 s0, s4, 0x1d8
	s_addc_u32 s1, s5, 0
	s_waitcnt lgkmcnt(0)
	s_and_b32 s2, s2, 0xffff
	s_mul_i32 s6, s6, s2
	v_add_u32_e32 v5, s6, v0
	v_lshlrev_b32_e32 v28, 2, v5
	v_cmp_gt_u32_e32 vcc, s33, v28
	s_and_saveexec_b64 s[6:7], vcc
	s_cbranch_execz .LBB24_65
; %bb.1:
	s_load_dword s3, s[0:1], 0x0
	s_load_dwordx4 s[12:15], s[4:5], 0x1b8
	s_load_dword s8, s[4:5], 0x1a8
	s_load_dwordx2 s[10:11], s[4:5], 0x0
	s_load_dword s60, s[4:5], 0x6c
	s_waitcnt lgkmcnt(0)
	s_mul_i32 s9, s3, s2
	s_load_dwordx2 s[16:17], s[4:5], 0x1c8
	s_load_dword s2, s[4:5], 0x1d0
	s_add_u32 s6, s4, 0xd8
	s_addc_u32 s7, s5, 0
	s_cmp_gt_i32 s8, 1
	s_mov_b32 s62, 0xcd9e8d57
	s_cselect_b64 s[0:1], -1, 0
	s_waitcnt lgkmcnt(0)
	s_bitcmp1_b32 s2, 0
	v_mad_u64_u32 v[0:1], s[2:3], v5, s62, 0
	s_cselect_b64 s[22:23], -1, 0
	s_add_i32 s2, s8, -1
	s_mov_b32 s3, 0
	s_load_dword s61, s[4:5], 0x144
	s_load_dwordx2 s[18:19], s[4:5], 0xd8
	s_lshl_b32 s63, s9, 2
	s_add_i32 s64, s8, 1
	s_lshl_b64 s[2:3], s[2:3], 2
	s_add_u32 s2, s2, s6
	s_addc_u32 s3, s3, s7
	v_mov_b32_e32 v4, v1
	s_add_u32 s24, s2, 8
	v_cndmask_b32_e64 v1, 0, 1, s[0:1]
	v_mov_b32_e32 v3, 0
	s_addc_u32 s25, s3, 0
	s_mov_b64 s[26:27], 0
	s_mov_b32 s65, 0xd2511f53
	v_cmp_ne_u32_e64 s[0:1], 1, v1
	s_mov_b32 s66, 0xf1bbcdc8
                                        ; implicit-def: $sgpr28_sgpr29
                                        ; implicit-def: $sgpr30_sgpr31
                                        ; implicit-def: $sgpr34_sgpr35
                                        ; implicit-def: $sgpr20_sgpr21
                                        ; implicit-def: $sgpr36_sgpr37
                                        ; implicit-def: $sgpr38_sgpr39
                                        ; implicit-def: $sgpr40_sgpr41
                                        ; implicit-def: $sgpr42_sgpr43
	s_branch .LBB24_3
.LBB24_2:                               ;   in Loop: Header=BB24_3 Depth=1
	s_or_b64 exec, exec, s[4:5]
	s_and_b64 s[2:3], exec, s[2:3]
	s_or_b64 s[26:27], s[2:3], s[26:27]
	s_andn2_b64 s[2:3], s[20:21], exec
	s_and_b64 s[4:5], s[42:43], exec
	s_or_b64 s[20:21], s[2:3], s[4:5]
	s_andn2_b64 s[2:3], s[34:35], exec
	s_and_b64 s[4:5], s[40:41], exec
	;; [unrolled: 3-line block ×4, first 2 shown]
	s_or_b64 s[28:29], s[2:3], s[4:5]
	s_andn2_b64 exec, exec, s[26:27]
	s_cbranch_execz .LBB24_61
.LBB24_3:                               ; =>This Loop Header: Depth=1
                                        ;     Child Loop BB24_6 Depth 2
                                        ;     Child Loop BB24_11 Depth 2
	;; [unrolled: 1-line block ×4, first 2 shown]
	v_sub_u32_e32 v29, s33, v28
	v_cmp_lt_i32_e64 s[2:3], 0, v29
	v_mov_b32_e32 v2, 0
	s_and_saveexec_b64 s[4:5], s[2:3]
	s_cbranch_execz .LBB24_8
; %bb.4:                                ;   in Loop: Header=BB24_3 Depth=1
	s_and_b64 vcc, exec, s[0:1]
	v_mov_b32_e32 v6, 0
	v_mov_b32_e32 v1, v28
	s_cbranch_vccnz .LBB24_7
; %bb.5:                                ;   in Loop: Header=BB24_3 Depth=1
	v_mov_b32_e32 v6, 0
	s_mov_b64 s[6:7], s[24:25]
	s_mov_b32 s8, s64
	v_mov_b32_e32 v1, v28
.LBB24_6:                               ;   Parent Loop BB24_3 Depth=1
                                        ; =>  This Inner Loop Header: Depth=2
	s_load_dword s9, s[6:7], 0x0
	s_load_dword s44, s[6:7], 0x64
	v_mov_b32_e32 v2, v1
	s_add_i32 s8, s8, -1
	s_waitcnt lgkmcnt(0)
	v_cvt_f32_u32_e32 v1, s9
	s_sub_i32 s45, 0, s9
	s_add_u32 s6, s6, -4
	s_addc_u32 s7, s7, -1
	v_rcp_iflag_f32_e32 v1, v1
	s_cmp_gt_u32 s8, 2
	v_mul_f32_e32 v1, 0x4f7ffffe, v1
	v_cvt_u32_f32_e32 v1, v1
	v_mul_lo_u32 v7, s45, v1
	v_mul_hi_u32 v7, v1, v7
	v_add_u32_e32 v1, v1, v7
	v_mul_hi_u32 v1, v2, v1
	v_mul_lo_u32 v7, v1, s9
	v_sub_u32_e32 v7, v2, v7
	v_add_u32_e32 v8, 1, v1
	v_cmp_le_u32_e32 vcc, s9, v7
	v_cndmask_b32_e32 v1, v1, v8, vcc
	v_subrev_u32_e32 v8, s9, v7
	v_cndmask_b32_e32 v7, v7, v8, vcc
	v_add_u32_e32 v8, 1, v1
	v_cmp_le_u32_e32 vcc, s9, v7
	v_cndmask_b32_e32 v1, v1, v8, vcc
	v_mul_lo_u32 v7, v1, s9
	v_sub_u32_e32 v2, v2, v7
	v_mad_u64_u32 v[6:7], s[44:45], s44, v2, v[6:7]
	s_cbranch_scc1 .LBB24_6
.LBB24_7:                               ;   in Loop: Header=BB24_3 Depth=1
	s_waitcnt lgkmcnt(0)
	v_mad_u64_u32 v[6:7], s[6:7], s61, v1, v[6:7]
	v_mov_b32_e32 v2, v6
.LBB24_8:                               ;   in Loop: Header=BB24_3 Depth=1
	s_or_b64 exec, exec, s[4:5]
	v_cmp_lt_i32_e64 s[4:5], 1, v29
	v_pk_mov_b32 v[6:7], 0, 0
	s_and_saveexec_b64 s[6:7], s[4:5]
	s_cbranch_execz .LBB24_13
; %bb.9:                                ;   in Loop: Header=BB24_3 Depth=1
	v_or_b32_e32 v1, 1, v28
	s_and_b64 vcc, exec, s[0:1]
	v_mov_b32_e32 v6, 0
	s_cbranch_vccnz .LBB24_12
; %bb.10:                               ;   in Loop: Header=BB24_3 Depth=1
	v_mov_b32_e32 v6, 0
	s_mov_b64 s[8:9], s[24:25]
	s_mov_b32 s44, s64
.LBB24_11:                              ;   Parent Loop BB24_3 Depth=1
                                        ; =>  This Inner Loop Header: Depth=2
	s_load_dword s45, s[8:9], 0x0
	s_load_dword s46, s[8:9], 0x64
	v_mov_b32_e32 v7, v1
	s_add_i32 s44, s44, -1
	s_waitcnt lgkmcnt(0)
	v_cvt_f32_u32_e32 v1, s45
	s_sub_i32 s47, 0, s45
	s_add_u32 s8, s8, -4
	s_addc_u32 s9, s9, -1
	v_rcp_iflag_f32_e32 v1, v1
	s_cmp_gt_u32 s44, 2
	v_mul_f32_e32 v1, 0x4f7ffffe, v1
	v_cvt_u32_f32_e32 v1, v1
	v_mul_lo_u32 v8, s47, v1
	v_mul_hi_u32 v8, v1, v8
	v_add_u32_e32 v1, v1, v8
	v_mul_hi_u32 v1, v7, v1
	v_mul_lo_u32 v8, v1, s45
	v_sub_u32_e32 v8, v7, v8
	v_add_u32_e32 v9, 1, v1
	v_cmp_le_u32_e32 vcc, s45, v8
	v_cndmask_b32_e32 v1, v1, v9, vcc
	v_subrev_u32_e32 v9, s45, v8
	v_cndmask_b32_e32 v8, v8, v9, vcc
	v_add_u32_e32 v9, 1, v1
	v_cmp_le_u32_e32 vcc, s45, v8
	v_cndmask_b32_e32 v1, v1, v9, vcc
	v_mul_lo_u32 v8, v1, s45
	v_sub_u32_e32 v7, v7, v8
	v_mad_u64_u32 v[6:7], s[46:47], s46, v7, v[6:7]
	s_cbranch_scc1 .LBB24_11
.LBB24_12:                              ;   in Loop: Header=BB24_3 Depth=1
	s_waitcnt lgkmcnt(0)
	v_mad_u64_u32 v[6:7], s[8:9], s61, v1, v[6:7]
	v_mov_b32_e32 v7, v3
.LBB24_13:                              ;   in Loop: Header=BB24_3 Depth=1
	s_or_b64 exec, exec, s[6:7]
	v_cmp_lt_i32_e64 s[6:7], 2, v29
	v_pk_mov_b32 v[10:11], 0, 0
	s_and_saveexec_b64 s[8:9], s[6:7]
	s_cbranch_execz .LBB24_18
; %bb.14:                               ;   in Loop: Header=BB24_3 Depth=1
	v_or_b32_e32 v1, 2, v28
	s_and_b64 vcc, exec, s[0:1]
	v_mov_b32_e32 v8, 0
	s_cbranch_vccnz .LBB24_17
; %bb.15:                               ;   in Loop: Header=BB24_3 Depth=1
	v_mov_b32_e32 v8, 0
	s_mov_b64 s[44:45], s[24:25]
	s_mov_b32 s46, s64
.LBB24_16:                              ;   Parent Loop BB24_3 Depth=1
                                        ; =>  This Inner Loop Header: Depth=2
	s_load_dword s47, s[44:45], 0x0
	s_load_dword s48, s[44:45], 0x64
	v_mov_b32_e32 v9, v1
	s_add_i32 s46, s46, -1
	s_waitcnt lgkmcnt(0)
	v_cvt_f32_u32_e32 v1, s47
	s_sub_i32 s49, 0, s47
	s_add_u32 s44, s44, -4
	s_addc_u32 s45, s45, -1
	v_rcp_iflag_f32_e32 v1, v1
	s_cmp_gt_u32 s46, 2
	v_mul_f32_e32 v1, 0x4f7ffffe, v1
	v_cvt_u32_f32_e32 v1, v1
	v_mul_lo_u32 v10, s49, v1
	v_mul_hi_u32 v10, v1, v10
	v_add_u32_e32 v1, v1, v10
	v_mul_hi_u32 v1, v9, v1
	v_mul_lo_u32 v10, v1, s47
	v_sub_u32_e32 v10, v9, v10
	v_add_u32_e32 v11, 1, v1
	v_cmp_le_u32_e32 vcc, s47, v10
	v_cndmask_b32_e32 v1, v1, v11, vcc
	v_subrev_u32_e32 v11, s47, v10
	v_cndmask_b32_e32 v10, v10, v11, vcc
	v_add_u32_e32 v11, 1, v1
	v_cmp_le_u32_e32 vcc, s47, v10
	v_cndmask_b32_e32 v1, v1, v11, vcc
	v_mul_lo_u32 v10, v1, s47
	v_sub_u32_e32 v9, v9, v10
	v_mad_u64_u32 v[8:9], s[48:49], s48, v9, v[8:9]
	s_cbranch_scc1 .LBB24_16
.LBB24_17:                              ;   in Loop: Header=BB24_3 Depth=1
	s_waitcnt lgkmcnt(0)
	v_mad_u64_u32 v[10:11], s[44:45], s61, v1, v[8:9]
	v_mov_b32_e32 v11, v3
.LBB24_18:                              ;   in Loop: Header=BB24_3 Depth=1
	s_or_b64 exec, exec, s[8:9]
	v_mul_lo_u32 v1, v28, s60
	v_add_u32_e32 v30, s60, v1
	v_pk_mov_b32 v[8:9], 0, 0
	v_add_u32_e32 v31, s60, v30
	v_cmp_lt_i32_e32 vcc, 3, v29
	v_pk_mov_b32 v[12:13], v[8:9], v[8:9] op_sel:[0,1]
	s_and_saveexec_b64 s[8:9], vcc
	s_cbranch_execz .LBB24_23
; %bb.19:                               ;   in Loop: Header=BB24_3 Depth=1
	v_or_b32_e32 v14, 3, v28
	s_and_b64 vcc, exec, s[0:1]
	v_mov_b32_e32 v8, 0
	s_cbranch_vccnz .LBB24_22
; %bb.20:                               ;   in Loop: Header=BB24_3 Depth=1
	v_mov_b32_e32 v8, 0
	s_mov_b64 s[44:45], s[24:25]
	s_mov_b32 s46, s64
.LBB24_21:                              ;   Parent Loop BB24_3 Depth=1
                                        ; =>  This Inner Loop Header: Depth=2
	s_load_dword s47, s[44:45], 0x0
	s_load_dword s48, s[44:45], 0x64
	v_mov_b32_e32 v9, v14
	s_add_i32 s46, s46, -1
	s_waitcnt lgkmcnt(0)
	v_cvt_f32_u32_e32 v12, s47
	s_sub_i32 s49, 0, s47
	s_add_u32 s44, s44, -4
	s_addc_u32 s45, s45, -1
	v_rcp_iflag_f32_e32 v12, v12
	s_cmp_gt_u32 s46, 2
	v_mul_f32_e32 v12, 0x4f7ffffe, v12
	v_cvt_u32_f32_e32 v12, v12
	v_mul_lo_u32 v13, s49, v12
	v_mul_hi_u32 v13, v12, v13
	v_add_u32_e32 v12, v12, v13
	v_mul_hi_u32 v12, v9, v12
	v_mul_lo_u32 v13, v12, s47
	v_sub_u32_e32 v13, v9, v13
	v_add_u32_e32 v14, 1, v12
	v_cmp_le_u32_e32 vcc, s47, v13
	v_cndmask_b32_e32 v12, v12, v14, vcc
	v_subrev_u32_e32 v14, s47, v13
	v_cndmask_b32_e32 v13, v13, v14, vcc
	v_add_u32_e32 v14, 1, v12
	v_cmp_le_u32_e32 vcc, s47, v13
	v_cndmask_b32_e32 v14, v12, v14, vcc
	v_mul_lo_u32 v12, v14, s47
	v_sub_u32_e32 v9, v9, v12
	v_mad_u64_u32 v[8:9], s[48:49], s48, v9, v[8:9]
	s_cbranch_scc1 .LBB24_21
.LBB24_22:                              ;   in Loop: Header=BB24_3 Depth=1
	s_waitcnt lgkmcnt(0)
	v_mad_u64_u32 v[8:9], s[44:45], s61, v14, v[8:9]
	v_add_u32_e32 v12, s60, v31
	v_mov_b32_e32 v13, v3
	v_mov_b32_e32 v9, v3
.LBB24_23:                              ;   in Loop: Header=BB24_3 Depth=1
	s_or_b64 exec, exec, s[8:9]
	v_lshlrev_b64 v[8:9], 2, v[8:9]
	s_waitcnt lgkmcnt(0)
	v_mov_b32_e32 v14, s19
	v_add_co_u32_e32 v8, vcc, s18, v8
	v_addc_co_u32_e32 v9, vcc, v14, v9, vcc
	global_load_dword v32, v[8:9], off
	s_andn2_b64 vcc, exec, s[22:23]
	v_pk_mov_b32 v[8:9], s[14:15], s[14:15] op_sel:[0,1]
	v_pk_mov_b32 v[14:15], s[12:13], s[12:13] op_sel:[0,1]
	s_cbranch_vccnz .LBB24_25
; %bb.24:                               ;   in Loop: Header=BB24_3 Depth=1
	v_pk_mov_b32 v[8:9], s[14:15], s[14:15] op_sel:[0,1]
	flat_load_dwordx2 v[8:9], v[8:9]
	v_pk_mov_b32 v[14:15], s[12:13], s[12:13] op_sel:[0,1]
	flat_load_dwordx2 v[14:15], v[14:15]
	v_mov_b32_e32 v16, s17
	s_waitcnt vmcnt(0) lgkmcnt(0)
	v_add_co_u32_e32 v8, vcc, s16, v8
	v_addc_co_u32_e32 v9, vcc, v9, v16, vcc
.LBB24_25:                              ;   in Loop: Header=BB24_3 Depth=1
	v_alignbit_b32 v24, v9, v8, 2
	v_lshrrev_b32_e32 v25, 2, v9
	v_xor_b32_e32 v16, v4, v14
	v_and_b32_e32 v33, 3, v8
	v_mad_u64_u32 v[8:9], s[8:9], v24, s65, 0
	v_xor_b32_e32 v16, v16, v25
	v_xor_b32_e32 v9, v9, v15
	v_add_u32_e32 v38, 0xbb67ae85, v15
	v_mad_u64_u32 v[16:17], s[8:9], v16, s65, 0
	v_mad_u64_u32 v[18:19], s[8:9], v9, s62, 0
	v_xor_b32_e32 v17, v38, v17
	v_add_u32_e32 v37, 0x9e3779b9, v14
	v_xor_b32_e32 v9, v0, v19
	v_xor_b32_e32 v17, v17, v8
	v_xor_b32_e32 v9, v9, v37
	v_add_u32_e32 v39, 0x3c6ef372, v14
	v_mad_u64_u32 v[20:21], s[8:9], v17, s62, 0
	v_add_u32_e32 v40, 0x76cf5d0a, v15
	v_mad_u64_u32 v[8:9], s[8:9], v9, s65, 0
	v_xor_b32_e32 v17, v39, v21
	v_xor_b32_e32 v17, v17, v18
	v_xor_b32_e32 v9, v40, v9
	v_xor_b32_e32 v9, v9, v16
	v_add_u32_e32 v42, 0x32370b8f, v15
	v_mad_u64_u32 v[16:17], s[8:9], v17, s65, 0
	v_add_u32_e32 v41, 0xdaa66d2b, v14
	v_mad_u64_u32 v[18:19], s[8:9], v9, s62, 0
	v_xor_b32_e32 v17, v42, v17
	;; [unrolled: 8-line block ×5, first 2 shown]
	v_xor_b32_e32 v17, v17, v18
	v_xor_b32_e32 v9, v48, v9
	;; [unrolled: 1-line block ×3, first 2 shown]
	v_add_u32_e32 v50, 0x1fd5c5a3, v15
	v_mad_u64_u32 v[16:17], s[8:9], v17, s65, 0
	v_xor_b32_e32 v17, v50, v17
	v_xor_b32_e32 v8, v17, v8
	v_add_u32_e32 v49, 0x5384540f, v14
	v_mad_u64_u32 v[22:23], s[8:9], v9, s62, 0
	v_add_co_u32_e32 v35, vcc, s66, v14
	v_mad_u64_u32 v[18:19], s[8:9], v8, s62, 0
	v_xor_b32_e32 v9, v49, v23
	v_xor_b32_e32 v8, v35, v19
	;; [unrolled: 1-line block ×4, first 2 shown]
	v_mad_u64_u32 v[20:21], s[8:9], v9, s65, 0
	v_mad_u64_u32 v[8:9], s[8:9], v8, s65, 0
	v_add_u32_e32 v36, 0x96a522ad, v15
	v_xor_b32_e32 v9, v9, v20
	v_xor_b32_e32 v34, v36, v9
	v_add_co_u32_e32 v9, vcc, 1, v24
	v_cndmask_b32_e64 v20, 0, 1, vcc
	v_addc_co_u32_e32 v26, vcc, 0, v25, vcc
	v_cmp_eq_u32_e32 vcc, 0, v26
	v_cndmask_b32_e32 v20, 0, v20, vcc
	v_add_u32_e32 v24, v20, v5
	v_cmp_eq_u32_e32 vcc, 0, v24
	v_mad_u64_u32 v[22:23], s[8:9], v9, s65, 0
	v_mad_u64_u32 v[24:25], s[8:9], v24, s62, 0
	v_add_u32_e32 v19, 0x8ff34781, v14
	v_cndmask_b32_e32 v20, 0, v20, vcc
	v_xor_b32_e32 v9, v25, v14
	v_xor_b32_e32 v14, v23, v15
	;; [unrolled: 1-line block ×4, first 2 shown]
	v_mad_u64_u32 v[26:27], s[8:9], v20, s62, 0
	v_add_u32_e32 v17, 0xdb3d7428, v15
	v_mad_u64_u32 v[14:15], s[8:9], v9, s65, 0
	v_xor_b32_e32 v9, v37, v27
	v_xor_b32_e32 v9, v9, v24
	v_xor_b32_e32 v15, v38, v15
	v_xor_b32_e32 v15, v15, v22
	v_mad_u64_u32 v[22:23], s[8:9], v9, s65, 0
	v_mad_u64_u32 v[24:25], s[8:9], v15, s62, 0
	v_xor_b32_e32 v15, v40, v23
	v_xor_b32_e32 v9, v39, v25
	v_xor_b32_e32 v20, v15, v14
	v_xor_b32_e32 v9, v9, v26
	v_mad_u64_u32 v[26:27], s[8:9], v20, s62, 0
	v_mad_u64_u32 v[14:15], s[8:9], v9, s65, 0
	v_xor_b32_e32 v9, v41, v27
	v_xor_b32_e32 v9, v9, v24
	v_xor_b32_e32 v15, v42, v15
	v_xor_b32_e32 v15, v15, v22
	v_mad_u64_u32 v[22:23], s[8:9], v9, s65, 0
	v_mad_u64_u32 v[24:25], s[8:9], v15, s62, 0
	v_xor_b32_e32 v15, v44, v23
	v_xor_b32_e32 v9, v43, v25
	v_xor_b32_e32 v20, v15, v14
	v_xor_b32_e32 v9, v9, v26
	v_mad_u64_u32 v[26:27], s[8:9], v20, s62, 0
	v_mad_u64_u32 v[14:15], s[8:9], v9, s65, 0
	v_xor_b32_e32 v9, v45, v27
	v_xor_b32_e32 v9, v9, v24
	v_xor_b32_e32 v15, v46, v15
	v_xor_b32_e32 v15, v15, v22
	v_mad_u64_u32 v[24:25], s[8:9], v9, s65, 0
	v_mad_u64_u32 v[38:39], s[8:9], v15, s62, 0
	v_xor_b32_e32 v15, v48, v25
	v_xor_b32_e32 v9, v47, v39
	v_xor_b32_e32 v20, v15, v14
	v_xor_b32_e32 v9, v9, v26
	v_mad_u64_u32 v[22:23], s[8:9], v20, s62, 0
	v_mad_u64_u32 v[14:15], s[8:9], v9, s65, 0
	v_xor_b32_e32 v9, v49, v23
	v_xor_b32_e32 v9, v9, v38
	v_xor_b32_e32 v15, v50, v15
	v_xor_b32_e32 v15, v15, v24
	v_mad_u64_u32 v[24:25], s[8:9], v9, s65, 0
	v_xor_b32_e32 v9, v17, v25
	v_xor_b32_e32 v9, v9, v14
	v_mad_u64_u32 v[26:27], s[8:9], v15, s62, 0
	v_mad_u64_u32 v[14:15], s[8:9], v9, s62, 0
	v_xor_b32_e32 v9, v15, v26
	v_xor_b32_e32 v9, v19, v9
	v_cmp_lt_i32_e32 vcc, 1, v33
                                        ; implicit-def: $vgpr23
	s_and_saveexec_b64 s[8:9], vcc
	s_xor_b64 s[8:9], exec, s[8:9]
	s_cbranch_execz .LBB24_31
; %bb.26:                               ;   in Loop: Header=BB24_3 Depth=1
	v_cmp_lt_i32_e32 vcc, 2, v33
                                        ; implicit-def: $vgpr23
	s_and_saveexec_b64 s[44:45], vcc
	s_xor_b64 s[44:45], exec, s[44:45]
; %bb.27:                               ;   in Loop: Header=BB24_3 Depth=1
	v_xor_b32_e32 v15, v35, v27
	v_xor_b32_e32 v15, v15, v22
	v_mul_hi_u32 v15, v15, s65
	v_xor_b32_e32 v15, v15, v24
	v_xor_b32_e32 v23, v36, v15
                                        ; implicit-def: $vgpr34
; %bb.28:                               ;   in Loop: Header=BB24_3 Depth=1
	s_andn2_saveexec_b64 s[44:45], s[44:45]
; %bb.29:                               ;   in Loop: Header=BB24_3 Depth=1
	v_mov_b32_e32 v23, v14
	v_mov_b32_e32 v14, v9
	;; [unrolled: 1-line block ×4, first 2 shown]
; %bb.30:                               ;   in Loop: Header=BB24_3 Depth=1
	s_or_b64 exec, exec, s[44:45]
                                        ; implicit-def: $vgpr16_vgpr17
                                        ; implicit-def: $vgpr18_vgpr19
                                        ; implicit-def: $vgpr33
                                        ; implicit-def: $vgpr34
                                        ; implicit-def: $vgpr20_vgpr21
                                        ; implicit-def: $vgpr17
                                        ; implicit-def: $vgpr19
.LBB24_31:                              ;   in Loop: Header=BB24_3 Depth=1
	s_andn2_saveexec_b64 s[8:9], s[8:9]
	s_cbranch_execz .LBB24_35
; %bb.32:                               ;   in Loop: Header=BB24_3 Depth=1
	v_xor_b32_e32 v14, v17, v21
	v_xor_b32_e32 v14, v14, v16
	v_mad_u64_u32 v[16:17], s[44:45], v14, s62, 0
	v_xor_b32_e32 v14, v17, v18
	v_xor_b32_e32 v15, v19, v14
	v_cmp_eq_u32_e32 vcc, 1, v33
	v_mov_b32_e32 v23, v8
	v_mov_b32_e32 v14, v34
	;; [unrolled: 1-line block ×3, first 2 shown]
	s_and_saveexec_b64 s[44:45], vcc
; %bb.33:                               ;   in Loop: Header=BB24_3 Depth=1
	v_mov_b32_e32 v23, v9
	v_mov_b32_e32 v14, v8
	;; [unrolled: 1-line block ×4, first 2 shown]
; %bb.34:                               ;   in Loop: Header=BB24_3 Depth=1
	s_or_b64 exec, exec, s[44:45]
	v_mov_b32_e32 v8, v15
	v_mov_b32_e32 v9, v17
.LBB24_35:                              ;   in Loop: Header=BB24_3 Depth=1
	s_or_b64 exec, exec, s[8:9]
	v_min_i32_e32 v15, 4, v29
	v_cmp_lt_i32_e32 vcc, 2, v15
	s_mov_b64 s[44:45], 0
	s_mov_b64 s[54:55], 0
	;; [unrolled: 1-line block ×3, first 2 shown]
                                        ; implicit-def: $sgpr46_sgpr47
                                        ; implicit-def: $sgpr48_sgpr49
                                        ; implicit-def: $sgpr50_sgpr51
	s_and_saveexec_b64 s[52:53], vcc
	s_xor_b64 s[52:53], exec, s[52:53]
	s_cbranch_execz .LBB24_47
; %bb.36:                               ;   in Loop: Header=BB24_3 Depth=1
	v_cmp_lt_i32_e32 vcc, 3, v15
	s_mov_b64 s[8:9], -1
	s_mov_b64 s[58:59], 0
                                        ; implicit-def: $sgpr46_sgpr47
                                        ; implicit-def: $sgpr56_sgpr57
	s_and_saveexec_b64 s[48:49], vcc
	s_cbranch_execz .LBB24_42
; %bb.37:                               ;   in Loop: Header=BB24_3 Depth=1
	v_cmp_eq_u32_e32 vcc, 4, v15
	s_mov_b64 s[8:9], 0
	s_mov_b64 s[58:59], -1
                                        ; implicit-def: $sgpr46_sgpr47
                                        ; implicit-def: $sgpr56_sgpr57
	s_and_saveexec_b64 s[50:51], vcc
	s_cbranch_execz .LBB24_41
; %bb.38:                               ;   in Loop: Header=BB24_3 Depth=1
	s_waitcnt vmcnt(0)
	v_cmp_le_f32_e32 vcc, 0, v32
	v_cmp_ge_f32_e64 s[8:9], 1.0, v32
	s_and_b64 s[58:59], vcc, s[8:9]
	s_mov_b64 s[46:47], 0
	s_mov_b64 s[8:9], 0
	s_and_saveexec_b64 s[56:57], s[58:59]
	s_cbranch_execz .LBB24_40
; %bb.39:                               ;   in Loop: Header=BB24_3 Depth=1
	v_cvt_f32_u32_e32 v16, v23
	v_mov_b32_e32 v17, 0x2f800000
	v_mov_b32_e32 v18, s11
	v_add_co_u32_e32 v12, vcc, s10, v12
	v_fmac_f32_e32 v17, 0x2f800000, v16
	v_addc_co_u32_e32 v13, vcc, v18, v13, vcc
	v_cmp_le_f32_e32 vcc, v17, v32
	s_mov_b64 s[8:9], exec
	v_cndmask_b32_e64 v16, 0, 1, vcc
	global_store_byte v[12:13], v16, off
.LBB24_40:                              ;   in Loop: Header=BB24_3 Depth=1
	s_or_b64 exec, exec, s[56:57]
	s_mov_b64 s[56:57], -1
	s_xor_b64 s[58:59], exec, -1
	s_and_b64 s[8:9], s[8:9], exec
.LBB24_41:                              ;   in Loop: Header=BB24_3 Depth=1
	s_or_b64 exec, exec, s[50:51]
	s_and_b64 s[58:59], s[58:59], exec
	s_orn2_b64 s[8:9], s[8:9], exec
.LBB24_42:                              ;   in Loop: Header=BB24_3 Depth=1
	s_or_b64 exec, exec, s[48:49]
	s_mov_b64 s[50:51], s[46:47]
	s_and_saveexec_b64 s[48:49], s[8:9]
	s_cbranch_execz .LBB24_46
; %bb.43:                               ;   in Loop: Header=BB24_3 Depth=1
	v_lshlrev_b64 v[10:11], 2, v[10:11]
	v_mov_b32_e32 v12, s19
	v_add_co_u32_e32 v10, vcc, s18, v10
	v_addc_co_u32_e32 v11, vcc, v12, v11, vcc
	global_load_dword v10, v[10:11], off
	s_waitcnt vmcnt(0)
	v_cmp_le_f32_e32 vcc, 0, v10
	v_cmp_ge_f32_e64 s[8:9], 1.0, v10
	s_and_b64 s[50:51], vcc, s[8:9]
	s_mov_b64 s[8:9], 0
	s_and_saveexec_b64 s[54:55], s[50:51]
	s_xor_b64 s[50:51], exec, s[54:55]
	s_cbranch_execz .LBB24_45
; %bb.44:                               ;   in Loop: Header=BB24_3 Depth=1
	v_cvt_f32_u32_e32 v11, v14
	v_mov_b32_e32 v12, 0x2f800000
	v_cndmask_b32_e64 v13, 0, v31, s[6:7]
	s_mov_b64 s[8:9], exec
	v_fmac_f32_e32 v12, 0x2f800000, v11
	v_cmp_le_f32_e32 vcc, v12, v10
	v_cndmask_b32_e64 v10, 0, 1, vcc
	global_store_byte v13, v10, s[10:11]
.LBB24_45:                              ;   in Loop: Header=BB24_3 Depth=1
	s_or_b64 exec, exec, s[50:51]
	s_andn2_b64 s[50:51], s[46:47], exec
	s_or_b64 s[46:47], s[46:47], exec
	s_andn2_b64 s[56:57], s[56:57], exec
	s_and_b64 s[54:55], s[8:9], exec
.LBB24_46:                              ;   in Loop: Header=BB24_3 Depth=1
	s_or_b64 exec, exec, s[48:49]
	s_and_b64 s[50:51], s[50:51], exec
	s_and_b64 s[48:49], s[46:47], exec
	;; [unrolled: 1-line block ×5, first 2 shown]
.LBB24_47:                              ;   in Loop: Header=BB24_3 Depth=1
	s_andn2_saveexec_b64 s[6:7], s[52:53]
; %bb.48:                               ;   in Loop: Header=BB24_3 Depth=1
	v_cmp_lt_i32_e32 vcc, 1, v15
	s_andn2_b64 s[52:53], s[54:55], exec
	s_and_b64 s[54:55], vcc, exec
	s_mov_b64 s[44:45], exec
	s_andn2_b64 s[50:51], s[50:51], exec
	s_andn2_b64 s[48:49], s[48:49], exec
	s_andn2_b64 s[46:47], s[46:47], exec
	s_or_b64 s[54:55], s[52:53], s[54:55]
; %bb.49:                               ;   in Loop: Header=BB24_3 Depth=1
	s_or_b64 exec, exec, s[6:7]
	s_mov_b64 s[52:53], 0
	s_mov_b64 s[6:7], s[50:51]
	s_and_saveexec_b64 s[56:57], s[54:55]
	s_cbranch_execnz .LBB24_52
; %bb.50:                               ;   in Loop: Header=BB24_3 Depth=1
	s_or_b64 exec, exec, s[56:57]
	s_and_saveexec_b64 s[4:5], s[44:45]
	s_cbranch_execnz .LBB24_55
.LBB24_51:                              ;   in Loop: Header=BB24_3 Depth=1
	s_or_b64 exec, exec, s[4:5]
	s_and_saveexec_b64 s[44:45], s[52:53]
	s_cbranch_execnz .LBB24_56
	s_branch .LBB24_59
.LBB24_52:                              ;   in Loop: Header=BB24_3 Depth=1
	v_lshlrev_b64 v[6:7], 2, v[6:7]
	v_mov_b32_e32 v10, s19
	v_add_co_u32_e32 v6, vcc, s18, v6
	v_addc_co_u32_e32 v7, vcc, v10, v7, vcc
	global_load_dword v6, v[6:7], off
	s_waitcnt vmcnt(0)
	v_cmp_le_f32_e32 vcc, 0, v6
	v_cmp_ge_f32_e64 s[6:7], 1.0, v6
	s_and_b64 s[6:7], vcc, s[6:7]
	s_and_saveexec_b64 s[54:55], s[6:7]
	s_xor_b64 s[6:7], exec, s[54:55]
	s_cbranch_execz .LBB24_54
; %bb.53:                               ;   in Loop: Header=BB24_3 Depth=1
	v_cvt_f32_u32_e32 v7, v9
	v_mov_b32_e32 v9, 0x2f800000
	v_cndmask_b32_e64 v10, 0, v30, s[4:5]
	s_mov_b64 s[52:53], exec
	v_fmac_f32_e32 v9, 0x2f800000, v7
	v_cmp_le_f32_e32 vcc, v9, v6
	v_cndmask_b32_e64 v6, 0, 1, vcc
	global_store_byte v10, v6, s[10:11]
.LBB24_54:                              ;   in Loop: Header=BB24_3 Depth=1
	s_or_b64 exec, exec, s[6:7]
	s_andn2_b64 s[6:7], s[50:51], exec
	s_or_b64 s[50:51], s[50:51], exec
	s_andn2_b64 s[48:49], s[48:49], exec
	s_andn2_b64 s[46:47], s[46:47], exec
	s_and_b64 s[52:53], s[52:53], exec
	s_andn2_b64 s[44:45], s[44:45], exec
	s_or_b64 exec, exec, s[56:57]
	s_and_saveexec_b64 s[4:5], s[44:45]
	s_cbranch_execz .LBB24_51
.LBB24_55:                              ;   in Loop: Header=BB24_3 Depth=1
	v_cmp_eq_u32_e32 vcc, 1, v15
	s_andn2_b64 s[44:45], s[52:53], exec
	s_and_b64 s[52:53], vcc, exec
	s_andn2_b64 s[6:7], s[6:7], exec
	s_andn2_b64 s[50:51], s[50:51], exec
	;; [unrolled: 1-line block ×4, first 2 shown]
	s_or_b64 s[8:9], s[8:9], exec
	s_or_b64 s[52:53], s[44:45], s[52:53]
	s_or_b64 exec, exec, s[4:5]
	s_and_saveexec_b64 s[44:45], s[52:53]
	s_cbranch_execz .LBB24_59
.LBB24_56:                              ;   in Loop: Header=BB24_3 Depth=1
	v_lshlrev_b64 v[6:7], 2, v[2:3]
	v_mov_b32_e32 v2, s19
	v_add_co_u32_e32 v6, vcc, s18, v6
	v_addc_co_u32_e32 v7, vcc, v2, v7, vcc
	global_load_dword v2, v[6:7], off
	s_waitcnt vmcnt(0)
	v_cmp_le_f32_e32 vcc, 0, v2
	v_cmp_ge_f32_e64 s[4:5], 1.0, v2
	s_and_b64 s[54:55], vcc, s[4:5]
	s_mov_b64 s[4:5], 0
	s_and_saveexec_b64 s[52:53], s[54:55]
	s_cbranch_execz .LBB24_58
; %bb.57:                               ;   in Loop: Header=BB24_3 Depth=1
	v_cvt_f32_u32_e32 v6, v8
	v_mov_b32_e32 v7, 0x2f800000
	s_mov_b64 s[4:5], exec
	v_cndmask_b32_e64 v1, 0, v1, s[2:3]
	v_fmac_f32_e32 v7, 0x2f800000, v6
	v_cmp_le_f32_e32 vcc, v7, v2
	v_cndmask_b32_e64 v2, 0, 1, vcc
	global_store_byte v1, v2, s[10:11]
.LBB24_58:                              ;   in Loop: Header=BB24_3 Depth=1
	s_or_b64 exec, exec, s[52:53]
	s_andn2_b64 s[2:3], s[8:9], exec
	s_and_b64 s[4:5], s[4:5], exec
	s_or_b64 s[6:7], s[6:7], exec
	s_andn2_b64 s[50:51], s[50:51], exec
	s_andn2_b64 s[48:49], s[48:49], exec
	;; [unrolled: 1-line block ×3, first 2 shown]
	s_or_b64 s[8:9], s[2:3], s[4:5]
.LBB24_59:                              ;   in Loop: Header=BB24_3 Depth=1
	s_or_b64 exec, exec, s[44:45]
	s_andn2_b64 s[4:5], s[42:43], exec
	s_and_b64 s[6:7], s[6:7], exec
	s_or_b64 s[42:43], s[4:5], s[6:7]
	s_andn2_b64 s[4:5], s[40:41], exec
	s_and_b64 s[6:7], s[50:51], exec
	s_or_b64 s[40:41], s[4:5], s[6:7]
	;; [unrolled: 3-line block ×3, first 2 shown]
	s_andn2_b64 s[4:5], s[36:37], exec
	s_and_b64 s[6:7], s[46:47], exec
	s_mov_b64 s[2:3], -1
	s_or_b64 s[36:37], s[4:5], s[6:7]
	s_and_saveexec_b64 s[4:5], s[8:9]
	s_cbranch_execz .LBB24_2
; %bb.60:                               ;   in Loop: Header=BB24_3 Depth=1
	v_add_u32_e32 v28, s63, v28
	v_cmp_le_u32_e32 vcc, s33, v28
	s_andn2_b64 s[42:43], s[42:43], exec
	s_andn2_b64 s[40:41], s[40:41], exec
	;; [unrolled: 1-line block ×4, first 2 shown]
	s_orn2_b64 s[2:3], vcc, exec
	s_branch .LBB24_2
.LBB24_61:
	s_or_b64 exec, exec, s[26:27]
	s_xor_b64 s[6:7], s[34:35], -1
	s_xor_b64 s[8:9], s[30:31], -1
	;; [unrolled: 1-line block ×3, first 2 shown]
	s_mov_b64 s[2:3], 0
	s_and_saveexec_b64 s[4:5], s[0:1]
	s_xor_b64 s[0:1], exec, s[4:5]
	s_cbranch_execnz .LBB24_66
; %bb.62:
	s_andn2_saveexec_b64 s[0:1], s[0:1]
	s_cbranch_execnz .LBB24_74
.LBB24_63:
	s_or_b64 exec, exec, s[0:1]
	s_and_b64 exec, exec, s[2:3]
.LBB24_64:
	; divergent unreachable
.LBB24_65:
	s_endpgm
.LBB24_66:
	s_mov_b64 s[4:5], 0
	s_and_saveexec_b64 s[2:3], s[8:9]
	s_xor_b64 s[2:3], exec, s[2:3]
	s_cbranch_execz .LBB24_72
; %bb.67:
	s_and_saveexec_b64 s[8:9], s[6:7]
	s_xor_b64 s[6:7], exec, s[8:9]
	s_cbranch_execz .LBB24_70
; %bb.68:
	s_and_saveexec_b64 s[8:9], s[20:21]
	s_xor_b64 s[8:9], exec, s[8:9]
	s_cbranch_execnz .LBB24_77
.LBB24_69:
	s_or_b64 exec, exec, s[8:9]
	s_and_b64 s[4:5], s[4:5], exec
.LBB24_70:
	s_andn2_saveexec_b64 s[6:7], s[6:7]
	s_cbranch_execnz .LBB24_76
.LBB24_71:
	s_or_b64 exec, exec, s[6:7]
	s_and_b64 s[4:5], s[4:5], exec
.LBB24_72:
	s_andn2_saveexec_b64 s[2:3], s[2:3]
	s_cbranch_execnz .LBB24_75
.LBB24_73:
	s_or_b64 exec, exec, s[2:3]
	s_and_b64 s[2:3], s[4:5], exec
	s_andn2_saveexec_b64 s[0:1], s[0:1]
	s_cbranch_execz .LBB24_63
.LBB24_74:
	s_or_b64 s[2:3], s[2:3], exec
	s_trap 2
	s_or_b64 exec, exec, s[0:1]
	s_and_b64 exec, exec, s[2:3]
	s_cbranch_execnz .LBB24_64
	s_branch .LBB24_65
.LBB24_75:
	s_or_b64 s[4:5], s[4:5], exec
	s_trap 2
	s_branch .LBB24_73
.LBB24_76:
	s_trap 2
	s_or_b64 s[4:5], s[4:5], exec
	s_branch .LBB24_71
.LBB24_77:
	s_mov_b64 s[4:5], exec
	s_trap 2
	s_branch .LBB24_69
	.section	.rodata,"a",@progbits
	.p2align	6, 0x0
	.amdhsa_kernel _ZN2at4cuda12_GLOBAL__N_121kernelPointwiseApply2IZNS_6native9templates4cuda28bernoulli_tensor_cuda_kernelIafEEvRKNS_10TensorBaseES9_NS_15PhiloxCudaStateEEUliRaSB_SB_SB_RKfSD_SD_SD_E_aSC_jLi1ELin1ELi4ELi512ELi2EEEvNS0_6detail10TensorInfoIT0_T2_EENSG_IT1_SI_EESI_T_
		.amdhsa_group_segment_fixed_size 0
		.amdhsa_private_segment_fixed_size 0
		.amdhsa_kernarg_size 728
		.amdhsa_user_sgpr_count 6
		.amdhsa_user_sgpr_private_segment_buffer 1
		.amdhsa_user_sgpr_dispatch_ptr 0
		.amdhsa_user_sgpr_queue_ptr 0
		.amdhsa_user_sgpr_kernarg_segment_ptr 1
		.amdhsa_user_sgpr_dispatch_id 0
		.amdhsa_user_sgpr_flat_scratch_init 0
		.amdhsa_user_sgpr_kernarg_preload_length 0
		.amdhsa_user_sgpr_kernarg_preload_offset 0
		.amdhsa_user_sgpr_private_segment_size 0
		.amdhsa_uses_dynamic_stack 0
		.amdhsa_system_sgpr_private_segment_wavefront_offset 0
		.amdhsa_system_sgpr_workgroup_id_x 1
		.amdhsa_system_sgpr_workgroup_id_y 0
		.amdhsa_system_sgpr_workgroup_id_z 0
		.amdhsa_system_sgpr_workgroup_info 0
		.amdhsa_system_vgpr_workitem_id 0
		.amdhsa_next_free_vgpr 51
		.amdhsa_next_free_sgpr 67
		.amdhsa_accum_offset 52
		.amdhsa_reserve_vcc 1
		.amdhsa_reserve_flat_scratch 0
		.amdhsa_float_round_mode_32 0
		.amdhsa_float_round_mode_16_64 0
		.amdhsa_float_denorm_mode_32 3
		.amdhsa_float_denorm_mode_16_64 3
		.amdhsa_dx10_clamp 1
		.amdhsa_ieee_mode 1
		.amdhsa_fp16_overflow 0
		.amdhsa_tg_split 0
		.amdhsa_exception_fp_ieee_invalid_op 0
		.amdhsa_exception_fp_denorm_src 0
		.amdhsa_exception_fp_ieee_div_zero 0
		.amdhsa_exception_fp_ieee_overflow 0
		.amdhsa_exception_fp_ieee_underflow 0
		.amdhsa_exception_fp_ieee_inexact 0
		.amdhsa_exception_int_div_zero 0
	.end_amdhsa_kernel
	.section	.text._ZN2at4cuda12_GLOBAL__N_121kernelPointwiseApply2IZNS_6native9templates4cuda28bernoulli_tensor_cuda_kernelIafEEvRKNS_10TensorBaseES9_NS_15PhiloxCudaStateEEUliRaSB_SB_SB_RKfSD_SD_SD_E_aSC_jLi1ELin1ELi4ELi512ELi2EEEvNS0_6detail10TensorInfoIT0_T2_EENSG_IT1_SI_EESI_T_,"axG",@progbits,_ZN2at4cuda12_GLOBAL__N_121kernelPointwiseApply2IZNS_6native9templates4cuda28bernoulli_tensor_cuda_kernelIafEEvRKNS_10TensorBaseES9_NS_15PhiloxCudaStateEEUliRaSB_SB_SB_RKfSD_SD_SD_E_aSC_jLi1ELin1ELi4ELi512ELi2EEEvNS0_6detail10TensorInfoIT0_T2_EENSG_IT1_SI_EESI_T_,comdat
.Lfunc_end24:
	.size	_ZN2at4cuda12_GLOBAL__N_121kernelPointwiseApply2IZNS_6native9templates4cuda28bernoulli_tensor_cuda_kernelIafEEvRKNS_10TensorBaseES9_NS_15PhiloxCudaStateEEUliRaSB_SB_SB_RKfSD_SD_SD_E_aSC_jLi1ELin1ELi4ELi512ELi2EEEvNS0_6detail10TensorInfoIT0_T2_EENSG_IT1_SI_EESI_T_, .Lfunc_end24-_ZN2at4cuda12_GLOBAL__N_121kernelPointwiseApply2IZNS_6native9templates4cuda28bernoulli_tensor_cuda_kernelIafEEvRKNS_10TensorBaseES9_NS_15PhiloxCudaStateEEUliRaSB_SB_SB_RKfSD_SD_SD_E_aSC_jLi1ELin1ELi4ELi512ELi2EEEvNS0_6detail10TensorInfoIT0_T2_EENSG_IT1_SI_EESI_T_
                                        ; -- End function
	.section	.AMDGPU.csdata,"",@progbits
; Kernel info:
; codeLenInByte = 3432
; NumSgprs: 71
; NumVgprs: 51
; NumAgprs: 0
; TotalNumVgprs: 51
; ScratchSize: 0
; MemoryBound: 0
; FloatMode: 240
; IeeeMode: 1
; LDSByteSize: 0 bytes/workgroup (compile time only)
; SGPRBlocks: 8
; VGPRBlocks: 6
; NumSGPRsForWavesPerEU: 71
; NumVGPRsForWavesPerEU: 51
; AccumOffset: 52
; Occupancy: 8
; WaveLimiterHint : 1
; COMPUTE_PGM_RSRC2:SCRATCH_EN: 0
; COMPUTE_PGM_RSRC2:USER_SGPR: 6
; COMPUTE_PGM_RSRC2:TRAP_HANDLER: 0
; COMPUTE_PGM_RSRC2:TGID_X_EN: 1
; COMPUTE_PGM_RSRC2:TGID_Y_EN: 0
; COMPUTE_PGM_RSRC2:TGID_Z_EN: 0
; COMPUTE_PGM_RSRC2:TIDIG_COMP_CNT: 0
; COMPUTE_PGM_RSRC3_GFX90A:ACCUM_OFFSET: 12
; COMPUTE_PGM_RSRC3_GFX90A:TG_SPLIT: 0
	.section	.text._ZN2at4cuda12_GLOBAL__N_121kernelPointwiseApply2IZNS_6native9templates4cuda28bernoulli_tensor_cuda_kernelIafEEvRKNS_10TensorBaseES9_NS_15PhiloxCudaStateEEUliRaSB_SB_SB_RKfSD_SD_SD_E_aSC_jLi2ELi1ELi4ELi512ELi2EEEvNS0_6detail10TensorInfoIT0_T2_EENSG_IT1_SI_EESI_T_,"axG",@progbits,_ZN2at4cuda12_GLOBAL__N_121kernelPointwiseApply2IZNS_6native9templates4cuda28bernoulli_tensor_cuda_kernelIafEEvRKNS_10TensorBaseES9_NS_15PhiloxCudaStateEEUliRaSB_SB_SB_RKfSD_SD_SD_E_aSC_jLi2ELi1ELi4ELi512ELi2EEEvNS0_6detail10TensorInfoIT0_T2_EENSG_IT1_SI_EESI_T_,comdat
	.globl	_ZN2at4cuda12_GLOBAL__N_121kernelPointwiseApply2IZNS_6native9templates4cuda28bernoulli_tensor_cuda_kernelIafEEvRKNS_10TensorBaseES9_NS_15PhiloxCudaStateEEUliRaSB_SB_SB_RKfSD_SD_SD_E_aSC_jLi2ELi1ELi4ELi512ELi2EEEvNS0_6detail10TensorInfoIT0_T2_EENSG_IT1_SI_EESI_T_ ; -- Begin function _ZN2at4cuda12_GLOBAL__N_121kernelPointwiseApply2IZNS_6native9templates4cuda28bernoulli_tensor_cuda_kernelIafEEvRKNS_10TensorBaseES9_NS_15PhiloxCudaStateEEUliRaSB_SB_SB_RKfSD_SD_SD_E_aSC_jLi2ELi1ELi4ELi512ELi2EEEvNS0_6detail10TensorInfoIT0_T2_EENSG_IT1_SI_EESI_T_
	.p2align	8
	.type	_ZN2at4cuda12_GLOBAL__N_121kernelPointwiseApply2IZNS_6native9templates4cuda28bernoulli_tensor_cuda_kernelIafEEvRKNS_10TensorBaseES9_NS_15PhiloxCudaStateEEUliRaSB_SB_SB_RKfSD_SD_SD_E_aSC_jLi2ELi1ELi4ELi512ELi2EEEvNS0_6detail10TensorInfoIT0_T2_EENSG_IT1_SI_EESI_T_,@function
_ZN2at4cuda12_GLOBAL__N_121kernelPointwiseApply2IZNS_6native9templates4cuda28bernoulli_tensor_cuda_kernelIafEEvRKNS_10TensorBaseES9_NS_15PhiloxCudaStateEEUliRaSB_SB_SB_RKfSD_SD_SD_E_aSC_jLi2ELi1ELi4ELi512ELi2EEEvNS0_6detail10TensorInfoIT0_T2_EENSG_IT1_SI_EESI_T_: ; @_ZN2at4cuda12_GLOBAL__N_121kernelPointwiseApply2IZNS_6native9templates4cuda28bernoulli_tensor_cuda_kernelIafEEvRKNS_10TensorBaseES9_NS_15PhiloxCudaStateEEUliRaSB_SB_SB_RKfSD_SD_SD_E_aSC_jLi2ELi1ELi4ELi512ELi2EEEvNS0_6detail10TensorInfoIT0_T2_EENSG_IT1_SI_EESI_T_
; %bb.0:
	s_load_dword s2, s[4:5], 0x1e4
	s_load_dword s33, s[4:5], 0x1b0
	s_add_u32 s0, s4, 0x1d8
	s_addc_u32 s1, s5, 0
	s_waitcnt lgkmcnt(0)
	s_and_b32 s2, s2, 0xffff
	s_mul_i32 s6, s6, s2
	v_add_u32_e32 v1, s6, v0
	v_lshlrev_b32_e32 v0, 2, v1
	v_cmp_gt_u32_e32 vcc, s33, v0
	s_and_saveexec_b64 s[6:7], vcc
	s_cbranch_execz .LBB25_51
; %bb.1:
	s_load_dwordx2 s[12:13], s[4:5], 0x0
	s_load_dword s56, s[4:5], 0xc
	s_load_dwordx2 s[14:15], s[4:5], 0x6c
	s_load_dwordx2 s[16:17], s[4:5], 0xd8
	s_load_dword s3, s[0:1], 0x0
	s_load_dwordx2 s[18:19], s[4:5], 0x1c8
	s_load_dword s6, s[4:5], 0x1d0
	s_load_dword s7, s[4:5], 0x144
	s_load_dwordx4 s[8:11], s[4:5], 0x1b8
	s_waitcnt lgkmcnt(0)
	v_cvt_f32_u32_e32 v2, s56
	s_mov_b32 s57, 0xcd9e8d57
	s_bitcmp1_b32 s6, 0
	s_cselect_b64 s[22:23], -1, 0
	v_rcp_iflag_f32_e32 v4, v2
	v_mad_u64_u32 v[2:3], s[0:1], v1, s57, 0
	s_sub_i32 s60, 0, s56
	v_mul_f32_e32 v4, 0x4f7ffffe, v4
	v_cvt_u32_f32_e32 v4, v4
	v_mov_b32_e32 v6, v3
	s_mul_i32 s3, s3, s2
	s_lshl_b32 s59, s3, 2
	v_mul_lo_u32 v3, s60, v4
	v_mul_hi_u32 v3, v4, v3
	v_add_u32_e32 v3, v4, v3
	v_add_u32_e32 v4, 2, v0
	v_mul_lo_u32 v32, v0, s7
	v_mul_lo_u32 v34, s7, v4
	v_add_u32_e32 v4, 3, v0
	s_mov_b32 s58, 0
	v_mov_b32_e32 v5, 0
	v_sub_u32_e32 v7, s33, v0
	v_add_u32_e32 v33, s7, v32
	s_mul_i32 s61, s59, s7
	v_mul_lo_u32 v35, s7, v4
	s_mov_b64 s[24:25], 0
	s_mov_b32 s62, 0xd2511f53
	s_mov_b32 s63, 0xf1bbcdc8
                                        ; implicit-def: $sgpr26_sgpr27
                                        ; implicit-def: $sgpr28_sgpr29
                                        ; implicit-def: $sgpr30_sgpr31
                                        ; implicit-def: $sgpr20_sgpr21
                                        ; implicit-def: $sgpr34_sgpr35
                                        ; implicit-def: $sgpr36_sgpr37
                                        ; implicit-def: $sgpr38_sgpr39
                                        ; implicit-def: $sgpr40_sgpr41
	s_branch .LBB25_3
.LBB25_2:                               ;   in Loop: Header=BB25_3 Depth=1
	s_or_b64 exec, exec, s[2:3]
	s_and_b64 s[0:1], exec, s[0:1]
	s_or_b64 s[24:25], s[0:1], s[24:25]
	s_andn2_b64 s[0:1], s[20:21], exec
	s_and_b64 s[2:3], s[40:41], exec
	s_or_b64 s[20:21], s[0:1], s[2:3]
	s_andn2_b64 s[0:1], s[30:31], exec
	s_and_b64 s[2:3], s[38:39], exec
	;; [unrolled: 3-line block ×4, first 2 shown]
	s_or_b64 s[26:27], s[0:1], s[2:3]
	s_andn2_b64 exec, exec, s[24:25]
	s_cbranch_execz .LBB25_47
.LBB25_3:                               ; =>This Inner Loop Header: Depth=1
	v_pk_mov_b32 v[10:11], 0, 0
	v_cmp_lt_i32_e64 s[0:1], 0, v7
	v_pk_mov_b32 v[8:9], v[10:11], v[10:11] op_sel:[0,1]
	s_and_saveexec_b64 s[2:3], s[0:1]
	s_cbranch_execz .LBB25_5
; %bb.4:                                ;   in Loop: Header=BB25_3 Depth=1
	s_waitcnt vmcnt(0)
	v_mul_hi_u32 v4, v3, v0
	v_not_b32_e32 v12, v4
	v_mad_u64_u32 v[8:9], s[4:5], s60, v4, v[0:1]
	v_add_u32_e32 v9, 1, v4
	v_cmp_le_u32_e32 vcc, s56, v8
	v_mad_u64_u32 v[12:13], s[4:5], s56, v12, v[0:1]
	v_cndmask_b32_e32 v4, v4, v9, vcc
	v_cndmask_b32_e32 v8, v8, v12, vcc
	v_add_u32_e32 v9, 1, v4
	v_cmp_le_u32_e32 vcc, s56, v8
	v_cndmask_b32_e32 v12, v4, v9, vcc
	v_mad_u64_u32 v[8:9], s[4:5], s60, v12, v[0:1]
	v_mul_lo_u32 v4, v8, s15
	v_mad_u64_u32 v[8:9], s[4:5], v12, s14, v[4:5]
	v_mov_b32_e32 v9, v5
.LBB25_5:                               ;   in Loop: Header=BB25_3 Depth=1
	s_or_b64 exec, exec, s[2:3]
	v_cmp_lt_i32_e64 s[2:3], 1, v7
	s_and_saveexec_b64 s[4:5], s[2:3]
	s_cbranch_execz .LBB25_7
; %bb.6:                                ;   in Loop: Header=BB25_3 Depth=1
	s_waitcnt vmcnt(0)
	v_add_u32_e32 v4, 1, v0
	v_mul_hi_u32 v10, v4, v3
	v_mul_lo_u32 v11, v10, s56
	v_sub_u32_e32 v11, v4, v11
	v_add_u32_e32 v12, 1, v10
	v_cmp_le_u32_e32 vcc, s56, v11
	v_cndmask_b32_e32 v10, v10, v12, vcc
	v_subrev_u32_e32 v12, s56, v11
	v_cndmask_b32_e32 v11, v11, v12, vcc
	v_add_u32_e32 v12, 1, v10
	v_cmp_le_u32_e32 vcc, s56, v11
	v_cndmask_b32_e32 v10, v10, v12, vcc
	v_mul_lo_u32 v11, v10, s56
	v_sub_u32_e32 v4, v4, v11
	v_mul_lo_u32 v4, v4, s15
	v_mad_u64_u32 v[10:11], s[6:7], v10, s14, v[4:5]
	v_mov_b32_e32 v11, v5
.LBB25_7:                               ;   in Loop: Header=BB25_3 Depth=1
	s_or_b64 exec, exec, s[4:5]
	v_pk_mov_b32 v[16:17], 0, 0
	v_cmp_lt_i32_e64 s[4:5], 2, v7
	v_pk_mov_b32 v[14:15], v[16:17], v[16:17] op_sel:[0,1]
	s_and_saveexec_b64 s[6:7], s[4:5]
	s_cbranch_execz .LBB25_9
; %bb.8:                                ;   in Loop: Header=BB25_3 Depth=1
	s_waitcnt vmcnt(0)
	v_add_u32_e32 v4, 2, v0
	v_mul_hi_u32 v12, v4, v3
	v_mul_lo_u32 v13, v12, s56
	v_sub_u32_e32 v13, v4, v13
	v_add_u32_e32 v14, 1, v12
	v_cmp_le_u32_e32 vcc, s56, v13
	v_cndmask_b32_e32 v12, v12, v14, vcc
	v_subrev_u32_e32 v14, s56, v13
	v_cndmask_b32_e32 v13, v13, v14, vcc
	v_add_u32_e32 v14, 1, v12
	v_cmp_le_u32_e32 vcc, s56, v13
	v_cndmask_b32_e32 v12, v12, v14, vcc
	v_mul_lo_u32 v13, v12, s56
	v_sub_u32_e32 v4, v4, v13
	v_mul_lo_u32 v4, v4, s15
	v_mad_u64_u32 v[14:15], s[42:43], v12, s14, v[4:5]
	v_mov_b32_e32 v15, v5
.LBB25_9:                               ;   in Loop: Header=BB25_3 Depth=1
	s_or_b64 exec, exec, s[6:7]
	v_cmp_lt_i32_e32 vcc, 3, v7
	s_and_saveexec_b64 s[42:43], vcc
	s_cbranch_execz .LBB25_11
; %bb.10:                               ;   in Loop: Header=BB25_3 Depth=1
	s_waitcnt vmcnt(0)
	v_add_u32_e32 v4, 3, v0
	v_mul_hi_u32 v12, v4, v3
	v_mul_lo_u32 v13, v12, s56
	v_sub_u32_e32 v13, v4, v13
	v_add_u32_e32 v16, 1, v12
	v_cmp_le_u32_e64 s[6:7], s56, v13
	v_cndmask_b32_e64 v12, v12, v16, s[6:7]
	v_subrev_u32_e32 v16, s56, v13
	v_cndmask_b32_e64 v13, v13, v16, s[6:7]
	v_add_u32_e32 v16, 1, v12
	v_cmp_le_u32_e64 s[6:7], s56, v13
	v_cndmask_b32_e64 v12, v12, v16, s[6:7]
	v_mul_lo_u32 v13, v12, s56
	v_sub_u32_e32 v4, v4, v13
	v_mul_lo_u32 v4, v4, s15
	v_mad_u64_u32 v[16:17], s[6:7], v12, s14, v[4:5]
	v_mov_b32_e32 v17, v5
.LBB25_11:                              ;   in Loop: Header=BB25_3 Depth=1
	s_or_b64 exec, exec, s[42:43]
	s_waitcnt vmcnt(0)
	v_add_u32_e32 v4, s58, v35
	v_cndmask_b32_e32 v4, 0, v4, vcc
	v_lshlrev_b64 v[12:13], 2, v[4:5]
	v_mov_b32_e32 v4, s17
	v_add_co_u32_e32 v12, vcc, s16, v12
	v_addc_co_u32_e32 v13, vcc, v4, v13, vcc
	global_load_dword v4, v[12:13], off
	s_andn2_b64 vcc, exec, s[22:23]
	v_pk_mov_b32 v[12:13], s[10:11], s[10:11] op_sel:[0,1]
	v_pk_mov_b32 v[18:19], s[8:9], s[8:9] op_sel:[0,1]
	s_cbranch_vccnz .LBB25_13
; %bb.12:                               ;   in Loop: Header=BB25_3 Depth=1
	v_pk_mov_b32 v[12:13], s[10:11], s[10:11] op_sel:[0,1]
	flat_load_dwordx2 v[12:13], v[12:13]
	v_pk_mov_b32 v[18:19], s[8:9], s[8:9] op_sel:[0,1]
	flat_load_dwordx2 v[18:19], v[18:19]
	v_mov_b32_e32 v20, s19
	s_waitcnt vmcnt(0) lgkmcnt(0)
	v_add_co_u32_e32 v12, vcc, s18, v12
	v_addc_co_u32_e32 v13, vcc, v13, v20, vcc
.LBB25_13:                              ;   in Loop: Header=BB25_3 Depth=1
	v_alignbit_b32 v28, v13, v12, 2
	v_lshrrev_b32_e32 v29, 2, v13
	v_xor_b32_e32 v20, v6, v18
	v_and_b32_e32 v36, 3, v12
	v_mad_u64_u32 v[12:13], s[6:7], v28, s62, 0
	v_xor_b32_e32 v20, v20, v29
	v_xor_b32_e32 v13, v13, v19
	v_add_u32_e32 v41, 0xbb67ae85, v19
	v_mad_u64_u32 v[20:21], s[6:7], v20, s62, 0
	v_mad_u64_u32 v[22:23], s[6:7], v13, s57, 0
	v_xor_b32_e32 v21, v41, v21
	v_add_u32_e32 v40, 0x9e3779b9, v18
	v_xor_b32_e32 v13, v2, v23
	v_xor_b32_e32 v21, v21, v12
	v_xor_b32_e32 v13, v13, v40
	v_add_u32_e32 v42, 0x3c6ef372, v18
	v_mad_u64_u32 v[24:25], s[6:7], v21, s57, 0
	v_add_u32_e32 v43, 0x76cf5d0a, v19
	v_mad_u64_u32 v[12:13], s[6:7], v13, s62, 0
	v_xor_b32_e32 v21, v42, v25
	v_xor_b32_e32 v21, v21, v22
	v_xor_b32_e32 v13, v43, v13
	v_xor_b32_e32 v13, v13, v20
	v_add_u32_e32 v45, 0x32370b8f, v19
	v_mad_u64_u32 v[20:21], s[6:7], v21, s62, 0
	v_add_u32_e32 v44, 0xdaa66d2b, v18
	v_mad_u64_u32 v[22:23], s[6:7], v13, s57, 0
	v_xor_b32_e32 v21, v45, v21
	;; [unrolled: 8-line block ×5, first 2 shown]
	v_xor_b32_e32 v21, v21, v22
	v_xor_b32_e32 v13, v51, v13
	;; [unrolled: 1-line block ×3, first 2 shown]
	v_add_u32_e32 v53, 0x1fd5c5a3, v19
	v_mad_u64_u32 v[20:21], s[6:7], v21, s62, 0
	v_xor_b32_e32 v21, v53, v21
	v_xor_b32_e32 v12, v21, v12
	v_add_u32_e32 v52, 0x5384540f, v18
	v_mad_u64_u32 v[26:27], s[6:7], v13, s57, 0
	v_add_co_u32_e32 v38, vcc, s63, v18
	v_mad_u64_u32 v[22:23], s[6:7], v12, s57, 0
	v_xor_b32_e32 v13, v52, v27
	v_xor_b32_e32 v12, v38, v23
	;; [unrolled: 1-line block ×4, first 2 shown]
	v_mad_u64_u32 v[24:25], s[6:7], v13, s62, 0
	v_mad_u64_u32 v[12:13], s[6:7], v12, s62, 0
	v_add_u32_e32 v39, 0x96a522ad, v19
	v_xor_b32_e32 v13, v13, v24
	v_xor_b32_e32 v37, v39, v13
	v_add_co_u32_e32 v13, vcc, 1, v28
	v_cndmask_b32_e64 v24, 0, 1, vcc
	v_addc_co_u32_e32 v30, vcc, 0, v29, vcc
	v_cmp_eq_u32_e32 vcc, 0, v30
	v_cndmask_b32_e32 v24, 0, v24, vcc
	v_add_u32_e32 v28, v24, v1
	v_cmp_eq_u32_e32 vcc, 0, v28
	v_mad_u64_u32 v[26:27], s[6:7], v13, s62, 0
	v_mad_u64_u32 v[28:29], s[6:7], v28, s57, 0
	v_add_u32_e32 v23, 0x8ff34781, v18
	v_cndmask_b32_e32 v24, 0, v24, vcc
	v_xor_b32_e32 v13, v29, v18
	v_xor_b32_e32 v18, v27, v19
	;; [unrolled: 1-line block ×4, first 2 shown]
	v_mad_u64_u32 v[30:31], s[6:7], v24, s57, 0
	v_add_u32_e32 v21, 0xdb3d7428, v19
	v_mad_u64_u32 v[18:19], s[6:7], v13, s62, 0
	v_xor_b32_e32 v13, v40, v31
	v_xor_b32_e32 v13, v13, v28
	v_xor_b32_e32 v19, v41, v19
	v_xor_b32_e32 v19, v19, v26
	v_mad_u64_u32 v[26:27], s[6:7], v13, s62, 0
	v_mad_u64_u32 v[28:29], s[6:7], v19, s57, 0
	v_xor_b32_e32 v19, v43, v27
	v_xor_b32_e32 v13, v42, v29
	v_xor_b32_e32 v24, v19, v18
	v_xor_b32_e32 v13, v13, v30
	v_mad_u64_u32 v[30:31], s[6:7], v24, s57, 0
	;; [unrolled: 6-line block ×7, first 2 shown]
	v_xor_b32_e32 v13, v21, v29
	v_xor_b32_e32 v13, v13, v18
	v_mad_u64_u32 v[30:31], s[6:7], v19, s57, 0
	v_mad_u64_u32 v[18:19], s[6:7], v13, s57, 0
	v_xor_b32_e32 v13, v19, v30
	v_xor_b32_e32 v13, v23, v13
	v_cmp_lt_i32_e32 vcc, 1, v36
                                        ; implicit-def: $vgpr27
	s_and_saveexec_b64 s[6:7], vcc
	s_xor_b64 s[6:7], exec, s[6:7]
	s_cbranch_execz .LBB25_19
; %bb.14:                               ;   in Loop: Header=BB25_3 Depth=1
	v_cmp_lt_i32_e32 vcc, 2, v36
                                        ; implicit-def: $vgpr27
	s_and_saveexec_b64 s[42:43], vcc
	s_xor_b64 s[42:43], exec, s[42:43]
; %bb.15:                               ;   in Loop: Header=BB25_3 Depth=1
	v_xor_b32_e32 v19, v38, v31
	v_xor_b32_e32 v19, v19, v26
	v_mul_hi_u32 v19, v19, s62
	v_xor_b32_e32 v19, v19, v28
	v_xor_b32_e32 v27, v39, v19
                                        ; implicit-def: $vgpr37
; %bb.16:                               ;   in Loop: Header=BB25_3 Depth=1
	s_andn2_saveexec_b64 s[42:43], s[42:43]
; %bb.17:                               ;   in Loop: Header=BB25_3 Depth=1
	v_mov_b32_e32 v27, v18
	v_mov_b32_e32 v18, v13
	;; [unrolled: 1-line block ×4, first 2 shown]
; %bb.18:                               ;   in Loop: Header=BB25_3 Depth=1
	s_or_b64 exec, exec, s[42:43]
                                        ; implicit-def: $vgpr20_vgpr21
                                        ; implicit-def: $vgpr22_vgpr23
                                        ; implicit-def: $vgpr36
                                        ; implicit-def: $vgpr37
                                        ; implicit-def: $vgpr24_vgpr25
                                        ; implicit-def: $vgpr21
                                        ; implicit-def: $vgpr23
.LBB25_19:                              ;   in Loop: Header=BB25_3 Depth=1
	s_andn2_saveexec_b64 s[6:7], s[6:7]
	s_cbranch_execz .LBB25_23
; %bb.20:                               ;   in Loop: Header=BB25_3 Depth=1
	v_xor_b32_e32 v18, v21, v25
	v_xor_b32_e32 v18, v18, v20
	v_mad_u64_u32 v[20:21], s[42:43], v18, s57, 0
	v_xor_b32_e32 v18, v21, v22
	v_xor_b32_e32 v19, v23, v18
	v_cmp_eq_u32_e32 vcc, 1, v36
	v_mov_b32_e32 v27, v12
	v_mov_b32_e32 v18, v37
	;; [unrolled: 1-line block ×3, first 2 shown]
	s_and_saveexec_b64 s[42:43], vcc
; %bb.21:                               ;   in Loop: Header=BB25_3 Depth=1
	v_mov_b32_e32 v27, v13
	v_mov_b32_e32 v18, v12
	;; [unrolled: 1-line block ×4, first 2 shown]
; %bb.22:                               ;   in Loop: Header=BB25_3 Depth=1
	s_or_b64 exec, exec, s[42:43]
	v_mov_b32_e32 v12, v19
	v_mov_b32_e32 v13, v21
.LBB25_23:                              ;   in Loop: Header=BB25_3 Depth=1
	s_or_b64 exec, exec, s[6:7]
	v_min_i32_e32 v19, 4, v7
	v_cmp_lt_i32_e32 vcc, 2, v19
	s_mov_b64 s[42:43], 0
	s_mov_b64 s[54:55], 0
                                        ; implicit-def: $sgpr6_sgpr7
                                        ; implicit-def: $sgpr44_sgpr45
                                        ; implicit-def: $sgpr46_sgpr47
	s_and_saveexec_b64 s[48:49], vcc
	s_xor_b64 s[48:49], exec, s[48:49]
	s_cbranch_execz .LBB25_33
; %bb.24:                               ;   in Loop: Header=BB25_3 Depth=1
	v_cmp_lt_i32_e32 vcc, 3, v19
	s_mov_b64 s[46:47], -1
                                        ; implicit-def: $sgpr6_sgpr7
                                        ; implicit-def: $sgpr50_sgpr51
	s_and_saveexec_b64 s[44:45], vcc
	s_cbranch_execz .LBB25_28
; %bb.25:                               ;   in Loop: Header=BB25_3 Depth=1
	s_waitcnt vmcnt(0)
	v_cmp_le_f32_e32 vcc, 0, v4
	v_cmp_ge_f32_e64 s[6:7], 1.0, v4
	s_and_b64 s[52:53], vcc, s[6:7]
	s_mov_b64 s[6:7], 0
	s_mov_b64 s[46:47], 0
	s_and_saveexec_b64 s[50:51], s[52:53]
	s_cbranch_execz .LBB25_27
; %bb.26:                               ;   in Loop: Header=BB25_3 Depth=1
	v_cvt_f32_u32_e32 v20, v27
	v_mov_b32_e32 v21, 0x2f800000
	v_mov_b32_e32 v22, s13
	v_add_co_u32_e32 v16, vcc, s12, v16
	v_fmac_f32_e32 v21, 0x2f800000, v20
	v_addc_co_u32_e32 v17, vcc, v22, v17, vcc
	v_cmp_le_f32_e32 vcc, v21, v4
	s_mov_b64 s[46:47], exec
	v_cndmask_b32_e64 v4, 0, 1, vcc
	global_store_byte v[16:17], v4, off
.LBB25_27:                              ;   in Loop: Header=BB25_3 Depth=1
	s_or_b64 exec, exec, s[50:51]
	s_mov_b64 s[50:51], -1
	s_orn2_b64 s[46:47], s[46:47], exec
.LBB25_28:                              ;   in Loop: Header=BB25_3 Depth=1
	s_or_b64 exec, exec, s[44:45]
	s_mov_b64 s[52:53], 0
	s_mov_b64 s[54:55], s[6:7]
	s_and_saveexec_b64 s[44:45], s[46:47]
	s_cbranch_execz .LBB25_32
; %bb.29:                               ;   in Loop: Header=BB25_3 Depth=1
	s_waitcnt vmcnt(0)
	v_add_u32_e32 v4, s58, v34
	v_cndmask_b32_e64 v4, 0, v4, s[4:5]
	v_lshlrev_b64 v[16:17], 2, v[4:5]
	v_mov_b32_e32 v4, s17
	v_add_co_u32_e32 v16, vcc, s16, v16
	v_addc_co_u32_e32 v17, vcc, v4, v17, vcc
	global_load_dword v4, v[16:17], off
	s_waitcnt vmcnt(0)
	v_cmp_le_f32_e32 vcc, 0, v4
	v_cmp_ge_f32_e64 s[4:5], 1.0, v4
	s_and_b64 s[46:47], vcc, s[4:5]
	s_mov_b64 s[4:5], 0
	s_and_saveexec_b64 s[52:53], s[46:47]
	s_xor_b64 s[46:47], exec, s[52:53]
	s_cbranch_execz .LBB25_31
; %bb.30:                               ;   in Loop: Header=BB25_3 Depth=1
	v_cvt_f32_u32_e32 v16, v18
	v_mov_b32_e32 v17, 0x2f800000
	v_mov_b32_e32 v18, s13
	v_add_co_u32_e32 v14, vcc, s12, v14
	v_fmac_f32_e32 v17, 0x2f800000, v16
	v_addc_co_u32_e32 v15, vcc, v18, v15, vcc
	v_cmp_le_f32_e32 vcc, v17, v4
	v_cndmask_b32_e64 v4, 0, 1, vcc
	s_mov_b64 s[4:5], exec
	global_store_byte v[14:15], v4, off
.LBB25_31:                              ;   in Loop: Header=BB25_3 Depth=1
	s_or_b64 exec, exec, s[46:47]
	s_andn2_b64 s[54:55], s[6:7], exec
	s_or_b64 s[6:7], s[6:7], exec
	s_andn2_b64 s[50:51], s[50:51], exec
	s_and_b64 s[52:53], s[4:5], exec
.LBB25_32:                              ;   in Loop: Header=BB25_3 Depth=1
	s_or_b64 exec, exec, s[44:45]
	s_and_b64 s[46:47], s[54:55], exec
	s_and_b64 s[44:45], s[6:7], exec
	s_and_b64 s[6:7], s[50:51], exec
	s_and_b64 s[54:55], s[52:53], exec
.LBB25_33:                              ;   in Loop: Header=BB25_3 Depth=1
	s_andn2_saveexec_b64 s[4:5], s[48:49]
; %bb.34:                               ;   in Loop: Header=BB25_3 Depth=1
	v_cmp_lt_i32_e32 vcc, 1, v19
	s_andn2_b64 s[48:49], s[54:55], exec
	s_and_b64 s[50:51], vcc, exec
	s_mov_b64 s[42:43], exec
	s_andn2_b64 s[46:47], s[46:47], exec
	s_andn2_b64 s[44:45], s[44:45], exec
	;; [unrolled: 1-line block ×3, first 2 shown]
	s_or_b64 s[54:55], s[48:49], s[50:51]
; %bb.35:                               ;   in Loop: Header=BB25_3 Depth=1
	s_or_b64 exec, exec, s[4:5]
	s_mov_b64 s[4:5], 0
	s_mov_b64 s[50:51], 0
	;; [unrolled: 1-line block ×3, first 2 shown]
	s_and_saveexec_b64 s[52:53], s[54:55]
	s_cbranch_execnz .LBB25_38
; %bb.36:                               ;   in Loop: Header=BB25_3 Depth=1
	s_or_b64 exec, exec, s[52:53]
	s_and_saveexec_b64 s[2:3], s[42:43]
	s_cbranch_execnz .LBB25_41
.LBB25_37:                              ;   in Loop: Header=BB25_3 Depth=1
	s_or_b64 exec, exec, s[2:3]
	s_and_saveexec_b64 s[2:3], s[50:51]
	s_cbranch_execnz .LBB25_42
	s_branch .LBB25_45
.LBB25_38:                              ;   in Loop: Header=BB25_3 Depth=1
	s_waitcnt vmcnt(0)
	v_add_u32_e32 v4, s58, v33
	v_cndmask_b32_e64 v4, 0, v4, s[2:3]
	v_lshlrev_b64 v[14:15], 2, v[4:5]
	v_mov_b32_e32 v4, s17
	v_add_co_u32_e32 v14, vcc, s16, v14
	v_addc_co_u32_e32 v15, vcc, v4, v15, vcc
	global_load_dword v4, v[14:15], off
	s_waitcnt vmcnt(0)
	v_cmp_le_f32_e32 vcc, 0, v4
	v_cmp_ge_f32_e64 s[2:3], 1.0, v4
	s_and_b64 s[48:49], vcc, s[2:3]
	s_mov_b64 s[2:3], 0
	s_and_saveexec_b64 s[50:51], s[48:49]
	s_xor_b64 s[48:49], exec, s[50:51]
	s_cbranch_execz .LBB25_40
; %bb.39:                               ;   in Loop: Header=BB25_3 Depth=1
	v_cvt_f32_u32_e32 v13, v13
	v_mov_b32_e32 v14, 0x2f800000
	v_mov_b32_e32 v15, s13
	v_add_co_u32_e32 v10, vcc, s12, v10
	v_fmac_f32_e32 v14, 0x2f800000, v13
	v_addc_co_u32_e32 v11, vcc, v15, v11, vcc
	v_cmp_le_f32_e32 vcc, v14, v4
	v_cndmask_b32_e64 v4, 0, 1, vcc
	s_mov_b64 s[2:3], exec
	global_store_byte v[10:11], v4, off
.LBB25_40:                              ;   in Loop: Header=BB25_3 Depth=1
	s_or_b64 exec, exec, s[48:49]
	s_andn2_b64 s[48:49], s[46:47], exec
	s_or_b64 s[46:47], s[46:47], exec
	s_andn2_b64 s[44:45], s[44:45], exec
	s_andn2_b64 s[6:7], s[6:7], exec
	s_and_b64 s[50:51], s[2:3], exec
	s_andn2_b64 s[42:43], s[42:43], exec
	s_or_b64 exec, exec, s[52:53]
	s_and_saveexec_b64 s[2:3], s[42:43]
	s_cbranch_execz .LBB25_37
.LBB25_41:                              ;   in Loop: Header=BB25_3 Depth=1
	v_cmp_eq_u32_e32 vcc, 1, v19
	s_andn2_b64 s[42:43], s[50:51], exec
	s_and_b64 s[50:51], vcc, exec
	s_mov_b64 s[4:5], exec
	s_andn2_b64 s[48:49], s[48:49], exec
	s_andn2_b64 s[46:47], s[46:47], exec
	;; [unrolled: 1-line block ×4, first 2 shown]
	s_or_b64 s[50:51], s[42:43], s[50:51]
	s_or_b64 exec, exec, s[2:3]
	s_and_saveexec_b64 s[2:3], s[50:51]
	s_cbranch_execz .LBB25_45
.LBB25_42:                              ;   in Loop: Header=BB25_3 Depth=1
	s_waitcnt vmcnt(0)
	v_add_u32_e32 v4, s58, v32
	v_cndmask_b32_e64 v4, 0, v4, s[0:1]
	v_lshlrev_b64 v[10:11], 2, v[4:5]
	v_mov_b32_e32 v4, s17
	v_add_co_u32_e32 v10, vcc, s16, v10
	v_addc_co_u32_e32 v11, vcc, v4, v11, vcc
	global_load_dword v4, v[10:11], off
	s_waitcnt vmcnt(0)
	v_cmp_le_f32_e32 vcc, 0, v4
	v_cmp_ge_f32_e64 s[0:1], 1.0, v4
	s_and_b64 s[50:51], vcc, s[0:1]
	s_mov_b64 s[0:1], 0
	s_and_saveexec_b64 s[42:43], s[50:51]
	s_cbranch_execz .LBB25_44
; %bb.43:                               ;   in Loop: Header=BB25_3 Depth=1
	v_cvt_f32_u32_e32 v10, v12
	v_mov_b32_e32 v11, 0x2f800000
	v_mov_b32_e32 v12, s13
	v_add_co_u32_e32 v8, vcc, s12, v8
	v_fmac_f32_e32 v11, 0x2f800000, v10
	v_addc_co_u32_e32 v9, vcc, v12, v9, vcc
	v_cmp_le_f32_e32 vcc, v11, v4
	s_mov_b64 s[0:1], exec
	v_cndmask_b32_e64 v4, 0, 1, vcc
	global_store_byte v[8:9], v4, off
.LBB25_44:                              ;   in Loop: Header=BB25_3 Depth=1
	s_or_b64 exec, exec, s[42:43]
	s_andn2_b64 s[4:5], s[4:5], exec
	s_and_b64 s[0:1], s[0:1], exec
	s_or_b64 s[48:49], s[48:49], exec
	s_andn2_b64 s[46:47], s[46:47], exec
	s_andn2_b64 s[44:45], s[44:45], exec
	;; [unrolled: 1-line block ×3, first 2 shown]
	s_or_b64 s[4:5], s[4:5], s[0:1]
.LBB25_45:                              ;   in Loop: Header=BB25_3 Depth=1
	s_or_b64 exec, exec, s[2:3]
	s_andn2_b64 s[2:3], s[40:41], exec
	s_and_b64 s[40:41], s[48:49], exec
	s_or_b64 s[40:41], s[2:3], s[40:41]
	s_andn2_b64 s[2:3], s[38:39], exec
	s_and_b64 s[38:39], s[46:47], exec
	s_or_b64 s[38:39], s[2:3], s[38:39]
	;; [unrolled: 3-line block ×3, first 2 shown]
	s_andn2_b64 s[2:3], s[34:35], exec
	s_and_b64 s[6:7], s[6:7], exec
	s_mov_b64 s[0:1], -1
	s_or_b64 s[34:35], s[2:3], s[6:7]
	s_and_saveexec_b64 s[2:3], s[4:5]
	s_cbranch_execz .LBB25_2
; %bb.46:                               ;   in Loop: Header=BB25_3 Depth=1
	v_add_u32_e32 v0, s59, v0
	v_cmp_le_u32_e32 vcc, s33, v0
	v_subrev_u32_e32 v7, s59, v7
	s_add_i32 s58, s58, s61
	s_andn2_b64 s[40:41], s[40:41], exec
	s_andn2_b64 s[38:39], s[38:39], exec
	;; [unrolled: 1-line block ×4, first 2 shown]
	s_orn2_b64 s[0:1], vcc, exec
	s_branch .LBB25_2
.LBB25_47:
	s_or_b64 exec, exec, s[24:25]
	s_xor_b64 s[6:7], s[30:31], -1
	s_xor_b64 s[8:9], s[28:29], -1
	s_xor_b64 s[0:1], s[26:27], -1
	s_mov_b64 s[2:3], 0
	s_and_saveexec_b64 s[4:5], s[0:1]
	s_xor_b64 s[0:1], exec, s[4:5]
	s_cbranch_execnz .LBB25_52
; %bb.48:
	s_andn2_saveexec_b64 s[0:1], s[0:1]
	s_cbranch_execnz .LBB25_60
.LBB25_49:
	s_or_b64 exec, exec, s[0:1]
	s_and_b64 exec, exec, s[2:3]
.LBB25_50:
	; divergent unreachable
.LBB25_51:
	s_endpgm
.LBB25_52:
	s_mov_b64 s[4:5], 0
	s_and_saveexec_b64 s[2:3], s[8:9]
	s_xor_b64 s[2:3], exec, s[2:3]
	s_cbranch_execz .LBB25_58
; %bb.53:
	s_and_saveexec_b64 s[8:9], s[6:7]
	s_xor_b64 s[6:7], exec, s[8:9]
	s_cbranch_execz .LBB25_56
; %bb.54:
	s_and_saveexec_b64 s[8:9], s[20:21]
	s_xor_b64 s[8:9], exec, s[8:9]
	s_cbranch_execnz .LBB25_63
.LBB25_55:
	s_or_b64 exec, exec, s[8:9]
	s_and_b64 s[4:5], s[4:5], exec
.LBB25_56:
	s_andn2_saveexec_b64 s[6:7], s[6:7]
	s_cbranch_execnz .LBB25_62
.LBB25_57:
	s_or_b64 exec, exec, s[6:7]
	s_and_b64 s[4:5], s[4:5], exec
.LBB25_58:
	s_andn2_saveexec_b64 s[2:3], s[2:3]
	s_cbranch_execnz .LBB25_61
.LBB25_59:
	s_or_b64 exec, exec, s[2:3]
	s_and_b64 s[2:3], s[4:5], exec
	s_andn2_saveexec_b64 s[0:1], s[0:1]
	s_cbranch_execz .LBB25_49
.LBB25_60:
	s_or_b64 s[2:3], s[2:3], exec
	s_trap 2
	s_or_b64 exec, exec, s[0:1]
	s_and_b64 exec, exec, s[2:3]
	s_cbranch_execnz .LBB25_50
	s_branch .LBB25_51
.LBB25_61:
	s_or_b64 s[4:5], s[4:5], exec
	s_trap 2
	s_branch .LBB25_59
.LBB25_62:
	s_trap 2
	s_or_b64 s[4:5], s[4:5], exec
	s_branch .LBB25_57
.LBB25_63:
	s_mov_b64 s[4:5], exec
	s_trap 2
	s_branch .LBB25_55
	.section	.rodata,"a",@progbits
	.p2align	6, 0x0
	.amdhsa_kernel _ZN2at4cuda12_GLOBAL__N_121kernelPointwiseApply2IZNS_6native9templates4cuda28bernoulli_tensor_cuda_kernelIafEEvRKNS_10TensorBaseES9_NS_15PhiloxCudaStateEEUliRaSB_SB_SB_RKfSD_SD_SD_E_aSC_jLi2ELi1ELi4ELi512ELi2EEEvNS0_6detail10TensorInfoIT0_T2_EENSG_IT1_SI_EESI_T_
		.amdhsa_group_segment_fixed_size 0
		.amdhsa_private_segment_fixed_size 0
		.amdhsa_kernarg_size 728
		.amdhsa_user_sgpr_count 6
		.amdhsa_user_sgpr_private_segment_buffer 1
		.amdhsa_user_sgpr_dispatch_ptr 0
		.amdhsa_user_sgpr_queue_ptr 0
		.amdhsa_user_sgpr_kernarg_segment_ptr 1
		.amdhsa_user_sgpr_dispatch_id 0
		.amdhsa_user_sgpr_flat_scratch_init 0
		.amdhsa_user_sgpr_kernarg_preload_length 0
		.amdhsa_user_sgpr_kernarg_preload_offset 0
		.amdhsa_user_sgpr_private_segment_size 0
		.amdhsa_uses_dynamic_stack 0
		.amdhsa_system_sgpr_private_segment_wavefront_offset 0
		.amdhsa_system_sgpr_workgroup_id_x 1
		.amdhsa_system_sgpr_workgroup_id_y 0
		.amdhsa_system_sgpr_workgroup_id_z 0
		.amdhsa_system_sgpr_workgroup_info 0
		.amdhsa_system_vgpr_workitem_id 0
		.amdhsa_next_free_vgpr 54
		.amdhsa_next_free_sgpr 64
		.amdhsa_accum_offset 56
		.amdhsa_reserve_vcc 1
		.amdhsa_reserve_flat_scratch 0
		.amdhsa_float_round_mode_32 0
		.amdhsa_float_round_mode_16_64 0
		.amdhsa_float_denorm_mode_32 3
		.amdhsa_float_denorm_mode_16_64 3
		.amdhsa_dx10_clamp 1
		.amdhsa_ieee_mode 1
		.amdhsa_fp16_overflow 0
		.amdhsa_tg_split 0
		.amdhsa_exception_fp_ieee_invalid_op 0
		.amdhsa_exception_fp_denorm_src 0
		.amdhsa_exception_fp_ieee_div_zero 0
		.amdhsa_exception_fp_ieee_overflow 0
		.amdhsa_exception_fp_ieee_underflow 0
		.amdhsa_exception_fp_ieee_inexact 0
		.amdhsa_exception_int_div_zero 0
	.end_amdhsa_kernel
	.section	.text._ZN2at4cuda12_GLOBAL__N_121kernelPointwiseApply2IZNS_6native9templates4cuda28bernoulli_tensor_cuda_kernelIafEEvRKNS_10TensorBaseES9_NS_15PhiloxCudaStateEEUliRaSB_SB_SB_RKfSD_SD_SD_E_aSC_jLi2ELi1ELi4ELi512ELi2EEEvNS0_6detail10TensorInfoIT0_T2_EENSG_IT1_SI_EESI_T_,"axG",@progbits,_ZN2at4cuda12_GLOBAL__N_121kernelPointwiseApply2IZNS_6native9templates4cuda28bernoulli_tensor_cuda_kernelIafEEvRKNS_10TensorBaseES9_NS_15PhiloxCudaStateEEUliRaSB_SB_SB_RKfSD_SD_SD_E_aSC_jLi2ELi1ELi4ELi512ELi2EEEvNS0_6detail10TensorInfoIT0_T2_EENSG_IT1_SI_EESI_T_,comdat
.Lfunc_end25:
	.size	_ZN2at4cuda12_GLOBAL__N_121kernelPointwiseApply2IZNS_6native9templates4cuda28bernoulli_tensor_cuda_kernelIafEEvRKNS_10TensorBaseES9_NS_15PhiloxCudaStateEEUliRaSB_SB_SB_RKfSD_SD_SD_E_aSC_jLi2ELi1ELi4ELi512ELi2EEEvNS0_6detail10TensorInfoIT0_T2_EENSG_IT1_SI_EESI_T_, .Lfunc_end25-_ZN2at4cuda12_GLOBAL__N_121kernelPointwiseApply2IZNS_6native9templates4cuda28bernoulli_tensor_cuda_kernelIafEEvRKNS_10TensorBaseES9_NS_15PhiloxCudaStateEEUliRaSB_SB_SB_RKfSD_SD_SD_E_aSC_jLi2ELi1ELi4ELi512ELi2EEEvNS0_6detail10TensorInfoIT0_T2_EENSG_IT1_SI_EESI_T_
                                        ; -- End function
	.section	.AMDGPU.csdata,"",@progbits
; Kernel info:
; codeLenInByte = 3024
; NumSgprs: 68
; NumVgprs: 54
; NumAgprs: 0
; TotalNumVgprs: 54
; ScratchSize: 0
; MemoryBound: 0
; FloatMode: 240
; IeeeMode: 1
; LDSByteSize: 0 bytes/workgroup (compile time only)
; SGPRBlocks: 8
; VGPRBlocks: 6
; NumSGPRsForWavesPerEU: 68
; NumVGPRsForWavesPerEU: 54
; AccumOffset: 56
; Occupancy: 8
; WaveLimiterHint : 1
; COMPUTE_PGM_RSRC2:SCRATCH_EN: 0
; COMPUTE_PGM_RSRC2:USER_SGPR: 6
; COMPUTE_PGM_RSRC2:TRAP_HANDLER: 0
; COMPUTE_PGM_RSRC2:TGID_X_EN: 1
; COMPUTE_PGM_RSRC2:TGID_Y_EN: 0
; COMPUTE_PGM_RSRC2:TGID_Z_EN: 0
; COMPUTE_PGM_RSRC2:TIDIG_COMP_CNT: 0
; COMPUTE_PGM_RSRC3_GFX90A:ACCUM_OFFSET: 13
; COMPUTE_PGM_RSRC3_GFX90A:TG_SPLIT: 0
	.section	.text._ZN2at4cuda12_GLOBAL__N_121kernelPointwiseApply2IZNS_6native9templates4cuda28bernoulli_tensor_cuda_kernelIafEEvRKNS_10TensorBaseES9_NS_15PhiloxCudaStateEEUliRaSB_SB_SB_RKfSD_SD_SD_E_aSC_jLi2ELi2ELi4ELi512ELi2EEEvNS0_6detail10TensorInfoIT0_T2_EENSG_IT1_SI_EESI_T_,"axG",@progbits,_ZN2at4cuda12_GLOBAL__N_121kernelPointwiseApply2IZNS_6native9templates4cuda28bernoulli_tensor_cuda_kernelIafEEvRKNS_10TensorBaseES9_NS_15PhiloxCudaStateEEUliRaSB_SB_SB_RKfSD_SD_SD_E_aSC_jLi2ELi2ELi4ELi512ELi2EEEvNS0_6detail10TensorInfoIT0_T2_EENSG_IT1_SI_EESI_T_,comdat
	.globl	_ZN2at4cuda12_GLOBAL__N_121kernelPointwiseApply2IZNS_6native9templates4cuda28bernoulli_tensor_cuda_kernelIafEEvRKNS_10TensorBaseES9_NS_15PhiloxCudaStateEEUliRaSB_SB_SB_RKfSD_SD_SD_E_aSC_jLi2ELi2ELi4ELi512ELi2EEEvNS0_6detail10TensorInfoIT0_T2_EENSG_IT1_SI_EESI_T_ ; -- Begin function _ZN2at4cuda12_GLOBAL__N_121kernelPointwiseApply2IZNS_6native9templates4cuda28bernoulli_tensor_cuda_kernelIafEEvRKNS_10TensorBaseES9_NS_15PhiloxCudaStateEEUliRaSB_SB_SB_RKfSD_SD_SD_E_aSC_jLi2ELi2ELi4ELi512ELi2EEEvNS0_6detail10TensorInfoIT0_T2_EENSG_IT1_SI_EESI_T_
	.p2align	8
	.type	_ZN2at4cuda12_GLOBAL__N_121kernelPointwiseApply2IZNS_6native9templates4cuda28bernoulli_tensor_cuda_kernelIafEEvRKNS_10TensorBaseES9_NS_15PhiloxCudaStateEEUliRaSB_SB_SB_RKfSD_SD_SD_E_aSC_jLi2ELi2ELi4ELi512ELi2EEEvNS0_6detail10TensorInfoIT0_T2_EENSG_IT1_SI_EESI_T_,@function
_ZN2at4cuda12_GLOBAL__N_121kernelPointwiseApply2IZNS_6native9templates4cuda28bernoulli_tensor_cuda_kernelIafEEvRKNS_10TensorBaseES9_NS_15PhiloxCudaStateEEUliRaSB_SB_SB_RKfSD_SD_SD_E_aSC_jLi2ELi2ELi4ELi512ELi2EEEvNS0_6detail10TensorInfoIT0_T2_EENSG_IT1_SI_EESI_T_: ; @_ZN2at4cuda12_GLOBAL__N_121kernelPointwiseApply2IZNS_6native9templates4cuda28bernoulli_tensor_cuda_kernelIafEEvRKNS_10TensorBaseES9_NS_15PhiloxCudaStateEEUliRaSB_SB_SB_RKfSD_SD_SD_E_aSC_jLi2ELi2ELi4ELi512ELi2EEEvNS0_6detail10TensorInfoIT0_T2_EENSG_IT1_SI_EESI_T_
; %bb.0:
	s_load_dword s2, s[4:5], 0x1e4
	s_load_dword s33, s[4:5], 0x1b0
	s_add_u32 s0, s4, 0x1d8
	s_addc_u32 s1, s5, 0
	s_waitcnt lgkmcnt(0)
	s_and_b32 s18, s2, 0xffff
	s_mul_i32 s6, s6, s18
	v_add_u32_e32 v1, s6, v0
	v_lshlrev_b32_e32 v0, 2, v1
	v_cmp_gt_u32_e32 vcc, s33, v0
	s_and_saveexec_b64 s[2:3], vcc
	s_cbranch_execz .LBB26_59
; %bb.1:
	s_load_dwordx2 s[2:3], s[4:5], 0x0
	s_load_dword s54, s[4:5], 0xc
	s_load_dwordx2 s[6:7], s[4:5], 0x6c
	s_load_dwordx2 s[12:13], s[4:5], 0xd8
	s_load_dword s19, s[0:1], 0x0
	s_load_dword s20, s[4:5], 0x1d0
	;; [unrolled: 1-line block ×3, first 2 shown]
	s_load_dwordx2 s[14:15], s[4:5], 0x144
	s_load_dwordx2 s[16:17], s[4:5], 0x1c8
	s_load_dwordx4 s[8:11], s[4:5], 0x1b8
	s_waitcnt lgkmcnt(0)
	v_cvt_f32_u32_e32 v4, s54
	v_cvt_f32_u32_e32 v7, s55
	s_mov_b32 s56, 0xcd9e8d57
	v_mad_u64_u32 v[2:3], s[0:1], v1, s56, 0
	v_rcp_iflag_f32_e32 v4, v4
	v_mov_b32_e32 v6, v3
	s_bitcmp1_b32 s20, 0
	s_cselect_b64 s[4:5], -1, 0
	v_mul_f32_e32 v3, 0x4f7ffffe, v4
	v_rcp_iflag_f32_e32 v4, v7
	v_cvt_u32_f32_e32 v3, v3
	s_sub_i32 s58, 0, s54
	s_sub_i32 s59, 0, s55
	v_mul_f32_e32 v4, 0x4f7ffffe, v4
	v_cvt_u32_f32_e32 v4, v4
	v_mul_lo_u32 v7, s58, v3
	v_mul_hi_u32 v7, v3, v7
	v_add_u32_e32 v3, v3, v7
	v_mul_lo_u32 v7, s59, v4
	s_mul_i32 s19, s19, s18
	v_mul_hi_u32 v7, v4, v7
	v_mov_b32_e32 v5, 0
	s_lshl_b32 s57, s19, 2
	v_add_u32_e32 v7, v4, v7
	v_sub_u32_e32 v36, s33, v0
	s_mov_b64 s[20:21], 0
	s_mov_b32 s60, 0xd2511f53
	s_mov_b32 s61, 0xf1bbcdc8
                                        ; implicit-def: $sgpr22_sgpr23
                                        ; implicit-def: $sgpr24_sgpr25
                                        ; implicit-def: $sgpr26_sgpr27
                                        ; implicit-def: $sgpr18_sgpr19
                                        ; implicit-def: $sgpr28_sgpr29
                                        ; implicit-def: $sgpr30_sgpr31
                                        ; implicit-def: $sgpr34_sgpr35
                                        ; implicit-def: $sgpr36_sgpr37
	s_branch .LBB26_3
.LBB26_2:                               ;   in Loop: Header=BB26_3 Depth=1
	s_or_b64 exec, exec, s[38:39]
	s_and_b64 s[0:1], exec, s[0:1]
	s_or_b64 s[20:21], s[0:1], s[20:21]
	s_andn2_b64 s[0:1], s[18:19], exec
	s_and_b64 s[18:19], s[36:37], exec
	s_or_b64 s[18:19], s[0:1], s[18:19]
	s_andn2_b64 s[0:1], s[26:27], exec
	s_and_b64 s[26:27], s[34:35], exec
	;; [unrolled: 3-line block ×4, first 2 shown]
	s_or_b64 s[22:23], s[0:1], s[22:23]
	s_andn2_b64 exec, exec, s[20:21]
	s_cbranch_execz .LBB26_55
.LBB26_3:                               ; =>This Inner Loop Header: Depth=1
	v_cmp_lt_i32_e32 vcc, 0, v36
	v_mov_b32_e32 v8, 0
	s_and_saveexec_b64 s[38:39], vcc
	s_cbranch_execz .LBB26_5
; %bb.4:                                ;   in Loop: Header=BB26_3 Depth=1
	v_mul_hi_u32 v4, v3, v0
	v_not_b32_e32 v10, v4
	s_waitcnt vmcnt(0)
	v_mad_u64_u32 v[8:9], s[0:1], s58, v4, v[0:1]
	v_add_u32_e32 v9, 1, v4
	v_cmp_le_u32_e64 s[0:1], s54, v8
	v_mad_u64_u32 v[10:11], s[40:41], s54, v10, v[0:1]
	v_cndmask_b32_e64 v4, v4, v9, s[0:1]
	v_cndmask_b32_e64 v8, v8, v10, s[0:1]
	v_add_u32_e32 v9, 1, v4
	v_cmp_le_u32_e64 s[0:1], s54, v8
	v_cndmask_b32_e64 v10, v4, v9, s[0:1]
	v_mad_u64_u32 v[8:9], s[0:1], s58, v10, v[0:1]
	v_mul_lo_u32 v4, v8, s7
	v_mad_u64_u32 v[8:9], s[0:1], v10, s6, v[4:5]
.LBB26_5:                               ;   in Loop: Header=BB26_3 Depth=1
	s_or_b64 exec, exec, s[38:39]
	v_mov_b32_e32 v4, 0
	s_and_saveexec_b64 s[0:1], vcc
	s_cbranch_execz .LBB26_7
; %bb.6:                                ;   in Loop: Header=BB26_3 Depth=1
	v_mul_hi_u32 v4, v7, v0
	s_waitcnt vmcnt(0)
	v_not_b32_e32 v9, v4
	v_mad_u64_u32 v[10:11], s[38:39], s59, v4, v[0:1]
	v_add_u32_e32 v11, 1, v4
	v_cmp_le_u32_e32 vcc, s55, v10
	v_mad_u64_u32 v[12:13], s[38:39], s55, v9, v[0:1]
	v_cndmask_b32_e32 v4, v4, v11, vcc
	v_cndmask_b32_e32 v9, v10, v12, vcc
	v_add_u32_e32 v10, 1, v4
	v_cmp_le_u32_e32 vcc, s55, v9
	v_cndmask_b32_e32 v9, v4, v10, vcc
	v_mad_u64_u32 v[10:11], s[38:39], s59, v9, v[0:1]
	v_mul_lo_u32 v4, v10, s15
	v_mad_u64_u32 v[10:11], s[38:39], v9, s14, v[4:5]
	v_mov_b32_e32 v4, v10
.LBB26_7:                               ;   in Loop: Header=BB26_3 Depth=1
	s_or_b64 exec, exec, s[0:1]
	v_pk_mov_b32 v[12:13], 0, 0
	s_waitcnt vmcnt(0)
	v_add_u32_e32 v9, 1, v0
	v_cmp_lt_i32_e32 vcc, 1, v36
	v_pk_mov_b32 v[10:11], v[12:13], v[12:13] op_sel:[0,1]
	s_and_saveexec_b64 s[38:39], vcc
	s_cbranch_execz .LBB26_9
; %bb.8:                                ;   in Loop: Header=BB26_3 Depth=1
	v_mul_hi_u32 v10, v9, v3
	v_mul_lo_u32 v11, v10, s54
	v_sub_u32_e32 v11, v9, v11
	v_add_u32_e32 v14, 1, v10
	v_cmp_le_u32_e64 s[0:1], s54, v11
	v_cndmask_b32_e64 v10, v10, v14, s[0:1]
	v_subrev_u32_e32 v14, s54, v11
	v_cndmask_b32_e64 v11, v11, v14, s[0:1]
	v_add_u32_e32 v14, 1, v10
	v_cmp_le_u32_e64 s[0:1], s54, v11
	v_cndmask_b32_e64 v11, v10, v14, s[0:1]
	v_mul_lo_u32 v10, v11, s54
	v_sub_u32_e32 v10, v9, v10
	v_mul_lo_u32 v10, v10, s7
	v_mad_u64_u32 v[10:11], s[0:1], v11, s6, v[10:11]
	v_mov_b32_e32 v11, v5
.LBB26_9:                               ;   in Loop: Header=BB26_3 Depth=1
	s_or_b64 exec, exec, s[38:39]
	s_and_saveexec_b64 s[0:1], vcc
	s_cbranch_execz .LBB26_11
; %bb.10:                               ;   in Loop: Header=BB26_3 Depth=1
	v_mul_hi_u32 v12, v9, v7
	v_mul_lo_u32 v13, v12, s55
	v_sub_u32_e32 v13, v9, v13
	v_add_u32_e32 v14, 1, v12
	v_cmp_le_u32_e32 vcc, s55, v13
	v_cndmask_b32_e32 v12, v12, v14, vcc
	v_subrev_u32_e32 v14, s55, v13
	v_cndmask_b32_e32 v13, v13, v14, vcc
	v_add_u32_e32 v14, 1, v12
	v_cmp_le_u32_e32 vcc, s55, v13
	v_cndmask_b32_e32 v13, v12, v14, vcc
	v_mul_lo_u32 v12, v13, s55
	v_sub_u32_e32 v9, v9, v12
	v_mul_lo_u32 v12, v9, s15
	v_mad_u64_u32 v[12:13], s[38:39], v13, s14, v[12:13]
	v_mov_b32_e32 v13, v5
.LBB26_11:                              ;   in Loop: Header=BB26_3 Depth=1
	s_or_b64 exec, exec, s[0:1]
	v_pk_mov_b32 v[18:19], 0, 0
	v_add_u32_e32 v9, 2, v0
	v_cmp_lt_i32_e32 vcc, 2, v36
	v_pk_mov_b32 v[16:17], v[18:19], v[18:19] op_sel:[0,1]
	s_and_saveexec_b64 s[38:39], vcc
	s_cbranch_execz .LBB26_13
; %bb.12:                               ;   in Loop: Header=BB26_3 Depth=1
	v_mul_hi_u32 v14, v9, v3
	v_mul_lo_u32 v15, v14, s54
	v_sub_u32_e32 v15, v9, v15
	v_add_u32_e32 v16, 1, v14
	v_cmp_le_u32_e64 s[0:1], s54, v15
	v_cndmask_b32_e64 v14, v14, v16, s[0:1]
	v_subrev_u32_e32 v16, s54, v15
	v_cndmask_b32_e64 v15, v15, v16, s[0:1]
	v_add_u32_e32 v16, 1, v14
	v_cmp_le_u32_e64 s[0:1], s54, v15
	v_cndmask_b32_e64 v15, v14, v16, s[0:1]
	v_mul_lo_u32 v14, v15, s54
	v_sub_u32_e32 v14, v9, v14
	v_mul_lo_u32 v14, v14, s7
	v_mad_u64_u32 v[16:17], s[0:1], v15, s6, v[14:15]
	v_mov_b32_e32 v17, v5
.LBB26_13:                              ;   in Loop: Header=BB26_3 Depth=1
	s_or_b64 exec, exec, s[38:39]
	s_and_saveexec_b64 s[0:1], vcc
	s_cbranch_execz .LBB26_15
; %bb.14:                               ;   in Loop: Header=BB26_3 Depth=1
	v_mul_hi_u32 v14, v9, v7
	v_mul_lo_u32 v15, v14, s55
	v_sub_u32_e32 v15, v9, v15
	v_add_u32_e32 v18, 1, v14
	v_cmp_le_u32_e32 vcc, s55, v15
	v_cndmask_b32_e32 v14, v14, v18, vcc
	v_subrev_u32_e32 v18, s55, v15
	v_cndmask_b32_e32 v15, v15, v18, vcc
	v_add_u32_e32 v18, 1, v14
	v_cmp_le_u32_e32 vcc, s55, v15
	v_cndmask_b32_e32 v15, v14, v18, vcc
	v_mul_lo_u32 v14, v15, s55
	v_sub_u32_e32 v9, v9, v14
	v_mul_lo_u32 v14, v9, s15
	v_mad_u64_u32 v[18:19], s[38:39], v15, s14, v[14:15]
	v_mov_b32_e32 v19, v5
.LBB26_15:                              ;   in Loop: Header=BB26_3 Depth=1
	s_or_b64 exec, exec, s[0:1]
	v_pk_mov_b32 v[14:15], 0, 0
	v_add_u32_e32 v9, 3, v0
	v_cmp_lt_i32_e32 vcc, 3, v36
	v_pk_mov_b32 v[20:21], v[14:15], v[14:15] op_sel:[0,1]
	s_and_saveexec_b64 s[38:39], vcc
	s_cbranch_execz .LBB26_17
; %bb.16:                               ;   in Loop: Header=BB26_3 Depth=1
	v_mul_hi_u32 v20, v9, v3
	v_mul_lo_u32 v21, v20, s54
	v_sub_u32_e32 v21, v9, v21
	v_add_u32_e32 v22, 1, v20
	v_cmp_le_u32_e64 s[0:1], s54, v21
	v_cndmask_b32_e64 v20, v20, v22, s[0:1]
	v_subrev_u32_e32 v22, s54, v21
	v_cndmask_b32_e64 v21, v21, v22, s[0:1]
	v_add_u32_e32 v22, 1, v20
	v_cmp_le_u32_e64 s[0:1], s54, v21
	v_cndmask_b32_e64 v21, v20, v22, s[0:1]
	v_mul_lo_u32 v20, v21, s54
	v_sub_u32_e32 v20, v9, v20
	v_mul_lo_u32 v20, v20, s7
	v_mad_u64_u32 v[20:21], s[0:1], v21, s6, v[20:21]
	v_mov_b32_e32 v21, v5
.LBB26_17:                              ;   in Loop: Header=BB26_3 Depth=1
	s_or_b64 exec, exec, s[38:39]
	s_and_saveexec_b64 s[0:1], vcc
	s_cbranch_execz .LBB26_19
; %bb.18:                               ;   in Loop: Header=BB26_3 Depth=1
	v_mul_hi_u32 v14, v9, v7
	v_mul_lo_u32 v15, v14, s55
	v_sub_u32_e32 v15, v9, v15
	v_add_u32_e32 v22, 1, v14
	v_cmp_le_u32_e32 vcc, s55, v15
	v_cndmask_b32_e32 v14, v14, v22, vcc
	v_subrev_u32_e32 v22, s55, v15
	v_cndmask_b32_e32 v15, v15, v22, vcc
	v_add_u32_e32 v22, 1, v14
	v_cmp_le_u32_e32 vcc, s55, v15
	v_cndmask_b32_e32 v15, v14, v22, vcc
	v_mul_lo_u32 v14, v15, s55
	v_sub_u32_e32 v9, v9, v14
	v_mul_lo_u32 v14, v9, s15
	v_mad_u64_u32 v[14:15], s[38:39], v15, s14, v[14:15]
	v_mov_b32_e32 v15, v5
.LBB26_19:                              ;   in Loop: Header=BB26_3 Depth=1
	s_or_b64 exec, exec, s[0:1]
	v_lshlrev_b64 v[14:15], 2, v[14:15]
	v_mov_b32_e32 v9, s13
	v_add_co_u32_e32 v14, vcc, s12, v14
	v_addc_co_u32_e32 v15, vcc, v9, v15, vcc
	global_load_dword v9, v[14:15], off
	s_andn2_b64 vcc, exec, s[4:5]
	v_pk_mov_b32 v[14:15], s[10:11], s[10:11] op_sel:[0,1]
	v_pk_mov_b32 v[22:23], s[8:9], s[8:9] op_sel:[0,1]
	s_cbranch_vccnz .LBB26_21
; %bb.20:                               ;   in Loop: Header=BB26_3 Depth=1
	v_pk_mov_b32 v[14:15], s[10:11], s[10:11] op_sel:[0,1]
	flat_load_dwordx2 v[14:15], v[14:15]
	v_pk_mov_b32 v[22:23], s[8:9], s[8:9] op_sel:[0,1]
	flat_load_dwordx2 v[22:23], v[22:23]
	v_mov_b32_e32 v24, s17
	s_waitcnt vmcnt(0) lgkmcnt(0)
	v_add_co_u32_e32 v14, vcc, s16, v14
	v_addc_co_u32_e32 v15, vcc, v15, v24, vcc
.LBB26_21:                              ;   in Loop: Header=BB26_3 Depth=1
	v_alignbit_b32 v32, v15, v14, 2
	v_lshrrev_b32_e32 v33, 2, v15
	v_xor_b32_e32 v24, v6, v22
	v_and_b32_e32 v37, 3, v14
	v_mad_u64_u32 v[14:15], s[0:1], v32, s60, 0
	v_xor_b32_e32 v24, v24, v33
	v_xor_b32_e32 v15, v15, v23
	v_add_u32_e32 v42, 0xbb67ae85, v23
	v_mad_u64_u32 v[24:25], s[0:1], v24, s60, 0
	v_mad_u64_u32 v[26:27], s[0:1], v15, s56, 0
	v_xor_b32_e32 v25, v42, v25
	v_add_u32_e32 v41, 0x9e3779b9, v22
	v_xor_b32_e32 v15, v2, v27
	v_xor_b32_e32 v25, v25, v14
	v_xor_b32_e32 v15, v15, v41
	v_add_u32_e32 v43, 0x3c6ef372, v22
	v_mad_u64_u32 v[28:29], s[0:1], v25, s56, 0
	v_add_u32_e32 v44, 0x76cf5d0a, v23
	v_mad_u64_u32 v[14:15], s[0:1], v15, s60, 0
	v_xor_b32_e32 v25, v43, v29
	v_xor_b32_e32 v25, v25, v26
	v_xor_b32_e32 v15, v44, v15
	v_xor_b32_e32 v15, v15, v24
	v_add_u32_e32 v46, 0x32370b8f, v23
	v_mad_u64_u32 v[24:25], s[0:1], v25, s60, 0
	v_add_u32_e32 v45, 0xdaa66d2b, v22
	v_mad_u64_u32 v[26:27], s[0:1], v15, s56, 0
	v_xor_b32_e32 v25, v46, v25
	;; [unrolled: 8-line block ×5, first 2 shown]
	v_xor_b32_e32 v25, v25, v26
	v_xor_b32_e32 v15, v52, v15
	v_xor_b32_e32 v15, v15, v24
	v_add_u32_e32 v54, 0x1fd5c5a3, v23
	v_mad_u64_u32 v[24:25], s[0:1], v25, s60, 0
	v_xor_b32_e32 v25, v54, v25
	v_xor_b32_e32 v14, v25, v14
	v_add_u32_e32 v53, 0x5384540f, v22
	v_mad_u64_u32 v[30:31], s[0:1], v15, s56, 0
	v_add_co_u32_e32 v39, vcc, s61, v22
	v_mad_u64_u32 v[26:27], s[0:1], v14, s56, 0
	v_xor_b32_e32 v15, v53, v31
	v_xor_b32_e32 v14, v39, v27
	;; [unrolled: 1-line block ×4, first 2 shown]
	v_mad_u64_u32 v[28:29], s[0:1], v15, s60, 0
	v_mad_u64_u32 v[14:15], s[0:1], v14, s60, 0
	v_add_u32_e32 v40, 0x96a522ad, v23
	v_xor_b32_e32 v15, v15, v28
	v_xor_b32_e32 v38, v40, v15
	v_add_co_u32_e32 v15, vcc, 1, v32
	v_cndmask_b32_e64 v28, 0, 1, vcc
	v_addc_co_u32_e32 v34, vcc, 0, v33, vcc
	v_cmp_eq_u32_e32 vcc, 0, v34
	v_cndmask_b32_e32 v28, 0, v28, vcc
	v_add_u32_e32 v32, v28, v1
	v_cmp_eq_u32_e32 vcc, 0, v32
	v_mad_u64_u32 v[30:31], s[0:1], v15, s60, 0
	v_mad_u64_u32 v[32:33], s[0:1], v32, s56, 0
	v_add_u32_e32 v27, 0x8ff34781, v22
	v_cndmask_b32_e32 v28, 0, v28, vcc
	v_xor_b32_e32 v15, v33, v22
	v_xor_b32_e32 v22, v31, v23
	;; [unrolled: 1-line block ×4, first 2 shown]
	v_mad_u64_u32 v[34:35], s[0:1], v28, s56, 0
	v_add_u32_e32 v25, 0xdb3d7428, v23
	v_mad_u64_u32 v[22:23], s[0:1], v15, s60, 0
	v_xor_b32_e32 v15, v41, v35
	v_xor_b32_e32 v15, v15, v32
	v_xor_b32_e32 v23, v42, v23
	v_xor_b32_e32 v23, v23, v30
	v_mad_u64_u32 v[30:31], s[0:1], v15, s60, 0
	v_mad_u64_u32 v[32:33], s[0:1], v23, s56, 0
	v_xor_b32_e32 v23, v44, v31
	v_xor_b32_e32 v15, v43, v33
	v_xor_b32_e32 v28, v23, v22
	v_xor_b32_e32 v15, v15, v34
	v_mad_u64_u32 v[34:35], s[0:1], v28, s56, 0
	;; [unrolled: 6-line block ×7, first 2 shown]
	v_xor_b32_e32 v15, v25, v33
	v_xor_b32_e32 v15, v15, v22
	v_mad_u64_u32 v[34:35], s[0:1], v23, s56, 0
	v_mad_u64_u32 v[22:23], s[0:1], v15, s56, 0
	v_xor_b32_e32 v15, v23, v34
	v_xor_b32_e32 v15, v27, v15
	v_cmp_lt_i32_e32 vcc, 1, v37
                                        ; implicit-def: $vgpr31
	s_and_saveexec_b64 s[0:1], vcc
	s_xor_b64 s[0:1], exec, s[0:1]
	s_cbranch_execz .LBB26_27
; %bb.22:                               ;   in Loop: Header=BB26_3 Depth=1
	v_cmp_lt_i32_e32 vcc, 2, v37
                                        ; implicit-def: $vgpr31
	s_and_saveexec_b64 s[38:39], vcc
	s_xor_b64 s[38:39], exec, s[38:39]
; %bb.23:                               ;   in Loop: Header=BB26_3 Depth=1
	v_xor_b32_e32 v23, v39, v35
	v_xor_b32_e32 v23, v23, v30
	v_mul_hi_u32 v23, v23, s60
	v_xor_b32_e32 v23, v23, v32
	v_xor_b32_e32 v31, v40, v23
                                        ; implicit-def: $vgpr38
; %bb.24:                               ;   in Loop: Header=BB26_3 Depth=1
	s_andn2_saveexec_b64 s[38:39], s[38:39]
; %bb.25:                               ;   in Loop: Header=BB26_3 Depth=1
	v_mov_b32_e32 v31, v22
	v_mov_b32_e32 v22, v15
	;; [unrolled: 1-line block ×4, first 2 shown]
; %bb.26:                               ;   in Loop: Header=BB26_3 Depth=1
	s_or_b64 exec, exec, s[38:39]
                                        ; implicit-def: $vgpr24_vgpr25
                                        ; implicit-def: $vgpr26_vgpr27
                                        ; implicit-def: $vgpr37
                                        ; implicit-def: $vgpr38
                                        ; implicit-def: $vgpr28_vgpr29
                                        ; implicit-def: $vgpr25
                                        ; implicit-def: $vgpr27
.LBB26_27:                              ;   in Loop: Header=BB26_3 Depth=1
	s_andn2_saveexec_b64 s[0:1], s[0:1]
	s_cbranch_execz .LBB26_31
; %bb.28:                               ;   in Loop: Header=BB26_3 Depth=1
	v_xor_b32_e32 v22, v25, v29
	v_xor_b32_e32 v22, v22, v24
	v_mad_u64_u32 v[24:25], s[38:39], v22, s56, 0
	v_xor_b32_e32 v22, v25, v26
	v_xor_b32_e32 v23, v27, v22
	v_cmp_eq_u32_e32 vcc, 1, v37
	v_mov_b32_e32 v31, v14
	v_mov_b32_e32 v22, v38
	;; [unrolled: 1-line block ×3, first 2 shown]
	s_and_saveexec_b64 s[38:39], vcc
; %bb.29:                               ;   in Loop: Header=BB26_3 Depth=1
	v_mov_b32_e32 v31, v15
	v_mov_b32_e32 v22, v14
	;; [unrolled: 1-line block ×4, first 2 shown]
; %bb.30:                               ;   in Loop: Header=BB26_3 Depth=1
	s_or_b64 exec, exec, s[38:39]
	v_mov_b32_e32 v14, v23
	v_mov_b32_e32 v15, v25
.LBB26_31:                              ;   in Loop: Header=BB26_3 Depth=1
	s_or_b64 exec, exec, s[0:1]
	v_min_i32_e32 v23, 4, v36
	v_cmp_lt_i32_e32 vcc, 2, v23
	s_mov_b64 s[38:39], 0
	s_mov_b64 s[52:53], 0
                                        ; implicit-def: $sgpr40_sgpr41
                                        ; implicit-def: $sgpr42_sgpr43
                                        ; implicit-def: $sgpr44_sgpr45
	s_and_saveexec_b64 s[0:1], vcc
	s_xor_b64 s[46:47], exec, s[0:1]
	s_cbranch_execz .LBB26_41
; %bb.32:                               ;   in Loop: Header=BB26_3 Depth=1
	v_cmp_lt_i32_e32 vcc, 3, v23
	s_mov_b64 s[44:45], -1
                                        ; implicit-def: $sgpr40_sgpr41
                                        ; implicit-def: $sgpr48_sgpr49
	s_and_saveexec_b64 s[42:43], vcc
	s_cbranch_execz .LBB26_36
; %bb.33:                               ;   in Loop: Header=BB26_3 Depth=1
	s_waitcnt vmcnt(0)
	v_cmp_le_f32_e32 vcc, 0, v9
	v_cmp_ge_f32_e64 s[0:1], 1.0, v9
	s_and_b64 s[48:49], vcc, s[0:1]
	s_mov_b64 s[40:41], 0
	s_mov_b64 s[0:1], 0
	s_and_saveexec_b64 s[44:45], s[48:49]
	s_cbranch_execz .LBB26_35
; %bb.34:                               ;   in Loop: Header=BB26_3 Depth=1
	v_cvt_f32_u32_e32 v24, v31
	v_mov_b32_e32 v25, 0x2f800000
	v_mov_b32_e32 v26, s3
	v_add_co_u32_e32 v20, vcc, s2, v20
	v_fmac_f32_e32 v25, 0x2f800000, v24
	v_addc_co_u32_e32 v21, vcc, v26, v21, vcc
	v_cmp_le_f32_e32 vcc, v25, v9
	s_mov_b64 s[0:1], exec
	v_cndmask_b32_e64 v9, 0, 1, vcc
	global_store_byte v[20:21], v9, off
.LBB26_35:                              ;   in Loop: Header=BB26_3 Depth=1
	s_or_b64 exec, exec, s[44:45]
	s_mov_b64 s[48:49], -1
	s_orn2_b64 s[44:45], s[0:1], exec
.LBB26_36:                              ;   in Loop: Header=BB26_3 Depth=1
	s_or_b64 exec, exec, s[42:43]
	s_mov_b64 s[0:1], 0
	s_mov_b64 s[50:51], s[40:41]
	s_and_saveexec_b64 s[42:43], s[44:45]
	s_cbranch_execz .LBB26_40
; %bb.37:                               ;   in Loop: Header=BB26_3 Depth=1
	v_lshlrev_b64 v[18:19], 2, v[18:19]
	s_waitcnt vmcnt(0)
	v_mov_b32_e32 v9, s13
	v_add_co_u32_e32 v18, vcc, s12, v18
	v_addc_co_u32_e32 v19, vcc, v9, v19, vcc
	global_load_dword v9, v[18:19], off
	s_waitcnt vmcnt(0)
	v_cmp_le_f32_e32 vcc, 0, v9
	v_cmp_ge_f32_e64 s[0:1], 1.0, v9
	s_and_b64 s[44:45], vcc, s[0:1]
	s_mov_b64 s[0:1], 0
	s_and_saveexec_b64 s[50:51], s[44:45]
	s_xor_b64 s[44:45], exec, s[50:51]
	s_cbranch_execz .LBB26_39
; %bb.38:                               ;   in Loop: Header=BB26_3 Depth=1
	v_cvt_f32_u32_e32 v18, v22
	v_mov_b32_e32 v19, 0x2f800000
	v_mov_b32_e32 v20, s3
	v_add_co_u32_e32 v16, vcc, s2, v16
	v_fmac_f32_e32 v19, 0x2f800000, v18
	v_addc_co_u32_e32 v17, vcc, v20, v17, vcc
	v_cmp_le_f32_e32 vcc, v19, v9
	v_cndmask_b32_e64 v9, 0, 1, vcc
	s_mov_b64 s[0:1], exec
	global_store_byte v[16:17], v9, off
.LBB26_39:                              ;   in Loop: Header=BB26_3 Depth=1
	s_or_b64 exec, exec, s[44:45]
	s_andn2_b64 s[50:51], s[40:41], exec
	s_or_b64 s[40:41], s[40:41], exec
	s_andn2_b64 s[48:49], s[48:49], exec
	s_and_b64 s[0:1], s[0:1], exec
.LBB26_40:                              ;   in Loop: Header=BB26_3 Depth=1
	s_or_b64 exec, exec, s[42:43]
	s_and_b64 s[44:45], s[50:51], exec
	s_and_b64 s[42:43], s[40:41], exec
	;; [unrolled: 1-line block ×4, first 2 shown]
.LBB26_41:                              ;   in Loop: Header=BB26_3 Depth=1
	s_andn2_saveexec_b64 s[0:1], s[46:47]
; %bb.42:                               ;   in Loop: Header=BB26_3 Depth=1
	v_cmp_lt_i32_e32 vcc, 1, v23
	s_andn2_b64 s[46:47], s[52:53], exec
	s_and_b64 s[48:49], vcc, exec
	s_mov_b64 s[38:39], exec
	s_andn2_b64 s[44:45], s[44:45], exec
	s_andn2_b64 s[42:43], s[42:43], exec
	;; [unrolled: 1-line block ×3, first 2 shown]
	s_or_b64 s[52:53], s[46:47], s[48:49]
; %bb.43:                               ;   in Loop: Header=BB26_3 Depth=1
	s_or_b64 exec, exec, s[0:1]
	s_mov_b64 s[46:47], 0
	s_mov_b64 s[0:1], 0
	s_mov_b64 s[48:49], s[44:45]
	s_and_saveexec_b64 s[50:51], s[52:53]
	s_cbranch_execnz .LBB26_46
; %bb.44:                               ;   in Loop: Header=BB26_3 Depth=1
	s_or_b64 exec, exec, s[50:51]
	s_and_saveexec_b64 s[50:51], s[38:39]
	s_cbranch_execnz .LBB26_49
.LBB26_45:                              ;   in Loop: Header=BB26_3 Depth=1
	s_or_b64 exec, exec, s[50:51]
	s_and_saveexec_b64 s[38:39], s[0:1]
	s_cbranch_execnz .LBB26_50
	s_branch .LBB26_53
.LBB26_46:                              ;   in Loop: Header=BB26_3 Depth=1
	v_lshlrev_b64 v[12:13], 2, v[12:13]
	s_waitcnt vmcnt(0)
	v_mov_b32_e32 v9, s13
	v_add_co_u32_e32 v12, vcc, s12, v12
	v_addc_co_u32_e32 v13, vcc, v9, v13, vcc
	global_load_dword v9, v[12:13], off
	s_waitcnt vmcnt(0)
	v_cmp_le_f32_e32 vcc, 0, v9
	v_cmp_ge_f32_e64 s[0:1], 1.0, v9
	s_and_b64 s[48:49], vcc, s[0:1]
	s_mov_b64 s[0:1], 0
	s_and_saveexec_b64 s[52:53], s[48:49]
	s_xor_b64 s[48:49], exec, s[52:53]
	s_cbranch_execz .LBB26_48
; %bb.47:                               ;   in Loop: Header=BB26_3 Depth=1
	v_cvt_f32_u32_e32 v12, v15
	v_mov_b32_e32 v13, 0x2f800000
	v_mov_b32_e32 v15, s3
	v_add_co_u32_e32 v10, vcc, s2, v10
	v_fmac_f32_e32 v13, 0x2f800000, v12
	v_addc_co_u32_e32 v11, vcc, v15, v11, vcc
	v_cmp_le_f32_e32 vcc, v13, v9
	v_cndmask_b32_e64 v9, 0, 1, vcc
	s_mov_b64 s[0:1], exec
	global_store_byte v[10:11], v9, off
.LBB26_48:                              ;   in Loop: Header=BB26_3 Depth=1
	s_or_b64 exec, exec, s[48:49]
	s_andn2_b64 s[48:49], s[44:45], exec
	s_or_b64 s[44:45], s[44:45], exec
	s_andn2_b64 s[42:43], s[42:43], exec
	s_andn2_b64 s[40:41], s[40:41], exec
	s_and_b64 s[0:1], s[0:1], exec
	s_andn2_b64 s[38:39], s[38:39], exec
	s_or_b64 exec, exec, s[50:51]
	s_and_saveexec_b64 s[50:51], s[38:39]
	s_cbranch_execz .LBB26_45
.LBB26_49:                              ;   in Loop: Header=BB26_3 Depth=1
	v_cmp_eq_u32_e32 vcc, 1, v23
	s_andn2_b64 s[0:1], s[0:1], exec
	s_and_b64 s[38:39], vcc, exec
	s_mov_b64 s[46:47], exec
	s_andn2_b64 s[48:49], s[48:49], exec
	s_andn2_b64 s[44:45], s[44:45], exec
	;; [unrolled: 1-line block ×4, first 2 shown]
	s_or_b64 s[0:1], s[0:1], s[38:39]
	s_or_b64 exec, exec, s[50:51]
	s_and_saveexec_b64 s[38:39], s[0:1]
	s_cbranch_execz .LBB26_53
.LBB26_50:                              ;   in Loop: Header=BB26_3 Depth=1
	v_lshlrev_b64 v[10:11], 2, v[4:5]
	v_mov_b32_e32 v4, s13
	v_add_co_u32_e32 v10, vcc, s12, v10
	v_addc_co_u32_e32 v11, vcc, v4, v11, vcc
	global_load_dword v4, v[10:11], off
	s_waitcnt vmcnt(0)
	v_cmp_le_f32_e32 vcc, 0, v4
	v_cmp_ge_f32_e64 s[0:1], 1.0, v4
	s_and_b64 s[52:53], vcc, s[0:1]
	s_mov_b64 s[0:1], 0
	s_and_saveexec_b64 s[50:51], s[52:53]
	s_cbranch_execz .LBB26_52
; %bb.51:                               ;   in Loop: Header=BB26_3 Depth=1
	v_cvt_f32_u32_e32 v9, v14
	v_mov_b32_e32 v10, 0x2f800000
	s_mov_b64 s[0:1], exec
	v_fmac_f32_e32 v10, 0x2f800000, v9
	v_cmp_le_f32_e32 vcc, v10, v4
	v_cndmask_b32_e64 v4, 0, 1, vcc
	global_store_byte v8, v4, s[2:3]
.LBB26_52:                              ;   in Loop: Header=BB26_3 Depth=1
	s_or_b64 exec, exec, s[50:51]
	s_andn2_b64 s[46:47], s[46:47], exec
	s_and_b64 s[0:1], s[0:1], exec
	s_or_b64 s[48:49], s[48:49], exec
	s_andn2_b64 s[44:45], s[44:45], exec
	s_andn2_b64 s[42:43], s[42:43], exec
	s_andn2_b64 s[40:41], s[40:41], exec
	s_or_b64 s[46:47], s[46:47], s[0:1]
.LBB26_53:                              ;   in Loop: Header=BB26_3 Depth=1
	s_or_b64 exec, exec, s[38:39]
	s_andn2_b64 s[36:37], s[36:37], exec
	s_and_b64 s[38:39], s[48:49], exec
	s_or_b64 s[36:37], s[36:37], s[38:39]
	s_andn2_b64 s[34:35], s[34:35], exec
	s_and_b64 s[38:39], s[44:45], exec
	s_or_b64 s[34:35], s[34:35], s[38:39]
	;; [unrolled: 3-line block ×3, first 2 shown]
	s_andn2_b64 s[28:29], s[28:29], exec
	s_and_b64 s[38:39], s[40:41], exec
	s_mov_b64 s[0:1], -1
	s_or_b64 s[28:29], s[28:29], s[38:39]
	s_and_saveexec_b64 s[38:39], s[46:47]
	s_cbranch_execz .LBB26_2
; %bb.54:                               ;   in Loop: Header=BB26_3 Depth=1
	v_add_u32_e32 v0, s57, v0
	v_cmp_le_u32_e32 vcc, s33, v0
	v_subrev_u32_e32 v36, s57, v36
	s_andn2_b64 s[36:37], s[36:37], exec
	s_andn2_b64 s[34:35], s[34:35], exec
	;; [unrolled: 1-line block ×4, first 2 shown]
	s_orn2_b64 s[0:1], vcc, exec
	s_branch .LBB26_2
.LBB26_55:
	s_or_b64 exec, exec, s[20:21]
	s_xor_b64 s[6:7], s[26:27], -1
	s_xor_b64 s[8:9], s[24:25], -1
	;; [unrolled: 1-line block ×3, first 2 shown]
	s_mov_b64 s[2:3], 0
	s_and_saveexec_b64 s[4:5], s[0:1]
	s_xor_b64 s[0:1], exec, s[4:5]
	s_cbranch_execnz .LBB26_60
; %bb.56:
	s_andn2_saveexec_b64 s[0:1], s[0:1]
	s_cbranch_execnz .LBB26_68
.LBB26_57:
	s_or_b64 exec, exec, s[0:1]
	s_and_b64 exec, exec, s[2:3]
.LBB26_58:
	; divergent unreachable
.LBB26_59:
	s_endpgm
.LBB26_60:
	s_mov_b64 s[4:5], 0
	s_and_saveexec_b64 s[2:3], s[8:9]
	s_xor_b64 s[2:3], exec, s[2:3]
	s_cbranch_execz .LBB26_66
; %bb.61:
	s_and_saveexec_b64 s[8:9], s[6:7]
	s_xor_b64 s[6:7], exec, s[8:9]
	s_cbranch_execz .LBB26_64
; %bb.62:
	s_and_saveexec_b64 s[8:9], s[18:19]
	s_xor_b64 s[8:9], exec, s[8:9]
	s_cbranch_execnz .LBB26_71
.LBB26_63:
	s_or_b64 exec, exec, s[8:9]
	s_and_b64 s[4:5], s[4:5], exec
.LBB26_64:
	s_andn2_saveexec_b64 s[6:7], s[6:7]
	s_cbranch_execnz .LBB26_70
.LBB26_65:
	s_or_b64 exec, exec, s[6:7]
	s_and_b64 s[4:5], s[4:5], exec
.LBB26_66:
	s_andn2_saveexec_b64 s[2:3], s[2:3]
	s_cbranch_execnz .LBB26_69
.LBB26_67:
	s_or_b64 exec, exec, s[2:3]
	s_and_b64 s[2:3], s[4:5], exec
	s_andn2_saveexec_b64 s[0:1], s[0:1]
	s_cbranch_execz .LBB26_57
.LBB26_68:
	s_or_b64 s[2:3], s[2:3], exec
	s_trap 2
	s_or_b64 exec, exec, s[0:1]
	s_and_b64 exec, exec, s[2:3]
	s_cbranch_execnz .LBB26_58
	s_branch .LBB26_59
.LBB26_69:
	s_or_b64 s[4:5], s[4:5], exec
	s_trap 2
	s_branch .LBB26_67
.LBB26_70:
	s_trap 2
	s_or_b64 s[4:5], s[4:5], exec
	s_branch .LBB26_65
.LBB26_71:
	s_mov_b64 s[4:5], exec
	s_trap 2
	s_branch .LBB26_63
	.section	.rodata,"a",@progbits
	.p2align	6, 0x0
	.amdhsa_kernel _ZN2at4cuda12_GLOBAL__N_121kernelPointwiseApply2IZNS_6native9templates4cuda28bernoulli_tensor_cuda_kernelIafEEvRKNS_10TensorBaseES9_NS_15PhiloxCudaStateEEUliRaSB_SB_SB_RKfSD_SD_SD_E_aSC_jLi2ELi2ELi4ELi512ELi2EEEvNS0_6detail10TensorInfoIT0_T2_EENSG_IT1_SI_EESI_T_
		.amdhsa_group_segment_fixed_size 0
		.amdhsa_private_segment_fixed_size 0
		.amdhsa_kernarg_size 728
		.amdhsa_user_sgpr_count 6
		.amdhsa_user_sgpr_private_segment_buffer 1
		.amdhsa_user_sgpr_dispatch_ptr 0
		.amdhsa_user_sgpr_queue_ptr 0
		.amdhsa_user_sgpr_kernarg_segment_ptr 1
		.amdhsa_user_sgpr_dispatch_id 0
		.amdhsa_user_sgpr_flat_scratch_init 0
		.amdhsa_user_sgpr_kernarg_preload_length 0
		.amdhsa_user_sgpr_kernarg_preload_offset 0
		.amdhsa_user_sgpr_private_segment_size 0
		.amdhsa_uses_dynamic_stack 0
		.amdhsa_system_sgpr_private_segment_wavefront_offset 0
		.amdhsa_system_sgpr_workgroup_id_x 1
		.amdhsa_system_sgpr_workgroup_id_y 0
		.amdhsa_system_sgpr_workgroup_id_z 0
		.amdhsa_system_sgpr_workgroup_info 0
		.amdhsa_system_vgpr_workitem_id 0
		.amdhsa_next_free_vgpr 55
		.amdhsa_next_free_sgpr 62
		.amdhsa_accum_offset 56
		.amdhsa_reserve_vcc 1
		.amdhsa_reserve_flat_scratch 0
		.amdhsa_float_round_mode_32 0
		.amdhsa_float_round_mode_16_64 0
		.amdhsa_float_denorm_mode_32 3
		.amdhsa_float_denorm_mode_16_64 3
		.amdhsa_dx10_clamp 1
		.amdhsa_ieee_mode 1
		.amdhsa_fp16_overflow 0
		.amdhsa_tg_split 0
		.amdhsa_exception_fp_ieee_invalid_op 0
		.amdhsa_exception_fp_denorm_src 0
		.amdhsa_exception_fp_ieee_div_zero 0
		.amdhsa_exception_fp_ieee_overflow 0
		.amdhsa_exception_fp_ieee_underflow 0
		.amdhsa_exception_fp_ieee_inexact 0
		.amdhsa_exception_int_div_zero 0
	.end_amdhsa_kernel
	.section	.text._ZN2at4cuda12_GLOBAL__N_121kernelPointwiseApply2IZNS_6native9templates4cuda28bernoulli_tensor_cuda_kernelIafEEvRKNS_10TensorBaseES9_NS_15PhiloxCudaStateEEUliRaSB_SB_SB_RKfSD_SD_SD_E_aSC_jLi2ELi2ELi4ELi512ELi2EEEvNS0_6detail10TensorInfoIT0_T2_EENSG_IT1_SI_EESI_T_,"axG",@progbits,_ZN2at4cuda12_GLOBAL__N_121kernelPointwiseApply2IZNS_6native9templates4cuda28bernoulli_tensor_cuda_kernelIafEEvRKNS_10TensorBaseES9_NS_15PhiloxCudaStateEEUliRaSB_SB_SB_RKfSD_SD_SD_E_aSC_jLi2ELi2ELi4ELi512ELi2EEEvNS0_6detail10TensorInfoIT0_T2_EENSG_IT1_SI_EESI_T_,comdat
.Lfunc_end26:
	.size	_ZN2at4cuda12_GLOBAL__N_121kernelPointwiseApply2IZNS_6native9templates4cuda28bernoulli_tensor_cuda_kernelIafEEvRKNS_10TensorBaseES9_NS_15PhiloxCudaStateEEUliRaSB_SB_SB_RKfSD_SD_SD_E_aSC_jLi2ELi2ELi4ELi512ELi2EEEvNS0_6detail10TensorInfoIT0_T2_EENSG_IT1_SI_EESI_T_, .Lfunc_end26-_ZN2at4cuda12_GLOBAL__N_121kernelPointwiseApply2IZNS_6native9templates4cuda28bernoulli_tensor_cuda_kernelIafEEvRKNS_10TensorBaseES9_NS_15PhiloxCudaStateEEUliRaSB_SB_SB_RKfSD_SD_SD_E_aSC_jLi2ELi2ELi4ELi512ELi2EEEvNS0_6detail10TensorInfoIT0_T2_EENSG_IT1_SI_EESI_T_
                                        ; -- End function
	.section	.AMDGPU.csdata,"",@progbits
; Kernel info:
; codeLenInByte = 3412
; NumSgprs: 66
; NumVgprs: 55
; NumAgprs: 0
; TotalNumVgprs: 55
; ScratchSize: 0
; MemoryBound: 0
; FloatMode: 240
; IeeeMode: 1
; LDSByteSize: 0 bytes/workgroup (compile time only)
; SGPRBlocks: 8
; VGPRBlocks: 6
; NumSGPRsForWavesPerEU: 66
; NumVGPRsForWavesPerEU: 55
; AccumOffset: 56
; Occupancy: 8
; WaveLimiterHint : 1
; COMPUTE_PGM_RSRC2:SCRATCH_EN: 0
; COMPUTE_PGM_RSRC2:USER_SGPR: 6
; COMPUTE_PGM_RSRC2:TRAP_HANDLER: 0
; COMPUTE_PGM_RSRC2:TGID_X_EN: 1
; COMPUTE_PGM_RSRC2:TGID_Y_EN: 0
; COMPUTE_PGM_RSRC2:TGID_Z_EN: 0
; COMPUTE_PGM_RSRC2:TIDIG_COMP_CNT: 0
; COMPUTE_PGM_RSRC3_GFX90A:ACCUM_OFFSET: 13
; COMPUTE_PGM_RSRC3_GFX90A:TG_SPLIT: 0
	.section	.text._ZN2at4cuda12_GLOBAL__N_121kernelPointwiseApply2IZNS_6native9templates4cuda28bernoulli_tensor_cuda_kernelIafEEvRKNS_10TensorBaseES9_NS_15PhiloxCudaStateEEUliRaSB_SB_SB_RKfSD_SD_SD_E_aSC_jLi2ELin1ELi4ELi512ELi2EEEvNS0_6detail10TensorInfoIT0_T2_EENSG_IT1_SI_EESI_T_,"axG",@progbits,_ZN2at4cuda12_GLOBAL__N_121kernelPointwiseApply2IZNS_6native9templates4cuda28bernoulli_tensor_cuda_kernelIafEEvRKNS_10TensorBaseES9_NS_15PhiloxCudaStateEEUliRaSB_SB_SB_RKfSD_SD_SD_E_aSC_jLi2ELin1ELi4ELi512ELi2EEEvNS0_6detail10TensorInfoIT0_T2_EENSG_IT1_SI_EESI_T_,comdat
	.globl	_ZN2at4cuda12_GLOBAL__N_121kernelPointwiseApply2IZNS_6native9templates4cuda28bernoulli_tensor_cuda_kernelIafEEvRKNS_10TensorBaseES9_NS_15PhiloxCudaStateEEUliRaSB_SB_SB_RKfSD_SD_SD_E_aSC_jLi2ELin1ELi4ELi512ELi2EEEvNS0_6detail10TensorInfoIT0_T2_EENSG_IT1_SI_EESI_T_ ; -- Begin function _ZN2at4cuda12_GLOBAL__N_121kernelPointwiseApply2IZNS_6native9templates4cuda28bernoulli_tensor_cuda_kernelIafEEvRKNS_10TensorBaseES9_NS_15PhiloxCudaStateEEUliRaSB_SB_SB_RKfSD_SD_SD_E_aSC_jLi2ELin1ELi4ELi512ELi2EEEvNS0_6detail10TensorInfoIT0_T2_EENSG_IT1_SI_EESI_T_
	.p2align	8
	.type	_ZN2at4cuda12_GLOBAL__N_121kernelPointwiseApply2IZNS_6native9templates4cuda28bernoulli_tensor_cuda_kernelIafEEvRKNS_10TensorBaseES9_NS_15PhiloxCudaStateEEUliRaSB_SB_SB_RKfSD_SD_SD_E_aSC_jLi2ELin1ELi4ELi512ELi2EEEvNS0_6detail10TensorInfoIT0_T2_EENSG_IT1_SI_EESI_T_,@function
_ZN2at4cuda12_GLOBAL__N_121kernelPointwiseApply2IZNS_6native9templates4cuda28bernoulli_tensor_cuda_kernelIafEEvRKNS_10TensorBaseES9_NS_15PhiloxCudaStateEEUliRaSB_SB_SB_RKfSD_SD_SD_E_aSC_jLi2ELin1ELi4ELi512ELi2EEEvNS0_6detail10TensorInfoIT0_T2_EENSG_IT1_SI_EESI_T_: ; @_ZN2at4cuda12_GLOBAL__N_121kernelPointwiseApply2IZNS_6native9templates4cuda28bernoulli_tensor_cuda_kernelIafEEvRKNS_10TensorBaseES9_NS_15PhiloxCudaStateEEUliRaSB_SB_SB_RKfSD_SD_SD_E_aSC_jLi2ELin1ELi4ELi512ELi2EEEvNS0_6detail10TensorInfoIT0_T2_EENSG_IT1_SI_EESI_T_
; %bb.0:
	s_load_dword s2, s[4:5], 0x1e4
	s_load_dword s33, s[4:5], 0x1b0
	s_add_u32 s0, s4, 0x1d8
	s_addc_u32 s1, s5, 0
	s_waitcnt lgkmcnt(0)
	s_and_b32 s2, s2, 0xffff
	s_mul_i32 s6, s6, s2
	v_add_u32_e32 v5, s6, v0
	v_lshlrev_b32_e32 v34, 2, v5
	v_cmp_gt_u32_e32 vcc, s33, v34
	s_and_saveexec_b64 s[6:7], vcc
	s_cbranch_execz .LBB27_73
; %bb.1:
	s_load_dword s3, s[0:1], 0x0
	s_load_dwordx2 s[6:7], s[4:5], 0x1c8
	s_load_dwordx4 s[8:11], s[4:5], 0x1b8
	s_load_dword s20, s[4:5], 0x1a8
	s_load_dwordx2 s[12:13], s[4:5], 0x0
	s_load_dword s54, s[4:5], 0xc
	s_waitcnt lgkmcnt(0)
	s_mul_i32 s21, s3, s2
	s_load_dword s2, s[4:5], 0x1d0
	s_load_dword s55, s[4:5], 0x144
	s_add_u32 s18, s4, 0xd8
	s_addc_u32 s19, s5, 0
	v_cvt_f32_u32_e32 v0, s54
	s_cmp_gt_i32 s20, 1
	s_mov_b32 s56, 0xcd9e8d57
	s_cselect_b64 s[0:1], -1, 0
	v_rcp_iflag_f32_e32 v2, v0
	s_waitcnt lgkmcnt(0)
	s_bitcmp1_b32 s2, 0
	v_mad_u64_u32 v[0:1], s[2:3], v5, s56, 0
	v_mul_f32_e32 v2, 0x4f7ffffe, v2
	v_cvt_u32_f32_e32 v2, v2
	s_load_dwordx2 s[14:15], s[4:5], 0x6c
	s_load_dwordx2 s[16:17], s[4:5], 0xd8
	s_cselect_b64 s[4:5], -1, 0
	s_sub_i32 s2, 0, s54
	s_mov_b32 s3, 0
	v_mov_b32_e32 v4, v1
	v_mul_lo_u32 v1, s2, v2
	s_add_i32 s2, s20, -1
	s_lshl_b32 s57, s21, 2
	s_add_i32 s58, s20, 1
	s_lshl_b64 s[2:3], s[2:3], 2
	s_add_u32 s2, s2, s18
	s_addc_u32 s3, s3, s19
	v_mul_hi_u32 v1, v2, v1
	s_add_u32 s20, s2, 8
	v_mov_b32_e32 v3, 0
	v_add_u32_e32 v1, v2, v1
	s_addc_u32 s21, s3, 0
	s_mov_b64 s[22:23], 0
	v_cndmask_b32_e64 v35, 0, 1, s[0:1]
	s_mov_b32 s59, 0xd2511f53
	s_mov_b32 s60, 0xf1bbcdc8
                                        ; implicit-def: $sgpr24_sgpr25
                                        ; implicit-def: $sgpr26_sgpr27
                                        ; implicit-def: $sgpr28_sgpr29
                                        ; implicit-def: $sgpr18_sgpr19
                                        ; implicit-def: $sgpr30_sgpr31
                                        ; implicit-def: $sgpr34_sgpr35
                                        ; implicit-def: $sgpr36_sgpr37
                                        ; implicit-def: $sgpr38_sgpr39
	s_branch .LBB27_3
.LBB27_2:                               ;   in Loop: Header=BB27_3 Depth=1
	s_or_b64 exec, exec, s[2:3]
	s_and_b64 s[0:1], exec, s[0:1]
	s_or_b64 s[22:23], s[0:1], s[22:23]
	s_andn2_b64 s[0:1], s[18:19], exec
	s_and_b64 s[2:3], s[38:39], exec
	s_or_b64 s[18:19], s[0:1], s[2:3]
	s_andn2_b64 s[0:1], s[28:29], exec
	s_and_b64 s[2:3], s[36:37], exec
	;; [unrolled: 3-line block ×4, first 2 shown]
	s_or_b64 s[24:25], s[0:1], s[2:3]
	s_andn2_b64 exec, exec, s[22:23]
	s_cbranch_execz .LBB27_69
.LBB27_3:                               ; =>This Loop Header: Depth=1
                                        ;     Child Loop BB27_8 Depth 2
                                        ;     Child Loop BB27_15 Depth 2
	;; [unrolled: 1-line block ×4, first 2 shown]
	v_sub_u32_e32 v36, s33, v34
	v_cmp_lt_i32_e32 vcc, 0, v36
	v_mov_b32_e32 v6, 0
	s_and_saveexec_b64 s[2:3], vcc
	s_cbranch_execz .LBB27_5
; %bb.4:                                ;   in Loop: Header=BB27_3 Depth=1
	v_mul_hi_u32 v2, v34, v1
	v_mul_lo_u32 v6, v2, s54
	v_sub_u32_e32 v6, v34, v6
	v_add_u32_e32 v7, 1, v2
	v_cmp_le_u32_e64 s[0:1], s54, v6
	v_cndmask_b32_e64 v2, v2, v7, s[0:1]
	v_subrev_u32_e32 v7, s54, v6
	v_cndmask_b32_e64 v6, v6, v7, s[0:1]
	v_add_u32_e32 v7, 1, v2
	v_cmp_le_u32_e64 s[0:1], s54, v6
	v_cndmask_b32_e64 v6, v2, v7, s[0:1]
	v_mul_lo_u32 v2, v6, s54
	v_sub_u32_e32 v2, v34, v2
	s_waitcnt lgkmcnt(0)
	v_mul_lo_u32 v2, v2, s15
	v_mad_u64_u32 v[6:7], s[0:1], v6, s14, v[2:3]
.LBB27_5:                               ;   in Loop: Header=BB27_3 Depth=1
	s_or_b64 exec, exec, s[2:3]
	v_mov_b32_e32 v8, 0
	v_cmp_ne_u32_e64 s[0:1], 1, v35
	s_and_saveexec_b64 s[2:3], vcc
	s_cbranch_execz .LBB27_10
; %bb.6:                                ;   in Loop: Header=BB27_3 Depth=1
	s_and_b64 vcc, exec, s[0:1]
	v_mov_b32_e32 v8, 0
	v_mov_b32_e32 v2, v34
	s_cbranch_vccnz .LBB27_9
; %bb.7:                                ;   in Loop: Header=BB27_3 Depth=1
	v_mov_b32_e32 v8, 0
	s_mov_b64 s[40:41], s[20:21]
	s_mov_b32 s42, s58
	v_mov_b32_e32 v2, v34
.LBB27_8:                               ;   Parent Loop BB27_3 Depth=1
                                        ; =>  This Inner Loop Header: Depth=2
	s_load_dword s43, s[40:41], 0x0
	s_load_dword s44, s[40:41], 0x64
	v_mov_b32_e32 v7, v2
	s_add_i32 s42, s42, -1
	s_waitcnt lgkmcnt(0)
	v_cvt_f32_u32_e32 v2, s43
	s_sub_i32 s45, 0, s43
	s_add_u32 s40, s40, -4
	s_addc_u32 s41, s41, -1
	v_rcp_iflag_f32_e32 v2, v2
	s_cmp_gt_u32 s42, 2
	v_mul_f32_e32 v2, 0x4f7ffffe, v2
	v_cvt_u32_f32_e32 v2, v2
	s_waitcnt vmcnt(0)
	v_mul_lo_u32 v9, s45, v2
	v_mul_hi_u32 v9, v2, v9
	v_add_u32_e32 v2, v2, v9
	v_mul_hi_u32 v2, v7, v2
	v_mul_lo_u32 v9, v2, s43
	v_sub_u32_e32 v9, v7, v9
	v_add_u32_e32 v10, 1, v2
	v_cmp_le_u32_e32 vcc, s43, v9
	v_cndmask_b32_e32 v2, v2, v10, vcc
	v_subrev_u32_e32 v10, s43, v9
	v_cndmask_b32_e32 v9, v9, v10, vcc
	v_add_u32_e32 v10, 1, v2
	v_cmp_le_u32_e32 vcc, s43, v9
	v_cndmask_b32_e32 v2, v2, v10, vcc
	v_mul_lo_u32 v9, v2, s43
	v_sub_u32_e32 v7, v7, v9
	v_mad_u64_u32 v[8:9], s[44:45], s44, v7, v[8:9]
	s_cbranch_scc1 .LBB27_8
.LBB27_9:                               ;   in Loop: Header=BB27_3 Depth=1
	s_waitcnt vmcnt(0)
	v_mad_u64_u32 v[8:9], s[40:41], s55, v2, v[8:9]
.LBB27_10:                              ;   in Loop: Header=BB27_3 Depth=1
	s_or_b64 exec, exec, s[2:3]
	v_or_b32_e32 v7, 1, v34
	v_cmp_lt_i32_e32 vcc, 1, v36
	v_mov_b32_e32 v2, 0
	v_mov_b32_e32 v10, 0
	s_and_saveexec_b64 s[40:41], vcc
	s_cbranch_execz .LBB27_12
; %bb.11:                               ;   in Loop: Header=BB27_3 Depth=1
	s_waitcnt vmcnt(0)
	v_mul_hi_u32 v9, v7, v1
	v_mul_lo_u32 v10, v9, s54
	v_sub_u32_e32 v10, v7, v10
	v_add_u32_e32 v11, 1, v9
	v_cmp_le_u32_e64 s[2:3], s54, v10
	v_cndmask_b32_e64 v9, v9, v11, s[2:3]
	v_subrev_u32_e32 v11, s54, v10
	v_cndmask_b32_e64 v10, v10, v11, s[2:3]
	v_add_u32_e32 v11, 1, v9
	v_cmp_le_u32_e64 s[2:3], s54, v10
	v_cndmask_b32_e64 v9, v9, v11, s[2:3]
	v_mul_lo_u32 v10, v9, s54
	v_sub_u32_e32 v10, v7, v10
	s_waitcnt lgkmcnt(0)
	v_mul_lo_u32 v10, v10, s15
	v_mad_u64_u32 v[10:11], s[2:3], v9, s14, v[10:11]
.LBB27_12:                              ;   in Loop: Header=BB27_3 Depth=1
	s_or_b64 exec, exec, s[40:41]
	s_and_saveexec_b64 s[2:3], vcc
	s_cbranch_execz .LBB27_17
; %bb.13:                               ;   in Loop: Header=BB27_3 Depth=1
	s_and_b64 vcc, exec, s[0:1]
	v_mov_b32_e32 v12, 0
	s_cbranch_vccnz .LBB27_16
; %bb.14:                               ;   in Loop: Header=BB27_3 Depth=1
	v_mov_b32_e32 v12, 0
	s_mov_b64 s[40:41], s[20:21]
	s_mov_b32 s42, s58
.LBB27_15:                              ;   Parent Loop BB27_3 Depth=1
                                        ; =>  This Inner Loop Header: Depth=2
	s_load_dword s43, s[40:41], 0x0
	s_load_dword s44, s[40:41], 0x64
	v_mov_b32_e32 v2, v7
	s_add_i32 s42, s42, -1
	s_waitcnt lgkmcnt(0)
	v_cvt_f32_u32_e32 v7, s43
	s_sub_i32 s45, 0, s43
	s_add_u32 s40, s40, -4
	s_addc_u32 s41, s41, -1
	v_rcp_iflag_f32_e32 v7, v7
	s_cmp_gt_u32 s42, 2
	v_mul_f32_e32 v7, 0x4f7ffffe, v7
	v_cvt_u32_f32_e32 v7, v7
	s_waitcnt vmcnt(0)
	v_mul_lo_u32 v9, s45, v7
	v_mul_hi_u32 v9, v7, v9
	v_add_u32_e32 v7, v7, v9
	v_mul_hi_u32 v7, v2, v7
	v_mul_lo_u32 v9, v7, s43
	v_sub_u32_e32 v9, v2, v9
	v_add_u32_e32 v11, 1, v7
	v_cmp_le_u32_e32 vcc, s43, v9
	v_cndmask_b32_e32 v7, v7, v11, vcc
	v_subrev_u32_e32 v11, s43, v9
	v_cndmask_b32_e32 v9, v9, v11, vcc
	v_add_u32_e32 v11, 1, v7
	v_cmp_le_u32_e32 vcc, s43, v9
	v_cndmask_b32_e32 v7, v7, v11, vcc
	v_mul_lo_u32 v9, v7, s43
	v_sub_u32_e32 v2, v2, v9
	v_mad_u64_u32 v[12:13], s[44:45], s44, v2, v[12:13]
	s_cbranch_scc1 .LBB27_15
.LBB27_16:                              ;   in Loop: Header=BB27_3 Depth=1
	v_mad_u64_u32 v[12:13], s[40:41], s55, v7, v[12:13]
	v_mov_b32_e32 v2, v12
.LBB27_17:                              ;   in Loop: Header=BB27_3 Depth=1
	s_or_b64 exec, exec, s[2:3]
	v_or_b32_e32 v7, 2, v34
	v_cmp_lt_i32_e32 vcc, 2, v36
	v_mov_b32_e32 v12, 0
	s_and_saveexec_b64 s[40:41], vcc
	s_cbranch_execz .LBB27_19
; %bb.18:                               ;   in Loop: Header=BB27_3 Depth=1
	s_waitcnt vmcnt(0)
	v_mul_hi_u32 v9, v7, v1
	v_mul_lo_u32 v11, v9, s54
	v_sub_u32_e32 v11, v7, v11
	v_add_u32_e32 v12, 1, v9
	v_cmp_le_u32_e64 s[2:3], s54, v11
	v_cndmask_b32_e64 v9, v9, v12, s[2:3]
	v_subrev_u32_e32 v12, s54, v11
	v_cndmask_b32_e64 v11, v11, v12, s[2:3]
	v_add_u32_e32 v12, 1, v9
	v_cmp_le_u32_e64 s[2:3], s54, v11
	v_cndmask_b32_e64 v9, v9, v12, s[2:3]
	v_mul_lo_u32 v11, v9, s54
	v_sub_u32_e32 v11, v7, v11
	s_waitcnt lgkmcnt(0)
	v_mul_lo_u32 v12, v11, s15
	v_mad_u64_u32 v[12:13], s[2:3], v9, s14, v[12:13]
.LBB27_19:                              ;   in Loop: Header=BB27_3 Depth=1
	s_or_b64 exec, exec, s[40:41]
	v_pk_mov_b32 v[14:15], 0, 0
	s_and_saveexec_b64 s[2:3], vcc
	s_cbranch_execz .LBB27_24
; %bb.20:                               ;   in Loop: Header=BB27_3 Depth=1
	s_and_b64 vcc, exec, s[0:1]
	v_mov_b32_e32 v14, 0
	s_cbranch_vccnz .LBB27_23
; %bb.21:                               ;   in Loop: Header=BB27_3 Depth=1
	v_mov_b32_e32 v14, 0
	s_mov_b64 s[40:41], s[20:21]
	s_mov_b32 s42, s58
.LBB27_22:                              ;   Parent Loop BB27_3 Depth=1
                                        ; =>  This Inner Loop Header: Depth=2
	s_load_dword s43, s[40:41], 0x0
	s_load_dword s44, s[40:41], 0x64
	s_waitcnt vmcnt(0)
	v_mov_b32_e32 v9, v7
	s_add_i32 s42, s42, -1
	s_waitcnt lgkmcnt(0)
	v_cvt_f32_u32_e32 v7, s43
	s_sub_i32 s45, 0, s43
	s_add_u32 s40, s40, -4
	s_addc_u32 s41, s41, -1
	v_rcp_iflag_f32_e32 v7, v7
	s_cmp_gt_u32 s42, 2
	v_mul_f32_e32 v7, 0x4f7ffffe, v7
	v_cvt_u32_f32_e32 v7, v7
	v_mul_lo_u32 v11, s45, v7
	v_mul_hi_u32 v11, v7, v11
	v_add_u32_e32 v7, v7, v11
	v_mul_hi_u32 v7, v9, v7
	v_mul_lo_u32 v11, v7, s43
	v_sub_u32_e32 v11, v9, v11
	v_add_u32_e32 v13, 1, v7
	v_cmp_le_u32_e32 vcc, s43, v11
	v_cndmask_b32_e32 v7, v7, v13, vcc
	v_subrev_u32_e32 v13, s43, v11
	v_cndmask_b32_e32 v11, v11, v13, vcc
	v_add_u32_e32 v13, 1, v7
	v_cmp_le_u32_e32 vcc, s43, v11
	v_cndmask_b32_e32 v7, v7, v13, vcc
	v_mul_lo_u32 v11, v7, s43
	v_sub_u32_e32 v9, v9, v11
	v_mad_u64_u32 v[14:15], s[44:45], s44, v9, v[14:15]
	s_cbranch_scc1 .LBB27_22
.LBB27_23:                              ;   in Loop: Header=BB27_3 Depth=1
	v_mad_u64_u32 v[14:15], s[40:41], s55, v7, v[14:15]
	v_mov_b32_e32 v15, v3
.LBB27_24:                              ;   in Loop: Header=BB27_3 Depth=1
	s_or_b64 exec, exec, s[2:3]
	v_pk_mov_b32 v[16:17], 0, 0
	v_or_b32_e32 v7, 3, v34
	v_cmp_lt_i32_e32 vcc, 3, v36
	v_pk_mov_b32 v[18:19], v[16:17], v[16:17] op_sel:[0,1]
	s_and_saveexec_b64 s[40:41], vcc
	s_cbranch_execz .LBB27_26
; %bb.25:                               ;   in Loop: Header=BB27_3 Depth=1
	s_waitcnt vmcnt(0)
	v_mul_hi_u32 v9, v7, v1
	v_mul_lo_u32 v11, v9, s54
	v_sub_u32_e32 v11, v7, v11
	v_add_u32_e32 v13, 1, v9
	v_cmp_le_u32_e64 s[2:3], s54, v11
	v_cndmask_b32_e64 v9, v9, v13, s[2:3]
	v_subrev_u32_e32 v13, s54, v11
	v_cndmask_b32_e64 v11, v11, v13, s[2:3]
	v_add_u32_e32 v13, 1, v9
	v_cmp_le_u32_e64 s[2:3], s54, v11
	v_cndmask_b32_e64 v9, v9, v13, s[2:3]
	v_mul_lo_u32 v11, v9, s54
	v_sub_u32_e32 v11, v7, v11
	s_waitcnt lgkmcnt(0)
	v_mul_lo_u32 v18, v11, s15
	v_mad_u64_u32 v[18:19], s[2:3], v9, s14, v[18:19]
	v_mov_b32_e32 v19, v3
.LBB27_26:                              ;   in Loop: Header=BB27_3 Depth=1
	s_or_b64 exec, exec, s[40:41]
	s_and_saveexec_b64 s[2:3], vcc
	s_cbranch_execz .LBB27_31
; %bb.27:                               ;   in Loop: Header=BB27_3 Depth=1
	s_and_b64 vcc, exec, s[0:1]
	v_mov_b32_e32 v16, 0
	s_cbranch_vccnz .LBB27_30
; %bb.28:                               ;   in Loop: Header=BB27_3 Depth=1
	v_mov_b32_e32 v16, 0
	s_mov_b64 s[0:1], s[20:21]
	s_mov_b32 s40, s58
.LBB27_29:                              ;   Parent Loop BB27_3 Depth=1
                                        ; =>  This Inner Loop Header: Depth=2
	s_load_dword s41, s[0:1], 0x0
	s_load_dword s42, s[0:1], 0x64
	s_waitcnt vmcnt(0)
	v_mov_b32_e32 v9, v7
	s_add_i32 s40, s40, -1
	s_waitcnt lgkmcnt(0)
	v_cvt_f32_u32_e32 v7, s41
	s_sub_i32 s43, 0, s41
	s_add_u32 s0, s0, -4
	s_addc_u32 s1, s1, -1
	v_rcp_iflag_f32_e32 v7, v7
	s_cmp_gt_u32 s40, 2
	v_mul_f32_e32 v7, 0x4f7ffffe, v7
	v_cvt_u32_f32_e32 v7, v7
	v_mul_lo_u32 v11, s43, v7
	v_mul_hi_u32 v11, v7, v11
	v_add_u32_e32 v7, v7, v11
	v_mul_hi_u32 v7, v9, v7
	v_mul_lo_u32 v11, v7, s41
	v_sub_u32_e32 v11, v9, v11
	v_add_u32_e32 v13, 1, v7
	v_cmp_le_u32_e32 vcc, s41, v11
	v_cndmask_b32_e32 v7, v7, v13, vcc
	v_subrev_u32_e32 v13, s41, v11
	v_cndmask_b32_e32 v11, v11, v13, vcc
	v_add_u32_e32 v13, 1, v7
	v_cmp_le_u32_e32 vcc, s41, v11
	v_cndmask_b32_e32 v7, v7, v13, vcc
	v_mul_lo_u32 v11, v7, s41
	v_sub_u32_e32 v9, v9, v11
	v_mad_u64_u32 v[16:17], s[42:43], s42, v9, v[16:17]
	s_cbranch_scc1 .LBB27_29
.LBB27_30:                              ;   in Loop: Header=BB27_3 Depth=1
	v_mad_u64_u32 v[16:17], s[0:1], s55, v7, v[16:17]
	v_mov_b32_e32 v17, v3
.LBB27_31:                              ;   in Loop: Header=BB27_3 Depth=1
	s_or_b64 exec, exec, s[2:3]
	v_lshlrev_b64 v[16:17], 2, v[16:17]
	s_waitcnt lgkmcnt(0)
	v_mov_b32_e32 v7, s17
	v_add_co_u32_e32 v16, vcc, s16, v16
	v_addc_co_u32_e32 v17, vcc, v7, v17, vcc
	global_load_dword v9, v[16:17], off
	s_andn2_b64 vcc, exec, s[4:5]
	v_pk_mov_b32 v[16:17], s[10:11], s[10:11] op_sel:[0,1]
	v_pk_mov_b32 v[20:21], s[8:9], s[8:9] op_sel:[0,1]
	s_cbranch_vccnz .LBB27_33
; %bb.32:                               ;   in Loop: Header=BB27_3 Depth=1
	v_pk_mov_b32 v[16:17], s[10:11], s[10:11] op_sel:[0,1]
	flat_load_dwordx2 v[16:17], v[16:17]
	v_pk_mov_b32 v[20:21], s[8:9], s[8:9] op_sel:[0,1]
	flat_load_dwordx2 v[20:21], v[20:21]
	v_mov_b32_e32 v7, s7
	s_waitcnt vmcnt(0) lgkmcnt(0)
	v_add_co_u32_e32 v16, vcc, s6, v16
	v_addc_co_u32_e32 v17, vcc, v17, v7, vcc
.LBB27_33:                              ;   in Loop: Header=BB27_3 Depth=1
	v_alignbit_b32 v7, v17, v16, 2
	v_lshrrev_b32_e32 v13, 2, v17
	v_xor_b32_e32 v22, v4, v20
	v_and_b32_e32 v11, 3, v16
	v_mad_u64_u32 v[16:17], s[0:1], v7, s59, 0
	v_xor_b32_e32 v22, v22, v13
	v_xor_b32_e32 v17, v17, v21
	v_add_u32_e32 v40, 0xbb67ae85, v21
	v_mad_u64_u32 v[22:23], s[0:1], v22, s59, 0
	v_mad_u64_u32 v[24:25], s[0:1], v17, s56, 0
	v_xor_b32_e32 v23, v40, v23
	v_add_u32_e32 v39, 0x9e3779b9, v20
	v_xor_b32_e32 v17, v0, v25
	v_xor_b32_e32 v23, v23, v16
	v_xor_b32_e32 v17, v17, v39
	v_add_u32_e32 v41, 0x3c6ef372, v20
	v_mad_u64_u32 v[26:27], s[0:1], v23, s56, 0
	v_add_u32_e32 v42, 0x76cf5d0a, v21
	v_mad_u64_u32 v[16:17], s[0:1], v17, s59, 0
	v_xor_b32_e32 v23, v41, v27
	v_xor_b32_e32 v23, v23, v24
	v_xor_b32_e32 v17, v42, v17
	v_xor_b32_e32 v17, v17, v22
	v_add_u32_e32 v44, 0x32370b8f, v21
	v_mad_u64_u32 v[22:23], s[0:1], v23, s59, 0
	v_add_u32_e32 v43, 0xdaa66d2b, v20
	v_mad_u64_u32 v[24:25], s[0:1], v17, s56, 0
	v_xor_b32_e32 v23, v44, v23
	;; [unrolled: 8-line block ×5, first 2 shown]
	v_xor_b32_e32 v23, v23, v24
	v_xor_b32_e32 v17, v50, v17
	;; [unrolled: 1-line block ×3, first 2 shown]
	v_add_u32_e32 v52, 0x1fd5c5a3, v21
	v_mad_u64_u32 v[22:23], s[0:1], v23, s59, 0
	v_xor_b32_e32 v23, v52, v23
	v_xor_b32_e32 v16, v23, v16
	v_add_u32_e32 v51, 0x5384540f, v20
	v_mad_u64_u32 v[28:29], s[0:1], v17, s56, 0
	v_add_co_u32_e32 v37, vcc, s60, v20
	v_mad_u64_u32 v[24:25], s[0:1], v16, s56, 0
	v_xor_b32_e32 v17, v51, v29
	v_xor_b32_e32 v16, v37, v25
	;; [unrolled: 1-line block ×4, first 2 shown]
	v_mad_u64_u32 v[26:27], s[0:1], v17, s59, 0
	v_mad_u64_u32 v[16:17], s[0:1], v16, s59, 0
	v_add_co_u32_e32 v7, vcc, 1, v7
	v_xor_b32_e32 v17, v17, v26
	v_cndmask_b32_e64 v26, 0, 1, vcc
	v_addc_co_u32_e32 v13, vcc, 0, v13, vcc
	v_cmp_eq_u32_e32 vcc, 0, v13
	v_cndmask_b32_e32 v26, 0, v26, vcc
	v_add_u32_e32 v30, v26, v5
	v_cmp_eq_u32_e32 vcc, 0, v30
	v_mad_u64_u32 v[30:31], s[0:1], v30, s56, 0
	v_mad_u64_u32 v[28:29], s[0:1], v7, s59, 0
	v_xor_b32_e32 v7, v31, v20
	v_cndmask_b32_e32 v26, 0, v26, vcc
	v_xor_b32_e32 v7, v13, v7
	v_xor_b32_e32 v13, v29, v21
	;; [unrolled: 1-line block ×3, first 2 shown]
	v_mad_u64_u32 v[32:33], s[0:1], v13, s56, 0
	v_add_u32_e32 v23, 0xdb3d7428, v21
	v_add_u32_e32 v25, 0x8ff34781, v20
	v_add_u32_e32 v38, 0x96a522ad, v21
	v_mad_u64_u32 v[20:21], s[0:1], v7, s59, 0
	v_xor_b32_e32 v7, v39, v33
	v_xor_b32_e32 v7, v7, v30
	v_xor_b32_e32 v13, v40, v21
	v_xor_b32_e32 v13, v13, v28
	v_mad_u64_u32 v[28:29], s[0:1], v7, s59, 0
	v_mad_u64_u32 v[30:31], s[0:1], v13, s56, 0
	v_xor_b32_e32 v13, v42, v29
	v_xor_b32_e32 v7, v41, v31
	v_xor_b32_e32 v13, v13, v20
	v_xor_b32_e32 v7, v7, v32
	v_mad_u64_u32 v[32:33], s[0:1], v13, s56, 0
	v_mad_u64_u32 v[20:21], s[0:1], v7, s59, 0
	v_xor_b32_e32 v7, v43, v33
	v_xor_b32_e32 v7, v7, v30
	v_xor_b32_e32 v13, v44, v21
	v_xor_b32_e32 v13, v13, v28
	v_mad_u64_u32 v[28:29], s[0:1], v7, s59, 0
	v_mad_u64_u32 v[30:31], s[0:1], v13, s56, 0
	v_xor_b32_e32 v13, v46, v29
	v_xor_b32_e32 v7, v45, v31
	v_xor_b32_e32 v13, v13, v20
	v_xor_b32_e32 v7, v7, v32
	v_mad_u64_u32 v[32:33], s[0:1], v13, s56, 0
	v_mad_u64_u32 v[20:21], s[0:1], v7, s59, 0
	v_xor_b32_e32 v7, v47, v33
	v_xor_b32_e32 v7, v7, v30
	v_xor_b32_e32 v13, v48, v21
	v_xor_b32_e32 v13, v13, v28
	v_mad_u64_u32 v[30:31], s[0:1], v7, s59, 0
	v_mad_u64_u32 v[40:41], s[0:1], v13, s56, 0
	v_xor_b32_e32 v13, v50, v31
	v_xor_b32_e32 v7, v49, v41
	v_xor_b32_e32 v13, v13, v20
	v_xor_b32_e32 v7, v7, v32
	v_mad_u64_u32 v[28:29], s[0:1], v13, s56, 0
	v_mad_u64_u32 v[20:21], s[0:1], v7, s59, 0
	v_xor_b32_e32 v7, v51, v29
	v_xor_b32_e32 v7, v7, v40
	v_xor_b32_e32 v13, v52, v21
	v_xor_b32_e32 v13, v13, v30
	v_mad_u64_u32 v[30:31], s[0:1], v7, s59, 0
	v_xor_b32_e32 v7, v23, v31
	v_xor_b32_e32 v7, v7, v20
	v_mad_u64_u32 v[32:33], s[0:1], v13, s56, 0
	v_mad_u64_u32 v[20:21], s[0:1], v7, s56, 0
	v_xor_b32_e32 v7, v21, v32
	v_xor_b32_e32 v17, v38, v17
	v_xor_b32_e32 v7, v25, v7
	v_cmp_lt_i32_e32 vcc, 1, v11
                                        ; implicit-def: $vgpr13
	s_and_saveexec_b64 s[0:1], vcc
	s_xor_b64 s[0:1], exec, s[0:1]
	s_cbranch_execz .LBB27_39
; %bb.34:                               ;   in Loop: Header=BB27_3 Depth=1
	v_cmp_lt_i32_e32 vcc, 2, v11
                                        ; implicit-def: $vgpr13
	s_and_saveexec_b64 s[2:3], vcc
	s_xor_b64 s[2:3], exec, s[2:3]
; %bb.35:                               ;   in Loop: Header=BB27_3 Depth=1
	v_xor_b32_e32 v11, v37, v33
	v_xor_b32_e32 v11, v11, v28
	v_mul_hi_u32 v11, v11, s59
	v_xor_b32_e32 v11, v11, v30
	v_xor_b32_e32 v13, v38, v11
                                        ; implicit-def: $vgpr17
; %bb.36:                               ;   in Loop: Header=BB27_3 Depth=1
	s_andn2_saveexec_b64 s[2:3], s[2:3]
; %bb.37:                               ;   in Loop: Header=BB27_3 Depth=1
	v_mov_b32_e32 v13, v20
	v_mov_b32_e32 v20, v7
	;; [unrolled: 1-line block ×4, first 2 shown]
; %bb.38:                               ;   in Loop: Header=BB27_3 Depth=1
	s_or_b64 exec, exec, s[2:3]
                                        ; implicit-def: $vgpr22_vgpr23
                                        ; implicit-def: $vgpr24_vgpr25
                                        ; implicit-def: $vgpr11
                                        ; implicit-def: $vgpr17
                                        ; implicit-def: $vgpr26_vgpr27
                                        ; implicit-def: $vgpr23
                                        ; implicit-def: $vgpr25
.LBB27_39:                              ;   in Loop: Header=BB27_3 Depth=1
	s_andn2_saveexec_b64 s[0:1], s[0:1]
	s_cbranch_execz .LBB27_43
; %bb.40:                               ;   in Loop: Header=BB27_3 Depth=1
	v_xor_b32_e32 v13, v23, v27
	v_xor_b32_e32 v13, v13, v22
	v_mad_u64_u32 v[22:23], s[2:3], v13, s56, 0
	v_xor_b32_e32 v13, v23, v24
	v_xor_b32_e32 v21, v25, v13
	v_cmp_eq_u32_e32 vcc, 1, v11
	v_mov_b32_e32 v13, v16
	v_mov_b32_e32 v20, v17
	;; [unrolled: 1-line block ×3, first 2 shown]
	s_and_saveexec_b64 s[2:3], vcc
; %bb.41:                               ;   in Loop: Header=BB27_3 Depth=1
	v_mov_b32_e32 v13, v7
	v_mov_b32_e32 v20, v16
	;; [unrolled: 1-line block ×4, first 2 shown]
; %bb.42:                               ;   in Loop: Header=BB27_3 Depth=1
	s_or_b64 exec, exec, s[2:3]
	v_mov_b32_e32 v16, v21
	v_mov_b32_e32 v7, v11
.LBB27_43:                              ;   in Loop: Header=BB27_3 Depth=1
	s_or_b64 exec, exec, s[0:1]
	v_min_i32_e32 v11, 4, v36
	v_cmp_lt_i32_e32 vcc, 2, v11
	s_mov_b64 s[2:3], 0
	s_mov_b64 s[50:51], 0
	s_mov_b64 s[40:41], 0
                                        ; implicit-def: $sgpr42_sgpr43
                                        ; implicit-def: $sgpr44_sgpr45
                                        ; implicit-def: $sgpr46_sgpr47
	s_and_saveexec_b64 s[0:1], vcc
	s_xor_b64 s[48:49], exec, s[0:1]
	s_cbranch_execz .LBB27_55
; %bb.44:                               ;   in Loop: Header=BB27_3 Depth=1
	v_cmp_lt_i32_e32 vcc, 3, v11
	s_mov_b64 s[0:1], -1
	s_mov_b64 s[52:53], 0
                                        ; implicit-def: $sgpr40_sgpr41
                                        ; implicit-def: $sgpr42_sgpr43
	s_and_saveexec_b64 s[44:45], vcc
	s_cbranch_execz .LBB27_50
; %bb.45:                               ;   in Loop: Header=BB27_3 Depth=1
	v_cmp_eq_u32_e32 vcc, 4, v11
	s_mov_b64 s[0:1], 0
	s_mov_b64 s[52:53], -1
                                        ; implicit-def: $sgpr40_sgpr41
                                        ; implicit-def: $sgpr42_sgpr43
	s_and_saveexec_b64 s[46:47], vcc
	s_cbranch_execz .LBB27_49
; %bb.46:                               ;   in Loop: Header=BB27_3 Depth=1
	s_waitcnt vmcnt(0)
	v_cmp_le_f32_e32 vcc, 0, v9
	v_cmp_ge_f32_e64 s[0:1], 1.0, v9
	s_and_b64 s[52:53], vcc, s[0:1]
	s_mov_b64 s[40:41], 0
	s_mov_b64 s[0:1], 0
	s_and_saveexec_b64 s[42:43], s[52:53]
	s_cbranch_execz .LBB27_48
; %bb.47:                               ;   in Loop: Header=BB27_3 Depth=1
	v_cvt_f32_u32_e32 v13, v13
	v_mov_b32_e32 v17, 0x2f800000
	v_mov_b32_e32 v21, s13
	v_add_co_u32_e32 v18, vcc, s12, v18
	v_fmac_f32_e32 v17, 0x2f800000, v13
	v_addc_co_u32_e32 v19, vcc, v21, v19, vcc
	v_cmp_le_f32_e32 vcc, v17, v9
	s_mov_b64 s[0:1], exec
	v_cndmask_b32_e64 v9, 0, 1, vcc
	global_store_byte v[18:19], v9, off
.LBB27_48:                              ;   in Loop: Header=BB27_3 Depth=1
	s_or_b64 exec, exec, s[42:43]
	s_mov_b64 s[42:43], -1
	s_xor_b64 s[52:53], exec, -1
	s_and_b64 s[0:1], s[0:1], exec
.LBB27_49:                              ;   in Loop: Header=BB27_3 Depth=1
	s_or_b64 exec, exec, s[46:47]
	s_and_b64 s[52:53], s[52:53], exec
	s_orn2_b64 s[0:1], s[0:1], exec
.LBB27_50:                              ;   in Loop: Header=BB27_3 Depth=1
	s_or_b64 exec, exec, s[44:45]
	s_mov_b64 s[46:47], s[40:41]
	s_and_saveexec_b64 s[44:45], s[0:1]
	s_cbranch_execz .LBB27_54
; %bb.51:                               ;   in Loop: Header=BB27_3 Depth=1
	v_lshlrev_b64 v[14:15], 2, v[14:15]
	s_waitcnt vmcnt(0)
	v_mov_b32_e32 v9, s17
	v_add_co_u32_e32 v14, vcc, s16, v14
	v_addc_co_u32_e32 v15, vcc, v9, v15, vcc
	global_load_dword v9, v[14:15], off
	s_waitcnt vmcnt(0)
	v_cmp_le_f32_e32 vcc, 0, v9
	v_cmp_ge_f32_e64 s[0:1], 1.0, v9
	s_and_b64 s[46:47], vcc, s[0:1]
	s_mov_b64 s[0:1], 0
	s_and_saveexec_b64 s[50:51], s[46:47]
	s_xor_b64 s[46:47], exec, s[50:51]
	s_cbranch_execz .LBB27_53
; %bb.52:                               ;   in Loop: Header=BB27_3 Depth=1
	v_cvt_f32_u32_e32 v13, v20
	v_mov_b32_e32 v14, 0x2f800000
	s_mov_b64 s[0:1], exec
	v_fmac_f32_e32 v14, 0x2f800000, v13
	v_cmp_le_f32_e32 vcc, v14, v9
	v_cndmask_b32_e64 v9, 0, 1, vcc
	global_store_byte v12, v9, s[12:13]
.LBB27_53:                              ;   in Loop: Header=BB27_3 Depth=1
	s_or_b64 exec, exec, s[46:47]
	s_andn2_b64 s[46:47], s[40:41], exec
	s_or_b64 s[40:41], s[40:41], exec
	s_andn2_b64 s[42:43], s[42:43], exec
	s_and_b64 s[50:51], s[0:1], exec
.LBB27_54:                              ;   in Loop: Header=BB27_3 Depth=1
	s_or_b64 exec, exec, s[44:45]
	s_and_b64 s[46:47], s[46:47], exec
	s_and_b64 s[44:45], s[40:41], exec
	;; [unrolled: 1-line block ×5, first 2 shown]
.LBB27_55:                              ;   in Loop: Header=BB27_3 Depth=1
	s_andn2_saveexec_b64 s[0:1], s[48:49]
; %bb.56:                               ;   in Loop: Header=BB27_3 Depth=1
	v_cmp_lt_i32_e32 vcc, 1, v11
	s_andn2_b64 s[48:49], s[50:51], exec
	s_and_b64 s[50:51], vcc, exec
	s_mov_b64 s[2:3], exec
	s_andn2_b64 s[46:47], s[46:47], exec
	s_andn2_b64 s[44:45], s[44:45], exec
	;; [unrolled: 1-line block ×3, first 2 shown]
	s_or_b64 s[50:51], s[48:49], s[50:51]
; %bb.57:                               ;   in Loop: Header=BB27_3 Depth=1
	s_or_b64 exec, exec, s[0:1]
	s_mov_b64 s[0:1], 0
	s_mov_b64 s[48:49], s[46:47]
	s_and_saveexec_b64 s[52:53], s[50:51]
	s_cbranch_execnz .LBB27_60
; %bb.58:                               ;   in Loop: Header=BB27_3 Depth=1
	s_or_b64 exec, exec, s[52:53]
	s_and_saveexec_b64 s[50:51], s[2:3]
	s_cbranch_execnz .LBB27_63
.LBB27_59:                              ;   in Loop: Header=BB27_3 Depth=1
	s_or_b64 exec, exec, s[50:51]
	s_and_saveexec_b64 s[2:3], s[0:1]
	s_cbranch_execnz .LBB27_64
	s_branch .LBB27_67
.LBB27_60:                              ;   in Loop: Header=BB27_3 Depth=1
	v_lshlrev_b64 v[12:13], 2, v[2:3]
	v_mov_b32_e32 v2, s17
	v_add_co_u32_e32 v12, vcc, s16, v12
	v_addc_co_u32_e32 v13, vcc, v2, v13, vcc
	global_load_dword v2, v[12:13], off
	s_waitcnt vmcnt(0)
	v_cmp_le_f32_e32 vcc, 0, v2
	v_cmp_ge_f32_e64 s[0:1], 1.0, v2
	s_and_b64 s[48:49], vcc, s[0:1]
	s_mov_b64 s[0:1], 0
	s_and_saveexec_b64 s[50:51], s[48:49]
	s_xor_b64 s[48:49], exec, s[50:51]
	s_cbranch_execz .LBB27_62
; %bb.61:                               ;   in Loop: Header=BB27_3 Depth=1
	v_cvt_f32_u32_e32 v7, v7
	v_mov_b32_e32 v9, 0x2f800000
	s_mov_b64 s[0:1], exec
	v_fmac_f32_e32 v9, 0x2f800000, v7
	v_cmp_le_f32_e32 vcc, v9, v2
	v_cndmask_b32_e64 v2, 0, 1, vcc
	global_store_byte v10, v2, s[12:13]
.LBB27_62:                              ;   in Loop: Header=BB27_3 Depth=1
	s_or_b64 exec, exec, s[48:49]
	s_andn2_b64 s[48:49], s[46:47], exec
	s_or_b64 s[46:47], s[46:47], exec
	s_andn2_b64 s[44:45], s[44:45], exec
	s_andn2_b64 s[42:43], s[42:43], exec
	s_and_b64 s[0:1], s[0:1], exec
	s_andn2_b64 s[2:3], s[2:3], exec
	s_or_b64 exec, exec, s[52:53]
	s_and_saveexec_b64 s[50:51], s[2:3]
	s_cbranch_execz .LBB27_59
.LBB27_63:                              ;   in Loop: Header=BB27_3 Depth=1
	v_cmp_eq_u32_e32 vcc, 1, v11
	s_andn2_b64 s[0:1], s[0:1], exec
	s_and_b64 s[2:3], vcc, exec
	s_andn2_b64 s[48:49], s[48:49], exec
	s_andn2_b64 s[46:47], s[46:47], exec
	;; [unrolled: 1-line block ×4, first 2 shown]
	s_or_b64 s[40:41], s[40:41], exec
	s_or_b64 s[0:1], s[0:1], s[2:3]
	s_or_b64 exec, exec, s[50:51]
	s_and_saveexec_b64 s[2:3], s[0:1]
	s_cbranch_execz .LBB27_67
.LBB27_64:                              ;   in Loop: Header=BB27_3 Depth=1
	s_waitcnt vmcnt(0)
	v_mov_b32_e32 v9, v3
	v_lshlrev_b64 v[8:9], 2, v[8:9]
	v_mov_b32_e32 v2, s17
	v_add_co_u32_e32 v8, vcc, s16, v8
	v_addc_co_u32_e32 v9, vcc, v2, v9, vcc
	global_load_dword v2, v[8:9], off
	s_waitcnt vmcnt(0)
	v_cmp_le_f32_e32 vcc, 0, v2
	v_cmp_ge_f32_e64 s[0:1], 1.0, v2
	s_and_b64 s[52:53], vcc, s[0:1]
	s_mov_b64 s[0:1], 0
	s_and_saveexec_b64 s[50:51], s[52:53]
	s_cbranch_execz .LBB27_66
; %bb.65:                               ;   in Loop: Header=BB27_3 Depth=1
	v_cvt_f32_u32_e32 v7, v16
	v_mov_b32_e32 v8, 0x2f800000
	s_mov_b64 s[0:1], exec
	v_fmac_f32_e32 v8, 0x2f800000, v7
	v_cmp_le_f32_e32 vcc, v8, v2
	v_cndmask_b32_e64 v2, 0, 1, vcc
	global_store_byte v6, v2, s[12:13]
.LBB27_66:                              ;   in Loop: Header=BB27_3 Depth=1
	s_or_b64 exec, exec, s[50:51]
	s_andn2_b64 s[40:41], s[40:41], exec
	s_and_b64 s[0:1], s[0:1], exec
	s_or_b64 s[48:49], s[48:49], exec
	s_andn2_b64 s[46:47], s[46:47], exec
	s_andn2_b64 s[44:45], s[44:45], exec
	s_andn2_b64 s[42:43], s[42:43], exec
	s_or_b64 s[40:41], s[40:41], s[0:1]
.LBB27_67:                              ;   in Loop: Header=BB27_3 Depth=1
	s_or_b64 exec, exec, s[2:3]
	s_andn2_b64 s[2:3], s[38:39], exec
	s_and_b64 s[38:39], s[48:49], exec
	s_or_b64 s[38:39], s[2:3], s[38:39]
	s_andn2_b64 s[2:3], s[36:37], exec
	s_and_b64 s[36:37], s[46:47], exec
	s_or_b64 s[36:37], s[2:3], s[36:37]
	s_andn2_b64 s[2:3], s[34:35], exec
	s_and_b64 s[34:35], s[44:45], exec
	s_or_b64 s[34:35], s[2:3], s[34:35]
	s_andn2_b64 s[2:3], s[30:31], exec
	s_and_b64 s[30:31], s[42:43], exec
	s_mov_b64 s[0:1], -1
	s_or_b64 s[30:31], s[2:3], s[30:31]
	s_and_saveexec_b64 s[2:3], s[40:41]
	s_cbranch_execz .LBB27_2
; %bb.68:                               ;   in Loop: Header=BB27_3 Depth=1
	v_add_u32_e32 v34, s57, v34
	v_cmp_le_u32_e32 vcc, s33, v34
	s_andn2_b64 s[38:39], s[38:39], exec
	s_andn2_b64 s[36:37], s[36:37], exec
	;; [unrolled: 1-line block ×4, first 2 shown]
	s_orn2_b64 s[0:1], vcc, exec
	s_branch .LBB27_2
.LBB27_69:
	s_or_b64 exec, exec, s[22:23]
	s_xor_b64 s[6:7], s[28:29], -1
	s_xor_b64 s[8:9], s[26:27], -1
	;; [unrolled: 1-line block ×3, first 2 shown]
	s_mov_b64 s[2:3], 0
	s_and_saveexec_b64 s[4:5], s[0:1]
	s_xor_b64 s[0:1], exec, s[4:5]
	s_cbranch_execnz .LBB27_74
; %bb.70:
	s_andn2_saveexec_b64 s[0:1], s[0:1]
	s_cbranch_execnz .LBB27_82
.LBB27_71:
	s_or_b64 exec, exec, s[0:1]
	s_and_b64 exec, exec, s[2:3]
.LBB27_72:
	; divergent unreachable
.LBB27_73:
	s_endpgm
.LBB27_74:
	s_mov_b64 s[4:5], 0
	s_and_saveexec_b64 s[2:3], s[8:9]
	s_xor_b64 s[2:3], exec, s[2:3]
	s_cbranch_execz .LBB27_80
; %bb.75:
	s_and_saveexec_b64 s[8:9], s[6:7]
	s_xor_b64 s[6:7], exec, s[8:9]
	s_cbranch_execz .LBB27_78
; %bb.76:
	s_and_saveexec_b64 s[8:9], s[18:19]
	s_xor_b64 s[8:9], exec, s[8:9]
	s_cbranch_execnz .LBB27_85
.LBB27_77:
	s_or_b64 exec, exec, s[8:9]
	s_and_b64 s[4:5], s[4:5], exec
.LBB27_78:
	s_andn2_saveexec_b64 s[6:7], s[6:7]
	s_cbranch_execnz .LBB27_84
.LBB27_79:
	s_or_b64 exec, exec, s[6:7]
	s_and_b64 s[4:5], s[4:5], exec
.LBB27_80:
	s_andn2_saveexec_b64 s[2:3], s[2:3]
	s_cbranch_execnz .LBB27_83
.LBB27_81:
	s_or_b64 exec, exec, s[2:3]
	s_and_b64 s[2:3], s[4:5], exec
	s_andn2_saveexec_b64 s[0:1], s[0:1]
	s_cbranch_execz .LBB27_71
.LBB27_82:
	s_or_b64 s[2:3], s[2:3], exec
	s_trap 2
	s_or_b64 exec, exec, s[0:1]
	s_and_b64 exec, exec, s[2:3]
	s_cbranch_execnz .LBB27_72
	s_branch .LBB27_73
.LBB27_83:
	s_or_b64 s[4:5], s[4:5], exec
	s_trap 2
	s_branch .LBB27_81
.LBB27_84:
	s_trap 2
	s_or_b64 s[4:5], s[4:5], exec
	s_branch .LBB27_79
.LBB27_85:
	s_mov_b64 s[4:5], exec
	s_trap 2
	s_branch .LBB27_77
	.section	.rodata,"a",@progbits
	.p2align	6, 0x0
	.amdhsa_kernel _ZN2at4cuda12_GLOBAL__N_121kernelPointwiseApply2IZNS_6native9templates4cuda28bernoulli_tensor_cuda_kernelIafEEvRKNS_10TensorBaseES9_NS_15PhiloxCudaStateEEUliRaSB_SB_SB_RKfSD_SD_SD_E_aSC_jLi2ELin1ELi4ELi512ELi2EEEvNS0_6detail10TensorInfoIT0_T2_EENSG_IT1_SI_EESI_T_
		.amdhsa_group_segment_fixed_size 0
		.amdhsa_private_segment_fixed_size 0
		.amdhsa_kernarg_size 728
		.amdhsa_user_sgpr_count 6
		.amdhsa_user_sgpr_private_segment_buffer 1
		.amdhsa_user_sgpr_dispatch_ptr 0
		.amdhsa_user_sgpr_queue_ptr 0
		.amdhsa_user_sgpr_kernarg_segment_ptr 1
		.amdhsa_user_sgpr_dispatch_id 0
		.amdhsa_user_sgpr_flat_scratch_init 0
		.amdhsa_user_sgpr_kernarg_preload_length 0
		.amdhsa_user_sgpr_kernarg_preload_offset 0
		.amdhsa_user_sgpr_private_segment_size 0
		.amdhsa_uses_dynamic_stack 0
		.amdhsa_system_sgpr_private_segment_wavefront_offset 0
		.amdhsa_system_sgpr_workgroup_id_x 1
		.amdhsa_system_sgpr_workgroup_id_y 0
		.amdhsa_system_sgpr_workgroup_id_z 0
		.amdhsa_system_sgpr_workgroup_info 0
		.amdhsa_system_vgpr_workitem_id 0
		.amdhsa_next_free_vgpr 53
		.amdhsa_next_free_sgpr 61
		.amdhsa_accum_offset 56
		.amdhsa_reserve_vcc 1
		.amdhsa_reserve_flat_scratch 0
		.amdhsa_float_round_mode_32 0
		.amdhsa_float_round_mode_16_64 0
		.amdhsa_float_denorm_mode_32 3
		.amdhsa_float_denorm_mode_16_64 3
		.amdhsa_dx10_clamp 1
		.amdhsa_ieee_mode 1
		.amdhsa_fp16_overflow 0
		.amdhsa_tg_split 0
		.amdhsa_exception_fp_ieee_invalid_op 0
		.amdhsa_exception_fp_denorm_src 0
		.amdhsa_exception_fp_ieee_div_zero 0
		.amdhsa_exception_fp_ieee_overflow 0
		.amdhsa_exception_fp_ieee_underflow 0
		.amdhsa_exception_fp_ieee_inexact 0
		.amdhsa_exception_int_div_zero 0
	.end_amdhsa_kernel
	.section	.text._ZN2at4cuda12_GLOBAL__N_121kernelPointwiseApply2IZNS_6native9templates4cuda28bernoulli_tensor_cuda_kernelIafEEvRKNS_10TensorBaseES9_NS_15PhiloxCudaStateEEUliRaSB_SB_SB_RKfSD_SD_SD_E_aSC_jLi2ELin1ELi4ELi512ELi2EEEvNS0_6detail10TensorInfoIT0_T2_EENSG_IT1_SI_EESI_T_,"axG",@progbits,_ZN2at4cuda12_GLOBAL__N_121kernelPointwiseApply2IZNS_6native9templates4cuda28bernoulli_tensor_cuda_kernelIafEEvRKNS_10TensorBaseES9_NS_15PhiloxCudaStateEEUliRaSB_SB_SB_RKfSD_SD_SD_E_aSC_jLi2ELin1ELi4ELi512ELi2EEEvNS0_6detail10TensorInfoIT0_T2_EENSG_IT1_SI_EESI_T_,comdat
.Lfunc_end27:
	.size	_ZN2at4cuda12_GLOBAL__N_121kernelPointwiseApply2IZNS_6native9templates4cuda28bernoulli_tensor_cuda_kernelIafEEvRKNS_10TensorBaseES9_NS_15PhiloxCudaStateEEUliRaSB_SB_SB_RKfSD_SD_SD_E_aSC_jLi2ELin1ELi4ELi512ELi2EEEvNS0_6detail10TensorInfoIT0_T2_EENSG_IT1_SI_EESI_T_, .Lfunc_end27-_ZN2at4cuda12_GLOBAL__N_121kernelPointwiseApply2IZNS_6native9templates4cuda28bernoulli_tensor_cuda_kernelIafEEvRKNS_10TensorBaseES9_NS_15PhiloxCudaStateEEUliRaSB_SB_SB_RKfSD_SD_SD_E_aSC_jLi2ELin1ELi4ELi512ELi2EEEvNS0_6detail10TensorInfoIT0_T2_EENSG_IT1_SI_EESI_T_
                                        ; -- End function
	.section	.AMDGPU.csdata,"",@progbits
; Kernel info:
; codeLenInByte = 3928
; NumSgprs: 65
; NumVgprs: 53
; NumAgprs: 0
; TotalNumVgprs: 53
; ScratchSize: 0
; MemoryBound: 0
; FloatMode: 240
; IeeeMode: 1
; LDSByteSize: 0 bytes/workgroup (compile time only)
; SGPRBlocks: 8
; VGPRBlocks: 6
; NumSGPRsForWavesPerEU: 65
; NumVGPRsForWavesPerEU: 53
; AccumOffset: 56
; Occupancy: 8
; WaveLimiterHint : 1
; COMPUTE_PGM_RSRC2:SCRATCH_EN: 0
; COMPUTE_PGM_RSRC2:USER_SGPR: 6
; COMPUTE_PGM_RSRC2:TRAP_HANDLER: 0
; COMPUTE_PGM_RSRC2:TGID_X_EN: 1
; COMPUTE_PGM_RSRC2:TGID_Y_EN: 0
; COMPUTE_PGM_RSRC2:TGID_Z_EN: 0
; COMPUTE_PGM_RSRC2:TIDIG_COMP_CNT: 0
; COMPUTE_PGM_RSRC3_GFX90A:ACCUM_OFFSET: 13
; COMPUTE_PGM_RSRC3_GFX90A:TG_SPLIT: 0
	.section	.text._ZN2at4cuda12_GLOBAL__N_121kernelPointwiseApply2IZNS_6native9templates4cuda28bernoulli_tensor_cuda_kernelIafEEvRKNS_10TensorBaseES9_NS_15PhiloxCudaStateEEUliRaSB_SB_SB_RKfSD_SD_SD_E_aSC_jLin1ELi1ELi4ELi512ELi2EEEvNS0_6detail10TensorInfoIT0_T2_EENSG_IT1_SI_EESI_T_,"axG",@progbits,_ZN2at4cuda12_GLOBAL__N_121kernelPointwiseApply2IZNS_6native9templates4cuda28bernoulli_tensor_cuda_kernelIafEEvRKNS_10TensorBaseES9_NS_15PhiloxCudaStateEEUliRaSB_SB_SB_RKfSD_SD_SD_E_aSC_jLin1ELi1ELi4ELi512ELi2EEEvNS0_6detail10TensorInfoIT0_T2_EENSG_IT1_SI_EESI_T_,comdat
	.globl	_ZN2at4cuda12_GLOBAL__N_121kernelPointwiseApply2IZNS_6native9templates4cuda28bernoulli_tensor_cuda_kernelIafEEvRKNS_10TensorBaseES9_NS_15PhiloxCudaStateEEUliRaSB_SB_SB_RKfSD_SD_SD_E_aSC_jLin1ELi1ELi4ELi512ELi2EEEvNS0_6detail10TensorInfoIT0_T2_EENSG_IT1_SI_EESI_T_ ; -- Begin function _ZN2at4cuda12_GLOBAL__N_121kernelPointwiseApply2IZNS_6native9templates4cuda28bernoulli_tensor_cuda_kernelIafEEvRKNS_10TensorBaseES9_NS_15PhiloxCudaStateEEUliRaSB_SB_SB_RKfSD_SD_SD_E_aSC_jLin1ELi1ELi4ELi512ELi2EEEvNS0_6detail10TensorInfoIT0_T2_EENSG_IT1_SI_EESI_T_
	.p2align	8
	.type	_ZN2at4cuda12_GLOBAL__N_121kernelPointwiseApply2IZNS_6native9templates4cuda28bernoulli_tensor_cuda_kernelIafEEvRKNS_10TensorBaseES9_NS_15PhiloxCudaStateEEUliRaSB_SB_SB_RKfSD_SD_SD_E_aSC_jLin1ELi1ELi4ELi512ELi2EEEvNS0_6detail10TensorInfoIT0_T2_EENSG_IT1_SI_EESI_T_,@function
_ZN2at4cuda12_GLOBAL__N_121kernelPointwiseApply2IZNS_6native9templates4cuda28bernoulli_tensor_cuda_kernelIafEEvRKNS_10TensorBaseES9_NS_15PhiloxCudaStateEEUliRaSB_SB_SB_RKfSD_SD_SD_E_aSC_jLin1ELi1ELi4ELi512ELi2EEEvNS0_6detail10TensorInfoIT0_T2_EENSG_IT1_SI_EESI_T_: ; @_ZN2at4cuda12_GLOBAL__N_121kernelPointwiseApply2IZNS_6native9templates4cuda28bernoulli_tensor_cuda_kernelIafEEvRKNS_10TensorBaseES9_NS_15PhiloxCudaStateEEUliRaSB_SB_SB_RKfSD_SD_SD_E_aSC_jLin1ELi1ELi4ELi512ELi2EEEvNS0_6detail10TensorInfoIT0_T2_EENSG_IT1_SI_EESI_T_
; %bb.0:
	s_load_dword s2, s[4:5], 0x1e4
	s_load_dword s33, s[4:5], 0x1b0
	s_add_u32 s0, s4, 0x1d8
	s_addc_u32 s1, s5, 0
	s_waitcnt lgkmcnt(0)
	s_and_b32 s2, s2, 0xffff
	s_mul_i32 s6, s6, s2
	v_add_u32_e32 v5, s6, v0
	v_lshlrev_b32_e32 v30, 2, v5
	v_cmp_gt_u32_e32 vcc, s33, v30
	s_and_saveexec_b64 s[6:7], vcc
	s_cbranch_execz .LBB28_65
; %bb.1:
	s_load_dword s3, s[0:1], 0x0
	s_load_dword s62, s[4:5], 0x144
	s_load_dwordx4 s[12:15], s[4:5], 0x1b8
	s_load_dwordx2 s[10:11], s[4:5], 0xd8
	s_load_dword s6, s[4:5], 0xd0
	s_waitcnt lgkmcnt(0)
	s_mul_i32 s7, s3, s2
	s_load_dwordx2 s[16:17], s[4:5], 0x1c8
	s_load_dword s2, s[4:5], 0x1d0
	s_load_dword s63, s[4:5], 0x6c
	s_mov_b32 s64, 0xcd9e8d57
	s_load_dwordx2 s[20:21], s[4:5], 0x0
	s_cmp_gt_i32 s6, 1
	s_cselect_b64 s[0:1], -1, 0
	s_waitcnt lgkmcnt(0)
	s_bitcmp1_b32 s2, 0
	v_mad_u64_u32 v[0:1], s[2:3], v5, s64, 0
	s_cselect_b64 s[22:23], -1, 0
	s_add_i32 s2, s6, -1
	s_mov_b32 s3, 0
	s_lshl_b32 s65, s7, 2
	s_add_i32 s66, s6, 1
	s_lshl_b64 s[2:3], s[2:3], 2
	s_add_u32 s2, s2, s4
	s_addc_u32 s3, s3, s5
	v_mov_b32_e32 v4, v1
	s_add_u32 s24, s2, 8
	v_cndmask_b32_e64 v1, 0, 1, s[0:1]
	v_mov_b32_e32 v3, 0
	s_addc_u32 s25, s3, 0
	s_mov_b64 s[26:27], 0
	s_mov_b32 s67, 0xd2511f53
	v_cmp_ne_u32_e64 s[0:1], 1, v1
	s_mov_b32 s68, 0xf1bbcdc8
                                        ; implicit-def: $sgpr28_sgpr29
                                        ; implicit-def: $sgpr30_sgpr31
                                        ; implicit-def: $sgpr34_sgpr35
                                        ; implicit-def: $sgpr18_sgpr19
                                        ; implicit-def: $sgpr36_sgpr37
                                        ; implicit-def: $sgpr38_sgpr39
                                        ; implicit-def: $sgpr40_sgpr41
                                        ; implicit-def: $sgpr42_sgpr43
	s_branch .LBB28_3
.LBB28_2:                               ;   in Loop: Header=BB28_3 Depth=1
	s_or_b64 exec, exec, s[4:5]
	s_and_b64 s[2:3], exec, s[2:3]
	s_or_b64 s[26:27], s[2:3], s[26:27]
	s_andn2_b64 s[2:3], s[18:19], exec
	s_and_b64 s[4:5], s[42:43], exec
	s_or_b64 s[18:19], s[2:3], s[4:5]
	s_andn2_b64 s[2:3], s[34:35], exec
	s_and_b64 s[4:5], s[40:41], exec
	;; [unrolled: 3-line block ×4, first 2 shown]
	s_or_b64 s[28:29], s[2:3], s[4:5]
	s_andn2_b64 exec, exec, s[26:27]
	s_cbranch_execz .LBB28_61
.LBB28_3:                               ; =>This Loop Header: Depth=1
                                        ;     Child Loop BB28_6 Depth 2
                                        ;     Child Loop BB28_11 Depth 2
	;; [unrolled: 1-line block ×4, first 2 shown]
	v_sub_u32_e32 v1, s33, v30
	v_cmp_lt_i32_e64 s[2:3], 0, v1
	v_mov_b32_e32 v6, 0
	s_and_saveexec_b64 s[4:5], s[2:3]
	s_cbranch_execz .LBB28_8
; %bb.4:                                ;   in Loop: Header=BB28_3 Depth=1
	s_and_b64 vcc, exec, s[0:1]
	v_mov_b32_e32 v6, 0
	s_waitcnt vmcnt(0)
	v_mov_b32_e32 v2, v30
	s_cbranch_vccnz .LBB28_7
; %bb.5:                                ;   in Loop: Header=BB28_3 Depth=1
	v_mov_b32_e32 v6, 0
	s_mov_b64 s[6:7], s[24:25]
	s_mov_b32 s8, s66
	v_mov_b32_e32 v2, v30
.LBB28_6:                               ;   Parent Loop BB28_3 Depth=1
                                        ; =>  This Inner Loop Header: Depth=2
	s_load_dword s9, s[6:7], 0x0
	s_load_dword s44, s[6:7], 0x64
	v_mov_b32_e32 v7, v2
	s_add_i32 s8, s8, -1
	s_waitcnt lgkmcnt(0)
	v_cvt_f32_u32_e32 v2, s9
	s_sub_i32 s45, 0, s9
	s_add_u32 s6, s6, -4
	s_addc_u32 s7, s7, -1
	v_rcp_iflag_f32_e32 v2, v2
	s_cmp_gt_u32 s8, 2
	v_mul_f32_e32 v2, 0x4f7ffffe, v2
	v_cvt_u32_f32_e32 v2, v2
	v_mul_lo_u32 v8, s45, v2
	v_mul_hi_u32 v8, v2, v8
	v_add_u32_e32 v2, v2, v8
	v_mul_hi_u32 v2, v7, v2
	v_mul_lo_u32 v8, v2, s9
	v_sub_u32_e32 v8, v7, v8
	v_add_u32_e32 v9, 1, v2
	v_cmp_le_u32_e32 vcc, s9, v8
	v_cndmask_b32_e32 v2, v2, v9, vcc
	v_subrev_u32_e32 v9, s9, v8
	v_cndmask_b32_e32 v8, v8, v9, vcc
	v_add_u32_e32 v9, 1, v2
	v_cmp_le_u32_e32 vcc, s9, v8
	v_cndmask_b32_e32 v2, v2, v9, vcc
	v_mul_lo_u32 v8, v2, s9
	v_sub_u32_e32 v7, v7, v8
	v_mad_u64_u32 v[6:7], s[44:45], s44, v7, v[6:7]
	s_cbranch_scc1 .LBB28_6
.LBB28_7:                               ;   in Loop: Header=BB28_3 Depth=1
	v_mad_u64_u32 v[6:7], s[6:7], s63, v2, v[6:7]
.LBB28_8:                               ;   in Loop: Header=BB28_3 Depth=1
	s_or_b64 exec, exec, s[4:5]
	v_cmp_lt_i32_e64 s[4:5], 1, v1
	v_pk_mov_b32 v[8:9], 0, 0
	s_and_saveexec_b64 s[6:7], s[4:5]
	s_cbranch_execz .LBB28_13
; %bb.9:                                ;   in Loop: Header=BB28_3 Depth=1
	s_waitcnt vmcnt(0)
	v_or_b32_e32 v2, 1, v30
	s_and_b64 vcc, exec, s[0:1]
	v_mov_b32_e32 v8, 0
	s_cbranch_vccnz .LBB28_12
; %bb.10:                               ;   in Loop: Header=BB28_3 Depth=1
	v_mov_b32_e32 v8, 0
	s_mov_b64 s[8:9], s[24:25]
	s_mov_b32 s44, s66
.LBB28_11:                              ;   Parent Loop BB28_3 Depth=1
                                        ; =>  This Inner Loop Header: Depth=2
	s_load_dword s45, s[8:9], 0x0
	s_load_dword s46, s[8:9], 0x64
	v_mov_b32_e32 v7, v2
	s_add_i32 s44, s44, -1
	s_waitcnt lgkmcnt(0)
	v_cvt_f32_u32_e32 v2, s45
	s_sub_i32 s47, 0, s45
	s_add_u32 s8, s8, -4
	s_addc_u32 s9, s9, -1
	v_rcp_iflag_f32_e32 v2, v2
	s_cmp_gt_u32 s44, 2
	v_mul_f32_e32 v2, 0x4f7ffffe, v2
	v_cvt_u32_f32_e32 v2, v2
	v_mul_lo_u32 v9, s47, v2
	v_mul_hi_u32 v9, v2, v9
	v_add_u32_e32 v2, v2, v9
	v_mul_hi_u32 v2, v7, v2
	v_mul_lo_u32 v9, v2, s45
	v_sub_u32_e32 v9, v7, v9
	v_add_u32_e32 v10, 1, v2
	v_cmp_le_u32_e32 vcc, s45, v9
	v_cndmask_b32_e32 v2, v2, v10, vcc
	v_subrev_u32_e32 v10, s45, v9
	v_cndmask_b32_e32 v9, v9, v10, vcc
	v_add_u32_e32 v10, 1, v2
	v_cmp_le_u32_e32 vcc, s45, v9
	v_cndmask_b32_e32 v2, v2, v10, vcc
	v_mul_lo_u32 v9, v2, s45
	v_sub_u32_e32 v7, v7, v9
	v_mad_u64_u32 v[8:9], s[46:47], s46, v7, v[8:9]
	s_cbranch_scc1 .LBB28_11
.LBB28_12:                              ;   in Loop: Header=BB28_3 Depth=1
	v_mad_u64_u32 v[8:9], s[8:9], s63, v2, v[8:9]
	v_mov_b32_e32 v9, v3
.LBB28_13:                              ;   in Loop: Header=BB28_3 Depth=1
	s_or_b64 exec, exec, s[6:7]
	v_cmp_lt_i32_e64 s[6:7], 2, v1
	v_pk_mov_b32 v[10:11], 0, 0
	s_and_saveexec_b64 s[8:9], s[6:7]
	s_cbranch_execz .LBB28_18
; %bb.14:                               ;   in Loop: Header=BB28_3 Depth=1
	s_waitcnt vmcnt(0)
	v_or_b32_e32 v2, 2, v30
	s_and_b64 vcc, exec, s[0:1]
	v_mov_b32_e32 v10, 0
	s_cbranch_vccnz .LBB28_17
; %bb.15:                               ;   in Loop: Header=BB28_3 Depth=1
	v_mov_b32_e32 v10, 0
	s_mov_b64 s[44:45], s[24:25]
	s_mov_b32 s46, s66
.LBB28_16:                              ;   Parent Loop BB28_3 Depth=1
                                        ; =>  This Inner Loop Header: Depth=2
	s_load_dword s47, s[44:45], 0x0
	s_load_dword s48, s[44:45], 0x64
	v_mov_b32_e32 v7, v2
	s_add_i32 s46, s46, -1
	s_waitcnt lgkmcnt(0)
	v_cvt_f32_u32_e32 v2, s47
	s_sub_i32 s49, 0, s47
	s_add_u32 s44, s44, -4
	s_addc_u32 s45, s45, -1
	v_rcp_iflag_f32_e32 v2, v2
	s_cmp_gt_u32 s46, 2
	v_mul_f32_e32 v2, 0x4f7ffffe, v2
	v_cvt_u32_f32_e32 v2, v2
	v_mul_lo_u32 v11, s49, v2
	v_mul_hi_u32 v11, v2, v11
	v_add_u32_e32 v2, v2, v11
	v_mul_hi_u32 v2, v7, v2
	v_mul_lo_u32 v11, v2, s47
	v_sub_u32_e32 v11, v7, v11
	v_add_u32_e32 v12, 1, v2
	v_cmp_le_u32_e32 vcc, s47, v11
	v_cndmask_b32_e32 v2, v2, v12, vcc
	v_subrev_u32_e32 v12, s47, v11
	v_cndmask_b32_e32 v11, v11, v12, vcc
	v_add_u32_e32 v12, 1, v2
	v_cmp_le_u32_e32 vcc, s47, v11
	v_cndmask_b32_e32 v2, v2, v12, vcc
	v_mul_lo_u32 v11, v2, s47
	v_sub_u32_e32 v7, v7, v11
	v_mad_u64_u32 v[10:11], s[48:49], s48, v7, v[10:11]
	s_cbranch_scc1 .LBB28_16
.LBB28_17:                              ;   in Loop: Header=BB28_3 Depth=1
	v_mad_u64_u32 v[10:11], s[44:45], s63, v2, v[10:11]
	v_mov_b32_e32 v11, v3
.LBB28_18:                              ;   in Loop: Header=BB28_3 Depth=1
	s_or_b64 exec, exec, s[8:9]
	v_cmp_lt_i32_e64 s[8:9], 3, v1
	v_pk_mov_b32 v[14:15], 0, 0
	s_and_saveexec_b64 s[44:45], s[8:9]
	s_cbranch_execz .LBB28_23
; %bb.19:                               ;   in Loop: Header=BB28_3 Depth=1
	s_waitcnt vmcnt(0)
	v_or_b32_e32 v2, 3, v30
	s_and_b64 vcc, exec, s[0:1]
	v_mov_b32_e32 v12, 0
	s_cbranch_vccnz .LBB28_22
; %bb.20:                               ;   in Loop: Header=BB28_3 Depth=1
	v_mov_b32_e32 v12, 0
	s_mov_b64 s[46:47], s[24:25]
	s_mov_b32 s48, s66
.LBB28_21:                              ;   Parent Loop BB28_3 Depth=1
                                        ; =>  This Inner Loop Header: Depth=2
	s_load_dword s49, s[46:47], 0x0
	s_load_dword s50, s[46:47], 0x64
	v_mov_b32_e32 v7, v2
	s_add_i32 s48, s48, -1
	s_waitcnt lgkmcnt(0)
	v_cvt_f32_u32_e32 v2, s49
	s_sub_i32 s51, 0, s49
	s_add_u32 s46, s46, -4
	s_addc_u32 s47, s47, -1
	v_rcp_iflag_f32_e32 v2, v2
	s_cmp_gt_u32 s48, 2
	v_mul_f32_e32 v2, 0x4f7ffffe, v2
	v_cvt_u32_f32_e32 v2, v2
	v_mul_lo_u32 v13, s51, v2
	v_mul_hi_u32 v13, v2, v13
	v_add_u32_e32 v2, v2, v13
	v_mul_hi_u32 v2, v7, v2
	v_mul_lo_u32 v13, v2, s49
	v_sub_u32_e32 v13, v7, v13
	v_add_u32_e32 v14, 1, v2
	v_cmp_le_u32_e32 vcc, s49, v13
	v_cndmask_b32_e32 v2, v2, v14, vcc
	v_subrev_u32_e32 v14, s49, v13
	v_cndmask_b32_e32 v13, v13, v14, vcc
	v_add_u32_e32 v14, 1, v2
	v_cmp_le_u32_e32 vcc, s49, v13
	v_cndmask_b32_e32 v2, v2, v14, vcc
	v_mul_lo_u32 v13, v2, s49
	v_sub_u32_e32 v7, v7, v13
	v_mad_u64_u32 v[12:13], s[50:51], s50, v7, v[12:13]
	s_cbranch_scc1 .LBB28_21
.LBB28_22:                              ;   in Loop: Header=BB28_3 Depth=1
	v_mad_u64_u32 v[14:15], s[46:47], s63, v2, v[12:13]
	v_mov_b32_e32 v15, v3
.LBB28_23:                              ;   in Loop: Header=BB28_3 Depth=1
	s_or_b64 exec, exec, s[44:45]
	v_mul_lo_u32 v7, v30, s62
	v_add_u32_e32 v31, s62, v7
	v_add_u32_e32 v32, s62, v31
	s_waitcnt vmcnt(0)
	v_add_u32_e32 v2, s62, v32
	v_cndmask_b32_e64 v2, 0, v2, s[8:9]
	v_lshlrev_b64 v[12:13], 2, v[2:3]
	v_mov_b32_e32 v2, s11
	v_add_co_u32_e32 v12, vcc, s10, v12
	v_addc_co_u32_e32 v13, vcc, v2, v13, vcc
	global_load_dword v2, v[12:13], off
	s_andn2_b64 vcc, exec, s[22:23]
	v_pk_mov_b32 v[12:13], s[14:15], s[14:15] op_sel:[0,1]
	v_pk_mov_b32 v[16:17], s[12:13], s[12:13] op_sel:[0,1]
	s_cbranch_vccnz .LBB28_25
; %bb.24:                               ;   in Loop: Header=BB28_3 Depth=1
	v_pk_mov_b32 v[12:13], s[14:15], s[14:15] op_sel:[0,1]
	flat_load_dwordx2 v[12:13], v[12:13]
	v_pk_mov_b32 v[16:17], s[12:13], s[12:13] op_sel:[0,1]
	flat_load_dwordx2 v[16:17], v[16:17]
	v_mov_b32_e32 v18, s17
	s_waitcnt vmcnt(0) lgkmcnt(0)
	v_add_co_u32_e32 v12, vcc, s16, v12
	v_addc_co_u32_e32 v13, vcc, v13, v18, vcc
.LBB28_25:                              ;   in Loop: Header=BB28_3 Depth=1
	v_alignbit_b32 v26, v13, v12, 2
	v_lshrrev_b32_e32 v27, 2, v13
	v_xor_b32_e32 v18, v4, v16
	v_and_b32_e32 v33, 3, v12
	v_mad_u64_u32 v[12:13], s[8:9], v26, s67, 0
	v_xor_b32_e32 v18, v18, v27
	v_xor_b32_e32 v13, v13, v17
	v_add_u32_e32 v38, 0xbb67ae85, v17
	v_mad_u64_u32 v[18:19], s[8:9], v18, s67, 0
	v_mad_u64_u32 v[20:21], s[8:9], v13, s64, 0
	v_xor_b32_e32 v19, v38, v19
	v_add_u32_e32 v37, 0x9e3779b9, v16
	v_xor_b32_e32 v13, v0, v21
	v_xor_b32_e32 v19, v19, v12
	v_xor_b32_e32 v13, v13, v37
	v_add_u32_e32 v39, 0x3c6ef372, v16
	v_mad_u64_u32 v[22:23], s[8:9], v19, s64, 0
	v_add_u32_e32 v40, 0x76cf5d0a, v17
	v_mad_u64_u32 v[12:13], s[8:9], v13, s67, 0
	v_xor_b32_e32 v19, v39, v23
	v_xor_b32_e32 v19, v19, v20
	v_xor_b32_e32 v13, v40, v13
	v_xor_b32_e32 v13, v13, v18
	v_add_u32_e32 v42, 0x32370b8f, v17
	v_mad_u64_u32 v[18:19], s[8:9], v19, s67, 0
	v_add_u32_e32 v41, 0xdaa66d2b, v16
	v_mad_u64_u32 v[20:21], s[8:9], v13, s64, 0
	v_xor_b32_e32 v19, v42, v19
	;; [unrolled: 8-line block ×5, first 2 shown]
	v_xor_b32_e32 v19, v19, v20
	v_xor_b32_e32 v13, v48, v13
	v_xor_b32_e32 v13, v13, v18
	v_add_u32_e32 v50, 0x1fd5c5a3, v17
	v_mad_u64_u32 v[18:19], s[8:9], v19, s67, 0
	v_xor_b32_e32 v19, v50, v19
	v_xor_b32_e32 v12, v19, v12
	v_add_u32_e32 v49, 0x5384540f, v16
	v_mad_u64_u32 v[24:25], s[8:9], v13, s64, 0
	v_add_co_u32_e32 v35, vcc, s68, v16
	v_mad_u64_u32 v[20:21], s[8:9], v12, s64, 0
	v_xor_b32_e32 v13, v49, v25
	v_xor_b32_e32 v12, v35, v21
	v_xor_b32_e32 v13, v13, v22
	v_xor_b32_e32 v12, v12, v24
	v_mad_u64_u32 v[22:23], s[8:9], v13, s67, 0
	v_mad_u64_u32 v[12:13], s[8:9], v12, s67, 0
	v_add_u32_e32 v36, 0x96a522ad, v17
	v_xor_b32_e32 v13, v13, v22
	v_xor_b32_e32 v34, v36, v13
	v_add_co_u32_e32 v13, vcc, 1, v26
	v_cndmask_b32_e64 v22, 0, 1, vcc
	v_addc_co_u32_e32 v28, vcc, 0, v27, vcc
	v_cmp_eq_u32_e32 vcc, 0, v28
	v_cndmask_b32_e32 v22, 0, v22, vcc
	v_add_u32_e32 v26, v22, v5
	v_cmp_eq_u32_e32 vcc, 0, v26
	v_mad_u64_u32 v[24:25], s[8:9], v13, s67, 0
	v_mad_u64_u32 v[26:27], s[8:9], v26, s64, 0
	v_add_u32_e32 v21, 0x8ff34781, v16
	v_cndmask_b32_e32 v22, 0, v22, vcc
	v_xor_b32_e32 v13, v27, v16
	v_xor_b32_e32 v16, v25, v17
	;; [unrolled: 1-line block ×4, first 2 shown]
	v_mad_u64_u32 v[28:29], s[8:9], v22, s64, 0
	v_add_u32_e32 v19, 0xdb3d7428, v17
	v_mad_u64_u32 v[16:17], s[8:9], v13, s67, 0
	v_xor_b32_e32 v13, v37, v29
	v_xor_b32_e32 v13, v13, v26
	v_xor_b32_e32 v17, v38, v17
	v_xor_b32_e32 v17, v17, v24
	v_mad_u64_u32 v[24:25], s[8:9], v13, s67, 0
	v_mad_u64_u32 v[26:27], s[8:9], v17, s64, 0
	v_xor_b32_e32 v17, v40, v25
	v_xor_b32_e32 v13, v39, v27
	v_xor_b32_e32 v22, v17, v16
	v_xor_b32_e32 v13, v13, v28
	v_mad_u64_u32 v[28:29], s[8:9], v22, s64, 0
	;; [unrolled: 6-line block ×7, first 2 shown]
	v_xor_b32_e32 v13, v19, v27
	v_xor_b32_e32 v13, v13, v16
	v_mad_u64_u32 v[28:29], s[8:9], v17, s64, 0
	v_mad_u64_u32 v[16:17], s[8:9], v13, s64, 0
	v_xor_b32_e32 v13, v17, v28
	v_xor_b32_e32 v13, v21, v13
	v_cmp_lt_i32_e32 vcc, 1, v33
                                        ; implicit-def: $vgpr17
	s_and_saveexec_b64 s[8:9], vcc
	s_xor_b64 s[8:9], exec, s[8:9]
	s_cbranch_execz .LBB28_31
; %bb.26:                               ;   in Loop: Header=BB28_3 Depth=1
	v_cmp_lt_i32_e32 vcc, 2, v33
                                        ; implicit-def: $vgpr17
	s_and_saveexec_b64 s[44:45], vcc
	s_xor_b64 s[44:45], exec, s[44:45]
; %bb.27:                               ;   in Loop: Header=BB28_3 Depth=1
	v_xor_b32_e32 v17, v35, v29
	v_xor_b32_e32 v17, v17, v24
	v_mul_hi_u32 v17, v17, s67
	v_xor_b32_e32 v17, v17, v26
	v_xor_b32_e32 v17, v36, v17
                                        ; implicit-def: $vgpr34
; %bb.28:                               ;   in Loop: Header=BB28_3 Depth=1
	s_andn2_saveexec_b64 s[44:45], s[44:45]
; %bb.29:                               ;   in Loop: Header=BB28_3 Depth=1
	v_mov_b32_e32 v17, v16
	v_mov_b32_e32 v16, v13
	;; [unrolled: 1-line block ×4, first 2 shown]
; %bb.30:                               ;   in Loop: Header=BB28_3 Depth=1
	s_or_b64 exec, exec, s[44:45]
                                        ; implicit-def: $vgpr18_vgpr19
                                        ; implicit-def: $vgpr20_vgpr21
                                        ; implicit-def: $vgpr33
                                        ; implicit-def: $vgpr34
                                        ; implicit-def: $vgpr22_vgpr23
                                        ; implicit-def: $vgpr19
                                        ; implicit-def: $vgpr21
.LBB28_31:                              ;   in Loop: Header=BB28_3 Depth=1
	s_andn2_saveexec_b64 s[8:9], s[8:9]
	s_cbranch_execz .LBB28_35
; %bb.32:                               ;   in Loop: Header=BB28_3 Depth=1
	v_xor_b32_e32 v16, v19, v23
	v_xor_b32_e32 v16, v16, v18
	v_mad_u64_u32 v[18:19], s[44:45], v16, s64, 0
	v_xor_b32_e32 v16, v19, v20
	v_xor_b32_e32 v19, v21, v16
	v_cmp_eq_u32_e32 vcc, 1, v33
	v_mov_b32_e32 v17, v12
	v_mov_b32_e32 v16, v34
	;; [unrolled: 1-line block ×3, first 2 shown]
	s_and_saveexec_b64 s[44:45], vcc
; %bb.33:                               ;   in Loop: Header=BB28_3 Depth=1
	v_mov_b32_e32 v17, v13
	v_mov_b32_e32 v16, v12
	;; [unrolled: 1-line block ×4, first 2 shown]
; %bb.34:                               ;   in Loop: Header=BB28_3 Depth=1
	s_or_b64 exec, exec, s[44:45]
	v_mov_b32_e32 v12, v19
	v_mov_b32_e32 v13, v20
.LBB28_35:                              ;   in Loop: Header=BB28_3 Depth=1
	s_or_b64 exec, exec, s[8:9]
	v_min_i32_e32 v1, 4, v1
	v_cmp_lt_i32_e32 vcc, 2, v1
	s_mov_b64 s[44:45], 0
	s_mov_b64 s[56:57], 0
	;; [unrolled: 1-line block ×3, first 2 shown]
                                        ; implicit-def: $sgpr46_sgpr47
                                        ; implicit-def: $sgpr48_sgpr49
                                        ; implicit-def: $sgpr50_sgpr51
	s_and_saveexec_b64 s[52:53], vcc
	s_xor_b64 s[52:53], exec, s[52:53]
	s_cbranch_execz .LBB28_47
; %bb.36:                               ;   in Loop: Header=BB28_3 Depth=1
	v_cmp_lt_i32_e32 vcc, 3, v1
	s_mov_b64 s[50:51], -1
	s_mov_b64 s[54:55], 0
                                        ; implicit-def: $sgpr8_sgpr9
                                        ; implicit-def: $sgpr46_sgpr47
	s_and_saveexec_b64 s[48:49], vcc
	s_cbranch_execz .LBB28_42
; %bb.37:                               ;   in Loop: Header=BB28_3 Depth=1
	v_cmp_eq_u32_e32 vcc, 4, v1
	s_mov_b64 s[58:59], 0
	s_mov_b64 s[60:61], -1
                                        ; implicit-def: $sgpr8_sgpr9
                                        ; implicit-def: $sgpr46_sgpr47
	s_and_saveexec_b64 s[50:51], vcc
	s_cbranch_execz .LBB28_41
; %bb.38:                               ;   in Loop: Header=BB28_3 Depth=1
	s_waitcnt vmcnt(0)
	v_cmp_le_f32_e32 vcc, 0, v2
	v_cmp_ge_f32_e64 s[8:9], 1.0, v2
	s_and_b64 s[58:59], vcc, s[8:9]
	s_mov_b64 s[8:9], 0
	s_and_saveexec_b64 s[46:47], s[58:59]
	s_cbranch_execz .LBB28_40
; %bb.39:                               ;   in Loop: Header=BB28_3 Depth=1
	v_cvt_f32_u32_e32 v17, v17
	v_mov_b32_e32 v18, 0x2f800000
	v_mov_b32_e32 v19, s21
	v_add_co_u32_e32 v14, vcc, s20, v14
	v_fmac_f32_e32 v18, 0x2f800000, v17
	v_addc_co_u32_e32 v15, vcc, v19, v15, vcc
	v_cmp_le_f32_e32 vcc, v18, v2
	s_mov_b64 s[56:57], exec
	v_cndmask_b32_e64 v2, 0, 1, vcc
	global_store_byte v[14:15], v2, off
.LBB28_40:                              ;   in Loop: Header=BB28_3 Depth=1
	s_or_b64 exec, exec, s[46:47]
	s_mov_b64 s[46:47], -1
	s_xor_b64 s[60:61], exec, -1
	s_and_b64 s[58:59], s[56:57], exec
.LBB28_41:                              ;   in Loop: Header=BB28_3 Depth=1
	s_or_b64 exec, exec, s[50:51]
	s_and_b64 s[56:57], s[60:61], exec
	s_orn2_b64 s[50:51], s[58:59], exec
.LBB28_42:                              ;   in Loop: Header=BB28_3 Depth=1
	s_or_b64 exec, exec, s[48:49]
	s_mov_b64 s[58:59], s[8:9]
	s_and_saveexec_b64 s[48:49], s[50:51]
	s_cbranch_execz .LBB28_46
; %bb.43:                               ;   in Loop: Header=BB28_3 Depth=1
	s_waitcnt vmcnt(0)
	v_cndmask_b32_e64 v2, 0, v32, s[6:7]
	v_lshlrev_b64 v[14:15], 2, v[2:3]
	v_mov_b32_e32 v2, s11
	v_add_co_u32_e32 v14, vcc, s10, v14
	v_addc_co_u32_e32 v15, vcc, v2, v15, vcc
	global_load_dword v2, v[14:15], off
	s_waitcnt vmcnt(0)
	v_cmp_le_f32_e32 vcc, 0, v2
	v_cmp_ge_f32_e64 s[6:7], 1.0, v2
	s_and_b64 s[50:51], vcc, s[6:7]
	s_mov_b64 s[6:7], 0
	s_and_saveexec_b64 s[54:55], s[50:51]
	s_xor_b64 s[50:51], exec, s[54:55]
	s_cbranch_execz .LBB28_45
; %bb.44:                               ;   in Loop: Header=BB28_3 Depth=1
	v_cvt_f32_u32_e32 v14, v16
	v_mov_b32_e32 v15, 0x2f800000
	v_mov_b32_e32 v16, s21
	v_add_co_u32_e32 v10, vcc, s20, v10
	v_fmac_f32_e32 v15, 0x2f800000, v14
	v_addc_co_u32_e32 v11, vcc, v16, v11, vcc
	v_cmp_le_f32_e32 vcc, v15, v2
	v_cndmask_b32_e64 v2, 0, 1, vcc
	s_mov_b64 s[6:7], exec
	global_store_byte v[10:11], v2, off
.LBB28_45:                              ;   in Loop: Header=BB28_3 Depth=1
	s_or_b64 exec, exec, s[50:51]
	s_andn2_b64 s[58:59], s[8:9], exec
	s_or_b64 s[8:9], s[8:9], exec
	s_andn2_b64 s[46:47], s[46:47], exec
	s_and_b64 s[54:55], s[6:7], exec
.LBB28_46:                              ;   in Loop: Header=BB28_3 Depth=1
	s_or_b64 exec, exec, s[48:49]
	s_and_b64 s[50:51], s[58:59], exec
	s_and_b64 s[48:49], s[8:9], exec
	;; [unrolled: 1-line block ×5, first 2 shown]
.LBB28_47:                              ;   in Loop: Header=BB28_3 Depth=1
	s_andn2_saveexec_b64 s[6:7], s[52:53]
; %bb.48:                               ;   in Loop: Header=BB28_3 Depth=1
	v_cmp_lt_i32_e32 vcc, 1, v1
	s_andn2_b64 s[52:53], s[56:57], exec
	s_and_b64 s[54:55], vcc, exec
	s_mov_b64 s[44:45], exec
	s_andn2_b64 s[50:51], s[50:51], exec
	s_andn2_b64 s[48:49], s[48:49], exec
	;; [unrolled: 1-line block ×3, first 2 shown]
	s_or_b64 s[56:57], s[52:53], s[54:55]
; %bb.49:                               ;   in Loop: Header=BB28_3 Depth=1
	s_or_b64 exec, exec, s[6:7]
	s_mov_b64 s[52:53], 0
	s_mov_b64 s[6:7], s[50:51]
	s_and_saveexec_b64 s[54:55], s[56:57]
	s_cbranch_execnz .LBB28_52
; %bb.50:                               ;   in Loop: Header=BB28_3 Depth=1
	s_or_b64 exec, exec, s[54:55]
	s_and_saveexec_b64 s[4:5], s[44:45]
	s_cbranch_execnz .LBB28_55
.LBB28_51:                              ;   in Loop: Header=BB28_3 Depth=1
	s_or_b64 exec, exec, s[4:5]
	s_and_saveexec_b64 s[4:5], s[52:53]
	s_cbranch_execnz .LBB28_56
	s_branch .LBB28_59
.LBB28_52:                              ;   in Loop: Header=BB28_3 Depth=1
	s_waitcnt vmcnt(0)
	v_cndmask_b32_e64 v2, 0, v31, s[4:5]
	v_lshlrev_b64 v[10:11], 2, v[2:3]
	v_mov_b32_e32 v2, s11
	v_add_co_u32_e32 v10, vcc, s10, v10
	v_addc_co_u32_e32 v11, vcc, v2, v11, vcc
	global_load_dword v2, v[10:11], off
	s_waitcnt vmcnt(0)
	v_cmp_le_f32_e32 vcc, 0, v2
	v_cmp_ge_f32_e64 s[4:5], 1.0, v2
	s_and_b64 s[6:7], vcc, s[4:5]
	s_mov_b64 s[4:5], 0
	s_and_saveexec_b64 s[52:53], s[6:7]
	s_xor_b64 s[6:7], exec, s[52:53]
	s_cbranch_execz .LBB28_54
; %bb.53:                               ;   in Loop: Header=BB28_3 Depth=1
	v_cvt_f32_u32_e32 v10, v13
	v_mov_b32_e32 v11, 0x2f800000
	v_mov_b32_e32 v13, s21
	v_add_co_u32_e32 v8, vcc, s20, v8
	v_fmac_f32_e32 v11, 0x2f800000, v10
	v_addc_co_u32_e32 v9, vcc, v13, v9, vcc
	v_cmp_le_f32_e32 vcc, v11, v2
	v_cndmask_b32_e64 v2, 0, 1, vcc
	s_mov_b64 s[4:5], exec
	global_store_byte v[8:9], v2, off
.LBB28_54:                              ;   in Loop: Header=BB28_3 Depth=1
	s_or_b64 exec, exec, s[6:7]
	s_andn2_b64 s[6:7], s[50:51], exec
	s_or_b64 s[50:51], s[50:51], exec
	s_andn2_b64 s[48:49], s[48:49], exec
	s_andn2_b64 s[46:47], s[46:47], exec
	s_and_b64 s[52:53], s[4:5], exec
	s_andn2_b64 s[44:45], s[44:45], exec
	s_or_b64 exec, exec, s[54:55]
	s_and_saveexec_b64 s[4:5], s[44:45]
	s_cbranch_execz .LBB28_51
.LBB28_55:                              ;   in Loop: Header=BB28_3 Depth=1
	v_cmp_eq_u32_e32 vcc, 1, v1
	s_andn2_b64 s[44:45], s[52:53], exec
	s_and_b64 s[52:53], vcc, exec
	s_andn2_b64 s[6:7], s[6:7], exec
	s_andn2_b64 s[50:51], s[50:51], exec
	;; [unrolled: 1-line block ×4, first 2 shown]
	s_or_b64 s[8:9], s[8:9], exec
	s_or_b64 s[52:53], s[44:45], s[52:53]
	s_or_b64 exec, exec, s[4:5]
	s_and_saveexec_b64 s[4:5], s[52:53]
	s_cbranch_execz .LBB28_59
.LBB28_56:                              ;   in Loop: Header=BB28_3 Depth=1
	s_waitcnt vmcnt(0)
	v_cndmask_b32_e64 v2, 0, v7, s[2:3]
	v_lshlrev_b64 v[8:9], 2, v[2:3]
	v_mov_b32_e32 v1, s11
	v_add_co_u32_e32 v8, vcc, s10, v8
	v_addc_co_u32_e32 v9, vcc, v1, v9, vcc
	global_load_dword v1, v[8:9], off
	s_waitcnt vmcnt(0)
	v_cmp_le_f32_e32 vcc, 0, v1
	v_cmp_ge_f32_e64 s[2:3], 1.0, v1
	s_and_b64 s[52:53], vcc, s[2:3]
	s_mov_b64 s[2:3], 0
	s_and_saveexec_b64 s[44:45], s[52:53]
	s_cbranch_execz .LBB28_58
; %bb.57:                               ;   in Loop: Header=BB28_3 Depth=1
	v_cvt_f32_u32_e32 v2, v12
	v_mov_b32_e32 v7, 0x2f800000
	s_mov_b64 s[2:3], exec
	v_fmac_f32_e32 v7, 0x2f800000, v2
	v_cmp_le_f32_e32 vcc, v7, v1
	v_cndmask_b32_e64 v1, 0, 1, vcc
	global_store_byte v6, v1, s[20:21]
.LBB28_58:                              ;   in Loop: Header=BB28_3 Depth=1
	s_or_b64 exec, exec, s[44:45]
	s_andn2_b64 s[8:9], s[8:9], exec
	s_and_b64 s[2:3], s[2:3], exec
	s_or_b64 s[6:7], s[6:7], exec
	s_andn2_b64 s[50:51], s[50:51], exec
	s_andn2_b64 s[48:49], s[48:49], exec
	;; [unrolled: 1-line block ×3, first 2 shown]
	s_or_b64 s[8:9], s[8:9], s[2:3]
.LBB28_59:                              ;   in Loop: Header=BB28_3 Depth=1
	s_or_b64 exec, exec, s[4:5]
	s_andn2_b64 s[4:5], s[42:43], exec
	s_and_b64 s[6:7], s[6:7], exec
	s_or_b64 s[42:43], s[4:5], s[6:7]
	s_andn2_b64 s[4:5], s[40:41], exec
	s_and_b64 s[6:7], s[50:51], exec
	s_or_b64 s[40:41], s[4:5], s[6:7]
	;; [unrolled: 3-line block ×3, first 2 shown]
	s_andn2_b64 s[4:5], s[36:37], exec
	s_and_b64 s[6:7], s[46:47], exec
	s_mov_b64 s[2:3], -1
	s_or_b64 s[36:37], s[4:5], s[6:7]
	s_and_saveexec_b64 s[4:5], s[8:9]
	s_cbranch_execz .LBB28_2
; %bb.60:                               ;   in Loop: Header=BB28_3 Depth=1
	v_add_u32_e32 v30, s65, v30
	v_cmp_le_u32_e32 vcc, s33, v30
	s_andn2_b64 s[42:43], s[42:43], exec
	s_andn2_b64 s[40:41], s[40:41], exec
	;; [unrolled: 1-line block ×4, first 2 shown]
	s_orn2_b64 s[2:3], vcc, exec
	s_branch .LBB28_2
.LBB28_61:
	s_or_b64 exec, exec, s[26:27]
	s_xor_b64 s[6:7], s[34:35], -1
	s_xor_b64 s[8:9], s[30:31], -1
	;; [unrolled: 1-line block ×3, first 2 shown]
	s_mov_b64 s[2:3], 0
	s_and_saveexec_b64 s[4:5], s[0:1]
	s_xor_b64 s[0:1], exec, s[4:5]
	s_cbranch_execnz .LBB28_66
; %bb.62:
	s_andn2_saveexec_b64 s[0:1], s[0:1]
	s_cbranch_execnz .LBB28_74
.LBB28_63:
	s_or_b64 exec, exec, s[0:1]
	s_and_b64 exec, exec, s[2:3]
.LBB28_64:
	; divergent unreachable
.LBB28_65:
	s_endpgm
.LBB28_66:
	s_mov_b64 s[4:5], 0
	s_and_saveexec_b64 s[2:3], s[8:9]
	s_xor_b64 s[2:3], exec, s[2:3]
	s_cbranch_execz .LBB28_72
; %bb.67:
	s_and_saveexec_b64 s[8:9], s[6:7]
	s_xor_b64 s[6:7], exec, s[8:9]
	s_cbranch_execz .LBB28_70
; %bb.68:
	s_and_saveexec_b64 s[8:9], s[18:19]
	s_xor_b64 s[8:9], exec, s[8:9]
	s_cbranch_execnz .LBB28_77
.LBB28_69:
	s_or_b64 exec, exec, s[8:9]
	s_and_b64 s[4:5], s[4:5], exec
.LBB28_70:
	s_andn2_saveexec_b64 s[6:7], s[6:7]
	s_cbranch_execnz .LBB28_76
.LBB28_71:
	s_or_b64 exec, exec, s[6:7]
	s_and_b64 s[4:5], s[4:5], exec
.LBB28_72:
	s_andn2_saveexec_b64 s[2:3], s[2:3]
	s_cbranch_execnz .LBB28_75
.LBB28_73:
	s_or_b64 exec, exec, s[2:3]
	s_and_b64 s[2:3], s[4:5], exec
	s_andn2_saveexec_b64 s[0:1], s[0:1]
	s_cbranch_execz .LBB28_63
.LBB28_74:
	s_or_b64 s[2:3], s[2:3], exec
	s_trap 2
	s_or_b64 exec, exec, s[0:1]
	s_and_b64 exec, exec, s[2:3]
	s_cbranch_execnz .LBB28_64
	s_branch .LBB28_65
.LBB28_75:
	s_or_b64 s[4:5], s[4:5], exec
	s_trap 2
	s_branch .LBB28_73
.LBB28_76:
	s_trap 2
	s_or_b64 s[4:5], s[4:5], exec
	s_branch .LBB28_71
.LBB28_77:
	s_mov_b64 s[4:5], exec
	s_trap 2
	s_branch .LBB28_69
	.section	.rodata,"a",@progbits
	.p2align	6, 0x0
	.amdhsa_kernel _ZN2at4cuda12_GLOBAL__N_121kernelPointwiseApply2IZNS_6native9templates4cuda28bernoulli_tensor_cuda_kernelIafEEvRKNS_10TensorBaseES9_NS_15PhiloxCudaStateEEUliRaSB_SB_SB_RKfSD_SD_SD_E_aSC_jLin1ELi1ELi4ELi512ELi2EEEvNS0_6detail10TensorInfoIT0_T2_EENSG_IT1_SI_EESI_T_
		.amdhsa_group_segment_fixed_size 0
		.amdhsa_private_segment_fixed_size 0
		.amdhsa_kernarg_size 728
		.amdhsa_user_sgpr_count 6
		.amdhsa_user_sgpr_private_segment_buffer 1
		.amdhsa_user_sgpr_dispatch_ptr 0
		.amdhsa_user_sgpr_queue_ptr 0
		.amdhsa_user_sgpr_kernarg_segment_ptr 1
		.amdhsa_user_sgpr_dispatch_id 0
		.amdhsa_user_sgpr_flat_scratch_init 0
		.amdhsa_user_sgpr_kernarg_preload_length 0
		.amdhsa_user_sgpr_kernarg_preload_offset 0
		.amdhsa_user_sgpr_private_segment_size 0
		.amdhsa_uses_dynamic_stack 0
		.amdhsa_system_sgpr_private_segment_wavefront_offset 0
		.amdhsa_system_sgpr_workgroup_id_x 1
		.amdhsa_system_sgpr_workgroup_id_y 0
		.amdhsa_system_sgpr_workgroup_id_z 0
		.amdhsa_system_sgpr_workgroup_info 0
		.amdhsa_system_vgpr_workitem_id 0
		.amdhsa_next_free_vgpr 51
		.amdhsa_next_free_sgpr 69
		.amdhsa_accum_offset 52
		.amdhsa_reserve_vcc 1
		.amdhsa_reserve_flat_scratch 0
		.amdhsa_float_round_mode_32 0
		.amdhsa_float_round_mode_16_64 0
		.amdhsa_float_denorm_mode_32 3
		.amdhsa_float_denorm_mode_16_64 3
		.amdhsa_dx10_clamp 1
		.amdhsa_ieee_mode 1
		.amdhsa_fp16_overflow 0
		.amdhsa_tg_split 0
		.amdhsa_exception_fp_ieee_invalid_op 0
		.amdhsa_exception_fp_denorm_src 0
		.amdhsa_exception_fp_ieee_div_zero 0
		.amdhsa_exception_fp_ieee_overflow 0
		.amdhsa_exception_fp_ieee_underflow 0
		.amdhsa_exception_fp_ieee_inexact 0
		.amdhsa_exception_int_div_zero 0
	.end_amdhsa_kernel
	.section	.text._ZN2at4cuda12_GLOBAL__N_121kernelPointwiseApply2IZNS_6native9templates4cuda28bernoulli_tensor_cuda_kernelIafEEvRKNS_10TensorBaseES9_NS_15PhiloxCudaStateEEUliRaSB_SB_SB_RKfSD_SD_SD_E_aSC_jLin1ELi1ELi4ELi512ELi2EEEvNS0_6detail10TensorInfoIT0_T2_EENSG_IT1_SI_EESI_T_,"axG",@progbits,_ZN2at4cuda12_GLOBAL__N_121kernelPointwiseApply2IZNS_6native9templates4cuda28bernoulli_tensor_cuda_kernelIafEEvRKNS_10TensorBaseES9_NS_15PhiloxCudaStateEEUliRaSB_SB_SB_RKfSD_SD_SD_E_aSC_jLin1ELi1ELi4ELi512ELi2EEEvNS0_6detail10TensorInfoIT0_T2_EENSG_IT1_SI_EESI_T_,comdat
.Lfunc_end28:
	.size	_ZN2at4cuda12_GLOBAL__N_121kernelPointwiseApply2IZNS_6native9templates4cuda28bernoulli_tensor_cuda_kernelIafEEvRKNS_10TensorBaseES9_NS_15PhiloxCudaStateEEUliRaSB_SB_SB_RKfSD_SD_SD_E_aSC_jLin1ELi1ELi4ELi512ELi2EEEvNS0_6detail10TensorInfoIT0_T2_EENSG_IT1_SI_EESI_T_, .Lfunc_end28-_ZN2at4cuda12_GLOBAL__N_121kernelPointwiseApply2IZNS_6native9templates4cuda28bernoulli_tensor_cuda_kernelIafEEvRKNS_10TensorBaseES9_NS_15PhiloxCudaStateEEUliRaSB_SB_SB_RKfSD_SD_SD_E_aSC_jLin1ELi1ELi4ELi512ELi2EEEvNS0_6detail10TensorInfoIT0_T2_EENSG_IT1_SI_EESI_T_
                                        ; -- End function
	.section	.AMDGPU.csdata,"",@progbits
; Kernel info:
; codeLenInByte = 3452
; NumSgprs: 73
; NumVgprs: 51
; NumAgprs: 0
; TotalNumVgprs: 51
; ScratchSize: 0
; MemoryBound: 0
; FloatMode: 240
; IeeeMode: 1
; LDSByteSize: 0 bytes/workgroup (compile time only)
; SGPRBlocks: 9
; VGPRBlocks: 6
; NumSGPRsForWavesPerEU: 73
; NumVGPRsForWavesPerEU: 51
; AccumOffset: 52
; Occupancy: 8
; WaveLimiterHint : 1
; COMPUTE_PGM_RSRC2:SCRATCH_EN: 0
; COMPUTE_PGM_RSRC2:USER_SGPR: 6
; COMPUTE_PGM_RSRC2:TRAP_HANDLER: 0
; COMPUTE_PGM_RSRC2:TGID_X_EN: 1
; COMPUTE_PGM_RSRC2:TGID_Y_EN: 0
; COMPUTE_PGM_RSRC2:TGID_Z_EN: 0
; COMPUTE_PGM_RSRC2:TIDIG_COMP_CNT: 0
; COMPUTE_PGM_RSRC3_GFX90A:ACCUM_OFFSET: 12
; COMPUTE_PGM_RSRC3_GFX90A:TG_SPLIT: 0
	.section	.text._ZN2at4cuda12_GLOBAL__N_121kernelPointwiseApply2IZNS_6native9templates4cuda28bernoulli_tensor_cuda_kernelIafEEvRKNS_10TensorBaseES9_NS_15PhiloxCudaStateEEUliRaSB_SB_SB_RKfSD_SD_SD_E_aSC_jLin1ELi2ELi4ELi512ELi2EEEvNS0_6detail10TensorInfoIT0_T2_EENSG_IT1_SI_EESI_T_,"axG",@progbits,_ZN2at4cuda12_GLOBAL__N_121kernelPointwiseApply2IZNS_6native9templates4cuda28bernoulli_tensor_cuda_kernelIafEEvRKNS_10TensorBaseES9_NS_15PhiloxCudaStateEEUliRaSB_SB_SB_RKfSD_SD_SD_E_aSC_jLin1ELi2ELi4ELi512ELi2EEEvNS0_6detail10TensorInfoIT0_T2_EENSG_IT1_SI_EESI_T_,comdat
	.globl	_ZN2at4cuda12_GLOBAL__N_121kernelPointwiseApply2IZNS_6native9templates4cuda28bernoulli_tensor_cuda_kernelIafEEvRKNS_10TensorBaseES9_NS_15PhiloxCudaStateEEUliRaSB_SB_SB_RKfSD_SD_SD_E_aSC_jLin1ELi2ELi4ELi512ELi2EEEvNS0_6detail10TensorInfoIT0_T2_EENSG_IT1_SI_EESI_T_ ; -- Begin function _ZN2at4cuda12_GLOBAL__N_121kernelPointwiseApply2IZNS_6native9templates4cuda28bernoulli_tensor_cuda_kernelIafEEvRKNS_10TensorBaseES9_NS_15PhiloxCudaStateEEUliRaSB_SB_SB_RKfSD_SD_SD_E_aSC_jLin1ELi2ELi4ELi512ELi2EEEvNS0_6detail10TensorInfoIT0_T2_EENSG_IT1_SI_EESI_T_
	.p2align	8
	.type	_ZN2at4cuda12_GLOBAL__N_121kernelPointwiseApply2IZNS_6native9templates4cuda28bernoulli_tensor_cuda_kernelIafEEvRKNS_10TensorBaseES9_NS_15PhiloxCudaStateEEUliRaSB_SB_SB_RKfSD_SD_SD_E_aSC_jLin1ELi2ELi4ELi512ELi2EEEvNS0_6detail10TensorInfoIT0_T2_EENSG_IT1_SI_EESI_T_,@function
_ZN2at4cuda12_GLOBAL__N_121kernelPointwiseApply2IZNS_6native9templates4cuda28bernoulli_tensor_cuda_kernelIafEEvRKNS_10TensorBaseES9_NS_15PhiloxCudaStateEEUliRaSB_SB_SB_RKfSD_SD_SD_E_aSC_jLin1ELi2ELi4ELi512ELi2EEEvNS0_6detail10TensorInfoIT0_T2_EENSG_IT1_SI_EESI_T_: ; @_ZN2at4cuda12_GLOBAL__N_121kernelPointwiseApply2IZNS_6native9templates4cuda28bernoulli_tensor_cuda_kernelIafEEvRKNS_10TensorBaseES9_NS_15PhiloxCudaStateEEUliRaSB_SB_SB_RKfSD_SD_SD_E_aSC_jLin1ELi2ELi4ELi512ELi2EEEvNS0_6detail10TensorInfoIT0_T2_EENSG_IT1_SI_EESI_T_
; %bb.0:
	s_load_dword s2, s[4:5], 0x1e4
	s_load_dword s33, s[4:5], 0x1b0
	s_add_u32 s0, s4, 0x1d8
	s_addc_u32 s1, s5, 0
	s_waitcnt lgkmcnt(0)
	s_and_b32 s2, s2, 0xffff
	s_mul_i32 s6, s6, s2
	v_add_u32_e32 v5, s6, v0
	v_lshlrev_b32_e32 v34, 2, v5
	v_cmp_gt_u32_e32 vcc, s33, v34
	s_and_saveexec_b64 s[6:7], vcc
	s_cbranch_execz .LBB29_73
; %bb.1:
	s_load_dword s56, s[4:5], 0xe4
	s_load_dwordx2 s[6:7], s[4:5], 0x144
	s_load_dword s3, s[0:1], 0x0
	s_load_dwordx2 s[12:13], s[4:5], 0xd8
	;; [unrolled: 2-line block ×3, first 2 shown]
	s_load_dwordx4 s[8:11], s[4:5], 0x1b8
	s_waitcnt lgkmcnt(0)
	v_cvt_f32_u32_e32 v0, s56
	s_mul_i32 s21, s3, s2
	s_load_dword s2, s[4:5], 0x1d0
	s_load_dword s57, s[4:5], 0x6c
	s_cmp_gt_i32 s20, 1
	v_rcp_iflag_f32_e32 v2, v0
	s_mov_b32 s58, 0xcd9e8d57
	s_cselect_b64 s[0:1], -1, 0
	s_waitcnt lgkmcnt(0)
	s_bitcmp1_b32 s2, 0
	v_mul_f32_e32 v2, 0x4f7ffffe, v2
	v_cvt_u32_f32_e32 v2, v2
	v_mad_u64_u32 v[0:1], s[2:3], v5, s58, 0
	s_cselect_b64 s[18:19], -1, 0
	s_sub_i32 s2, 0, s56
	s_mov_b32 s3, 0
	v_mov_b32_e32 v4, v1
	v_mul_lo_u32 v1, s2, v2
	s_add_i32 s2, s20, -1
	s_load_dwordx2 s[16:17], s[4:5], 0x0
	s_lshl_b32 s59, s21, 2
	s_add_i32 s60, s20, 1
	s_lshl_b64 s[2:3], s[2:3], 2
	s_add_u32 s2, s2, s4
	v_mul_hi_u32 v1, v2, v1
	s_addc_u32 s3, s3, s5
	v_add_u32_e32 v1, v2, v1
	s_add_u32 s20, s2, 8
	v_cndmask_b32_e64 v2, 0, 1, s[0:1]
	v_mov_b32_e32 v3, 0
	s_addc_u32 s21, s3, 0
	s_mov_b64 s[22:23], 0
	s_mov_b32 s61, 0xd2511f53
	v_cmp_ne_u32_e64 s[0:1], 1, v2
	s_mov_b32 s62, 0xf1bbcdc8
                                        ; implicit-def: $sgpr24_sgpr25
                                        ; implicit-def: $sgpr26_sgpr27
                                        ; implicit-def: $sgpr28_sgpr29
                                        ; implicit-def: $sgpr4_sgpr5
                                        ; implicit-def: $sgpr30_sgpr31
                                        ; implicit-def: $sgpr34_sgpr35
                                        ; implicit-def: $sgpr36_sgpr37
                                        ; implicit-def: $sgpr38_sgpr39
	s_branch .LBB29_3
.LBB29_2:                               ;   in Loop: Header=BB29_3 Depth=1
	s_or_b64 exec, exec, s[40:41]
	s_and_b64 s[2:3], exec, s[2:3]
	s_or_b64 s[22:23], s[2:3], s[22:23]
	s_andn2_b64 s[2:3], s[4:5], exec
	s_and_b64 s[4:5], s[38:39], exec
	s_or_b64 s[4:5], s[2:3], s[4:5]
	s_andn2_b64 s[2:3], s[28:29], exec
	s_and_b64 s[28:29], s[36:37], exec
	;; [unrolled: 3-line block ×4, first 2 shown]
	s_or_b64 s[24:25], s[2:3], s[24:25]
	s_andn2_b64 exec, exec, s[22:23]
	s_cbranch_execz .LBB29_69
.LBB29_3:                               ; =>This Loop Header: Depth=1
                                        ;     Child Loop BB29_6 Depth 2
                                        ;     Child Loop BB29_13 Depth 2
	;; [unrolled: 1-line block ×4, first 2 shown]
	v_sub_u32_e32 v35, s33, v34
	v_cmp_lt_i32_e64 s[2:3], 0, v35
	v_mov_b32_e32 v6, 0
	s_and_saveexec_b64 s[40:41], s[2:3]
	s_cbranch_execz .LBB29_8
; %bb.4:                                ;   in Loop: Header=BB29_3 Depth=1
	s_and_b64 vcc, exec, s[0:1]
	v_mov_b32_e32 v6, 0
	v_mov_b32_e32 v2, v34
	s_cbranch_vccnz .LBB29_7
; %bb.5:                                ;   in Loop: Header=BB29_3 Depth=1
	v_mov_b32_e32 v6, 0
	s_mov_b64 s[42:43], s[20:21]
	s_mov_b32 s44, s60
	v_mov_b32_e32 v2, v34
.LBB29_6:                               ;   Parent Loop BB29_3 Depth=1
                                        ; =>  This Inner Loop Header: Depth=2
	s_load_dword s45, s[42:43], 0x0
	s_load_dword s46, s[42:43], 0x64
	v_mov_b32_e32 v7, v2
	s_add_i32 s44, s44, -1
	s_waitcnt lgkmcnt(0)
	v_cvt_f32_u32_e32 v2, s45
	s_sub_i32 s47, 0, s45
	s_add_u32 s42, s42, -4
	s_addc_u32 s43, s43, -1
	v_rcp_iflag_f32_e32 v2, v2
	s_cmp_gt_u32 s44, 2
	v_mul_f32_e32 v2, 0x4f7ffffe, v2
	v_cvt_u32_f32_e32 v2, v2
	v_mul_lo_u32 v8, s47, v2
	v_mul_hi_u32 v8, v2, v8
	v_add_u32_e32 v2, v2, v8
	v_mul_hi_u32 v2, v7, v2
	v_mul_lo_u32 v8, v2, s45
	v_sub_u32_e32 v8, v7, v8
	s_waitcnt vmcnt(0)
	v_add_u32_e32 v9, 1, v2
	v_cmp_le_u32_e32 vcc, s45, v8
	v_cndmask_b32_e32 v2, v2, v9, vcc
	v_subrev_u32_e32 v9, s45, v8
	v_cndmask_b32_e32 v8, v8, v9, vcc
	v_add_u32_e32 v9, 1, v2
	v_cmp_le_u32_e32 vcc, s45, v8
	v_cndmask_b32_e32 v2, v2, v9, vcc
	v_mul_lo_u32 v8, v2, s45
	v_sub_u32_e32 v7, v7, v8
	v_mad_u64_u32 v[6:7], s[46:47], s46, v7, v[6:7]
	s_cbranch_scc1 .LBB29_6
.LBB29_7:                               ;   in Loop: Header=BB29_3 Depth=1
	v_mad_u64_u32 v[6:7], s[42:43], s57, v2, v[6:7]
.LBB29_8:                               ;   in Loop: Header=BB29_3 Depth=1
	s_or_b64 exec, exec, s[40:41]
	v_mov_b32_e32 v10, 0
	v_mov_b32_e32 v8, 0
	s_and_saveexec_b64 s[40:41], s[2:3]
	s_cbranch_execz .LBB29_10
; %bb.9:                                ;   in Loop: Header=BB29_3 Depth=1
	v_mul_hi_u32 v2, v34, v1
	v_mul_lo_u32 v7, v2, s56
	v_sub_u32_e32 v7, v34, v7
	v_add_u32_e32 v8, 1, v2
	v_cmp_le_u32_e32 vcc, s56, v7
	v_cndmask_b32_e32 v2, v2, v8, vcc
	v_subrev_u32_e32 v8, s56, v7
	v_cndmask_b32_e32 v7, v7, v8, vcc
	v_add_u32_e32 v8, 1, v2
	v_cmp_le_u32_e32 vcc, s56, v7
	v_cndmask_b32_e32 v7, v2, v8, vcc
	v_mul_lo_u32 v2, v7, s56
	v_sub_u32_e32 v2, v34, v2
	v_mul_lo_u32 v2, v2, s7
	s_waitcnt vmcnt(0)
	v_mad_u64_u32 v[8:9], s[2:3], v7, s6, v[2:3]
.LBB29_10:                              ;   in Loop: Header=BB29_3 Depth=1
	s_or_b64 exec, exec, s[40:41]
	v_or_b32_e32 v7, 1, v34
	v_cmp_lt_i32_e64 s[2:3], 1, v35
	s_and_saveexec_b64 s[40:41], s[2:3]
	s_cbranch_execz .LBB29_15
; %bb.11:                               ;   in Loop: Header=BB29_3 Depth=1
	s_and_b64 vcc, exec, s[0:1]
	v_mov_b32_e32 v10, 0
	v_mov_b32_e32 v2, v7
	s_cbranch_vccnz .LBB29_14
; %bb.12:                               ;   in Loop: Header=BB29_3 Depth=1
	v_mov_b32_e32 v10, 0
	s_mov_b64 s[42:43], s[20:21]
	s_mov_b32 s44, s60
	v_mov_b32_e32 v2, v7
.LBB29_13:                              ;   Parent Loop BB29_3 Depth=1
                                        ; =>  This Inner Loop Header: Depth=2
	s_load_dword s45, s[42:43], 0x0
	s_load_dword s46, s[42:43], 0x64
	s_waitcnt vmcnt(0)
	v_mov_b32_e32 v9, v2
	s_add_i32 s44, s44, -1
	s_waitcnt lgkmcnt(0)
	v_cvt_f32_u32_e32 v2, s45
	s_sub_i32 s47, 0, s45
	s_add_u32 s42, s42, -4
	s_addc_u32 s43, s43, -1
	v_rcp_iflag_f32_e32 v2, v2
	s_cmp_gt_u32 s44, 2
	v_mul_f32_e32 v2, 0x4f7ffffe, v2
	v_cvt_u32_f32_e32 v2, v2
	v_mul_lo_u32 v11, s47, v2
	v_mul_hi_u32 v11, v2, v11
	v_add_u32_e32 v2, v2, v11
	v_mul_hi_u32 v2, v9, v2
	v_mul_lo_u32 v11, v2, s45
	v_sub_u32_e32 v11, v9, v11
	v_add_u32_e32 v12, 1, v2
	v_cmp_le_u32_e32 vcc, s45, v11
	v_cndmask_b32_e32 v2, v2, v12, vcc
	v_subrev_u32_e32 v12, s45, v11
	v_cndmask_b32_e32 v11, v11, v12, vcc
	v_add_u32_e32 v12, 1, v2
	v_cmp_le_u32_e32 vcc, s45, v11
	v_cndmask_b32_e32 v2, v2, v12, vcc
	v_mul_lo_u32 v11, v2, s45
	v_sub_u32_e32 v9, v9, v11
	v_mad_u64_u32 v[10:11], s[46:47], s46, v9, v[10:11]
	s_cbranch_scc1 .LBB29_13
.LBB29_14:                              ;   in Loop: Header=BB29_3 Depth=1
	v_mad_u64_u32 v[10:11], s[42:43], s57, v2, v[10:11]
.LBB29_15:                              ;   in Loop: Header=BB29_3 Depth=1
	s_or_b64 exec, exec, s[40:41]
	v_mov_b32_e32 v2, 0
	s_and_saveexec_b64 s[40:41], s[2:3]
	s_cbranch_execz .LBB29_17
; %bb.16:                               ;   in Loop: Header=BB29_3 Depth=1
	v_mul_hi_u32 v2, v7, v1
	s_waitcnt vmcnt(0)
	v_mul_lo_u32 v9, v2, s56
	v_sub_u32_e32 v9, v7, v9
	v_add_u32_e32 v11, 1, v2
	v_cmp_le_u32_e32 vcc, s56, v9
	v_cndmask_b32_e32 v2, v2, v11, vcc
	v_subrev_u32_e32 v11, s56, v9
	v_cndmask_b32_e32 v9, v9, v11, vcc
	v_add_u32_e32 v11, 1, v2
	v_cmp_le_u32_e32 vcc, s56, v9
	v_cndmask_b32_e32 v9, v2, v11, vcc
	v_mul_lo_u32 v2, v9, s56
	v_sub_u32_e32 v2, v7, v2
	v_mul_lo_u32 v2, v2, s7
	v_mad_u64_u32 v[12:13], s[2:3], v9, s6, v[2:3]
	v_mov_b32_e32 v2, v12
.LBB29_17:                              ;   in Loop: Header=BB29_3 Depth=1
	s_or_b64 exec, exec, s[40:41]
	v_or_b32_e32 v7, 2, v34
	v_cmp_lt_i32_e64 s[2:3], 2, v35
	v_pk_mov_b32 v[12:13], 0, 0
	s_and_saveexec_b64 s[40:41], s[2:3]
	s_cbranch_execz .LBB29_22
; %bb.18:                               ;   in Loop: Header=BB29_3 Depth=1
	s_and_b64 vcc, exec, s[0:1]
	v_mov_b32_e32 v12, 0
	s_waitcnt vmcnt(0)
	v_mov_b32_e32 v9, v7
	s_cbranch_vccnz .LBB29_21
; %bb.19:                               ;   in Loop: Header=BB29_3 Depth=1
	v_mov_b32_e32 v12, 0
	s_mov_b64 s[42:43], s[20:21]
	s_mov_b32 s44, s60
	v_mov_b32_e32 v9, v7
.LBB29_20:                              ;   Parent Loop BB29_3 Depth=1
                                        ; =>  This Inner Loop Header: Depth=2
	s_load_dword s45, s[42:43], 0x0
	s_load_dword s46, s[42:43], 0x64
	v_mov_b32_e32 v11, v9
	s_add_i32 s44, s44, -1
	s_waitcnt lgkmcnt(0)
	v_cvt_f32_u32_e32 v9, s45
	s_sub_i32 s47, 0, s45
	s_add_u32 s42, s42, -4
	s_addc_u32 s43, s43, -1
	v_rcp_iflag_f32_e32 v9, v9
	s_cmp_gt_u32 s44, 2
	v_mul_f32_e32 v9, 0x4f7ffffe, v9
	v_cvt_u32_f32_e32 v9, v9
	v_mul_lo_u32 v13, s47, v9
	v_mul_hi_u32 v13, v9, v13
	v_add_u32_e32 v9, v9, v13
	v_mul_hi_u32 v9, v11, v9
	v_mul_lo_u32 v13, v9, s45
	v_sub_u32_e32 v13, v11, v13
	v_add_u32_e32 v14, 1, v9
	v_cmp_le_u32_e32 vcc, s45, v13
	v_cndmask_b32_e32 v9, v9, v14, vcc
	v_subrev_u32_e32 v14, s45, v13
	v_cndmask_b32_e32 v13, v13, v14, vcc
	v_add_u32_e32 v14, 1, v9
	v_cmp_le_u32_e32 vcc, s45, v13
	v_cndmask_b32_e32 v9, v9, v14, vcc
	v_mul_lo_u32 v13, v9, s45
	v_sub_u32_e32 v11, v11, v13
	v_mad_u64_u32 v[12:13], s[46:47], s46, v11, v[12:13]
	s_cbranch_scc1 .LBB29_20
.LBB29_21:                              ;   in Loop: Header=BB29_3 Depth=1
	v_mad_u64_u32 v[12:13], s[42:43], s57, v9, v[12:13]
	v_mov_b32_e32 v13, v3
.LBB29_22:                              ;   in Loop: Header=BB29_3 Depth=1
	s_or_b64 exec, exec, s[40:41]
	v_pk_mov_b32 v[18:19], 0, 0
	v_pk_mov_b32 v[14:15], v[18:19], v[18:19] op_sel:[0,1]
	s_and_saveexec_b64 s[40:41], s[2:3]
	s_cbranch_execz .LBB29_24
; %bb.23:                               ;   in Loop: Header=BB29_3 Depth=1
	s_waitcnt vmcnt(0)
	v_mul_hi_u32 v9, v7, v1
	v_mul_lo_u32 v11, v9, s56
	v_sub_u32_e32 v11, v7, v11
	v_add_u32_e32 v14, 1, v9
	v_cmp_le_u32_e32 vcc, s56, v11
	v_cndmask_b32_e32 v9, v9, v14, vcc
	v_subrev_u32_e32 v14, s56, v11
	v_cndmask_b32_e32 v11, v11, v14, vcc
	v_add_u32_e32 v14, 1, v9
	v_cmp_le_u32_e32 vcc, s56, v11
	v_cndmask_b32_e32 v9, v9, v14, vcc
	v_mul_lo_u32 v11, v9, s56
	v_sub_u32_e32 v7, v7, v11
	v_mul_lo_u32 v14, v7, s7
	v_mad_u64_u32 v[14:15], s[2:3], v9, s6, v[14:15]
	v_mov_b32_e32 v15, v3
.LBB29_24:                              ;   in Loop: Header=BB29_3 Depth=1
	s_or_b64 exec, exec, s[40:41]
	v_or_b32_e32 v7, 3, v34
	v_cmp_lt_i32_e64 s[2:3], 3, v35
	s_and_saveexec_b64 s[40:41], s[2:3]
	s_cbranch_execz .LBB29_29
; %bb.25:                               ;   in Loop: Header=BB29_3 Depth=1
	s_and_b64 vcc, exec, s[0:1]
	v_mov_b32_e32 v16, 0
	s_waitcnt vmcnt(0)
	v_mov_b32_e32 v9, v7
	s_cbranch_vccnz .LBB29_28
; %bb.26:                               ;   in Loop: Header=BB29_3 Depth=1
	v_mov_b32_e32 v16, 0
	s_mov_b64 s[42:43], s[20:21]
	s_mov_b32 s44, s60
	v_mov_b32_e32 v9, v7
.LBB29_27:                              ;   Parent Loop BB29_3 Depth=1
                                        ; =>  This Inner Loop Header: Depth=2
	s_load_dword s45, s[42:43], 0x0
	s_load_dword s46, s[42:43], 0x64
	v_mov_b32_e32 v11, v9
	s_add_i32 s44, s44, -1
	s_waitcnt lgkmcnt(0)
	v_cvt_f32_u32_e32 v9, s45
	s_sub_i32 s47, 0, s45
	s_add_u32 s42, s42, -4
	s_addc_u32 s43, s43, -1
	v_rcp_iflag_f32_e32 v9, v9
	s_cmp_gt_u32 s44, 2
	v_mul_f32_e32 v9, 0x4f7ffffe, v9
	v_cvt_u32_f32_e32 v9, v9
	v_mul_lo_u32 v17, s47, v9
	v_mul_hi_u32 v17, v9, v17
	v_add_u32_e32 v9, v9, v17
	v_mul_hi_u32 v9, v11, v9
	v_mul_lo_u32 v17, v9, s45
	v_sub_u32_e32 v17, v11, v17
	v_add_u32_e32 v18, 1, v9
	v_cmp_le_u32_e32 vcc, s45, v17
	v_cndmask_b32_e32 v9, v9, v18, vcc
	v_subrev_u32_e32 v18, s45, v17
	v_cndmask_b32_e32 v17, v17, v18, vcc
	v_add_u32_e32 v18, 1, v9
	v_cmp_le_u32_e32 vcc, s45, v17
	v_cndmask_b32_e32 v9, v9, v18, vcc
	v_mul_lo_u32 v17, v9, s45
	v_sub_u32_e32 v11, v11, v17
	v_mad_u64_u32 v[16:17], s[46:47], s46, v11, v[16:17]
	s_cbranch_scc1 .LBB29_27
.LBB29_28:                              ;   in Loop: Header=BB29_3 Depth=1
	v_mad_u64_u32 v[18:19], s[42:43], s57, v9, v[16:17]
	v_mov_b32_e32 v19, v3
.LBB29_29:                              ;   in Loop: Header=BB29_3 Depth=1
	s_or_b64 exec, exec, s[40:41]
	v_pk_mov_b32 v[16:17], 0, 0
	s_and_saveexec_b64 s[40:41], s[2:3]
	s_cbranch_execz .LBB29_31
; %bb.30:                               ;   in Loop: Header=BB29_3 Depth=1
	s_waitcnt vmcnt(0)
	v_mul_hi_u32 v9, v7, v1
	v_mul_lo_u32 v11, v9, s56
	v_sub_u32_e32 v11, v7, v11
	v_add_u32_e32 v16, 1, v9
	v_cmp_le_u32_e32 vcc, s56, v11
	v_cndmask_b32_e32 v9, v9, v16, vcc
	v_subrev_u32_e32 v16, s56, v11
	v_cndmask_b32_e32 v11, v11, v16, vcc
	v_add_u32_e32 v16, 1, v9
	v_cmp_le_u32_e32 vcc, s56, v11
	v_cndmask_b32_e32 v9, v9, v16, vcc
	v_mul_lo_u32 v11, v9, s56
	v_sub_u32_e32 v7, v7, v11
	v_mul_lo_u32 v16, v7, s7
	v_mad_u64_u32 v[16:17], s[2:3], v9, s6, v[16:17]
	v_mov_b32_e32 v17, v3
.LBB29_31:                              ;   in Loop: Header=BB29_3 Depth=1
	s_or_b64 exec, exec, s[40:41]
	v_lshlrev_b64 v[16:17], 2, v[16:17]
	v_mov_b32_e32 v7, s13
	v_add_co_u32_e32 v16, vcc, s12, v16
	v_addc_co_u32_e32 v17, vcc, v7, v17, vcc
	global_load_dword v9, v[16:17], off
	s_andn2_b64 vcc, exec, s[18:19]
	v_pk_mov_b32 v[16:17], s[10:11], s[10:11] op_sel:[0,1]
	v_pk_mov_b32 v[20:21], s[8:9], s[8:9] op_sel:[0,1]
	s_cbranch_vccnz .LBB29_33
; %bb.32:                               ;   in Loop: Header=BB29_3 Depth=1
	v_pk_mov_b32 v[16:17], s[10:11], s[10:11] op_sel:[0,1]
	flat_load_dwordx2 v[16:17], v[16:17]
	v_pk_mov_b32 v[20:21], s[8:9], s[8:9] op_sel:[0,1]
	flat_load_dwordx2 v[20:21], v[20:21]
	v_mov_b32_e32 v7, s15
	s_waitcnt vmcnt(0) lgkmcnt(0)
	v_add_co_u32_e32 v16, vcc, s14, v16
	v_addc_co_u32_e32 v17, vcc, v17, v7, vcc
.LBB29_33:                              ;   in Loop: Header=BB29_3 Depth=1
	v_alignbit_b32 v7, v17, v16, 2
	v_lshrrev_b32_e32 v30, 2, v17
	v_xor_b32_e32 v22, v4, v20
	v_and_b32_e32 v11, 3, v16
	v_mad_u64_u32 v[16:17], s[2:3], v7, s61, 0
	v_xor_b32_e32 v22, v22, v30
	v_xor_b32_e32 v17, v17, v21
	v_add_u32_e32 v40, 0xbb67ae85, v21
	v_mad_u64_u32 v[22:23], s[2:3], v22, s61, 0
	v_mad_u64_u32 v[24:25], s[2:3], v17, s58, 0
	v_xor_b32_e32 v23, v40, v23
	v_add_u32_e32 v39, 0x9e3779b9, v20
	v_xor_b32_e32 v17, v0, v25
	v_xor_b32_e32 v23, v23, v16
	v_xor_b32_e32 v17, v17, v39
	v_add_u32_e32 v41, 0x3c6ef372, v20
	v_mad_u64_u32 v[26:27], s[2:3], v23, s58, 0
	v_add_u32_e32 v42, 0x76cf5d0a, v21
	v_mad_u64_u32 v[16:17], s[2:3], v17, s61, 0
	v_xor_b32_e32 v23, v41, v27
	v_xor_b32_e32 v23, v23, v24
	v_xor_b32_e32 v17, v42, v17
	v_xor_b32_e32 v17, v17, v22
	v_add_u32_e32 v44, 0x32370b8f, v21
	v_mad_u64_u32 v[22:23], s[2:3], v23, s61, 0
	v_add_u32_e32 v43, 0xdaa66d2b, v20
	v_mad_u64_u32 v[24:25], s[2:3], v17, s58, 0
	v_xor_b32_e32 v23, v44, v23
	;; [unrolled: 8-line block ×5, first 2 shown]
	v_xor_b32_e32 v23, v23, v24
	v_xor_b32_e32 v17, v50, v17
	;; [unrolled: 1-line block ×3, first 2 shown]
	v_add_u32_e32 v52, 0x1fd5c5a3, v21
	v_mad_u64_u32 v[22:23], s[2:3], v23, s61, 0
	v_xor_b32_e32 v23, v52, v23
	v_xor_b32_e32 v16, v23, v16
	v_add_u32_e32 v51, 0x5384540f, v20
	v_mad_u64_u32 v[28:29], s[2:3], v17, s58, 0
	v_add_co_u32_e32 v37, vcc, s62, v20
	v_mad_u64_u32 v[24:25], s[2:3], v16, s58, 0
	v_xor_b32_e32 v17, v51, v29
	v_xor_b32_e32 v16, v37, v25
	;; [unrolled: 1-line block ×4, first 2 shown]
	v_mad_u64_u32 v[26:27], s[2:3], v17, s61, 0
	v_mad_u64_u32 v[16:17], s[2:3], v16, s61, 0
	v_add_u32_e32 v38, 0x96a522ad, v21
	v_xor_b32_e32 v17, v17, v26
	v_add_co_u32_e32 v7, vcc, 1, v7
	v_xor_b32_e32 v36, v38, v17
	v_cndmask_b32_e64 v17, 0, 1, vcc
	v_addc_co_u32_e32 v26, vcc, 0, v30, vcc
	v_cmp_eq_u32_e32 vcc, 0, v26
	v_cndmask_b32_e32 v17, 0, v17, vcc
	v_add_u32_e32 v30, v17, v5
	v_cmp_eq_u32_e32 vcc, 0, v30
	v_mad_u64_u32 v[28:29], s[2:3], v7, s61, 0
	v_mad_u64_u32 v[30:31], s[2:3], v30, s58, 0
	v_add_u32_e32 v25, 0x8ff34781, v20
	v_cndmask_b32_e32 v17, 0, v17, vcc
	v_xor_b32_e32 v7, v31, v20
	v_xor_b32_e32 v20, v29, v21
	;; [unrolled: 1-line block ×4, first 2 shown]
	v_mad_u64_u32 v[32:33], s[2:3], v17, s58, 0
	v_add_u32_e32 v23, 0xdb3d7428, v21
	v_mad_u64_u32 v[20:21], s[2:3], v7, s61, 0
	v_xor_b32_e32 v7, v39, v33
	v_xor_b32_e32 v7, v7, v30
	v_xor_b32_e32 v17, v40, v21
	v_xor_b32_e32 v17, v17, v28
	v_mad_u64_u32 v[28:29], s[2:3], v7, s61, 0
	v_mad_u64_u32 v[30:31], s[2:3], v17, s58, 0
	v_xor_b32_e32 v17, v42, v29
	v_xor_b32_e32 v7, v41, v31
	v_xor_b32_e32 v17, v17, v20
	v_xor_b32_e32 v7, v7, v32
	v_mad_u64_u32 v[32:33], s[2:3], v17, s58, 0
	;; [unrolled: 6-line block ×7, first 2 shown]
	v_xor_b32_e32 v7, v23, v31
	v_xor_b32_e32 v7, v7, v20
	v_mad_u64_u32 v[32:33], s[2:3], v17, s58, 0
	v_mad_u64_u32 v[20:21], s[2:3], v7, s58, 0
	v_xor_b32_e32 v7, v21, v32
	v_xor_b32_e32 v7, v25, v7
	v_cmp_lt_i32_e32 vcc, 1, v11
                                        ; implicit-def: $vgpr17
	s_and_saveexec_b64 s[2:3], vcc
	s_xor_b64 s[2:3], exec, s[2:3]
	s_cbranch_execz .LBB29_39
; %bb.34:                               ;   in Loop: Header=BB29_3 Depth=1
	v_cmp_lt_i32_e32 vcc, 2, v11
                                        ; implicit-def: $vgpr17
	s_and_saveexec_b64 s[40:41], vcc
	s_xor_b64 s[40:41], exec, s[40:41]
; %bb.35:                               ;   in Loop: Header=BB29_3 Depth=1
	v_xor_b32_e32 v11, v37, v33
	v_xor_b32_e32 v11, v11, v28
	v_mul_hi_u32 v11, v11, s61
	v_xor_b32_e32 v11, v11, v30
	v_xor_b32_e32 v17, v38, v11
                                        ; implicit-def: $vgpr36
; %bb.36:                               ;   in Loop: Header=BB29_3 Depth=1
	s_andn2_saveexec_b64 s[40:41], s[40:41]
; %bb.37:                               ;   in Loop: Header=BB29_3 Depth=1
	v_mov_b32_e32 v17, v20
	v_mov_b32_e32 v20, v7
	v_mov_b32_e32 v7, v16
	v_mov_b32_e32 v16, v36
; %bb.38:                               ;   in Loop: Header=BB29_3 Depth=1
	s_or_b64 exec, exec, s[40:41]
                                        ; implicit-def: $vgpr22_vgpr23
                                        ; implicit-def: $vgpr24_vgpr25
                                        ; implicit-def: $vgpr11
                                        ; implicit-def: $vgpr36
                                        ; implicit-def: $vgpr26_vgpr27
                                        ; implicit-def: $vgpr23
                                        ; implicit-def: $vgpr25
.LBB29_39:                              ;   in Loop: Header=BB29_3 Depth=1
	s_andn2_saveexec_b64 s[2:3], s[2:3]
	s_cbranch_execz .LBB29_43
; %bb.40:                               ;   in Loop: Header=BB29_3 Depth=1
	v_xor_b32_e32 v17, v23, v27
	v_xor_b32_e32 v17, v17, v22
	v_mad_u64_u32 v[22:23], s[40:41], v17, s58, 0
	v_xor_b32_e32 v17, v23, v24
	v_xor_b32_e32 v21, v25, v17
	v_cmp_eq_u32_e32 vcc, 1, v11
	v_mov_b32_e32 v17, v16
	v_mov_b32_e32 v20, v36
	;; [unrolled: 1-line block ×3, first 2 shown]
	s_and_saveexec_b64 s[40:41], vcc
; %bb.41:                               ;   in Loop: Header=BB29_3 Depth=1
	v_mov_b32_e32 v17, v7
	v_mov_b32_e32 v20, v16
	;; [unrolled: 1-line block ×4, first 2 shown]
; %bb.42:                               ;   in Loop: Header=BB29_3 Depth=1
	s_or_b64 exec, exec, s[40:41]
	v_mov_b32_e32 v16, v21
	v_mov_b32_e32 v7, v11
.LBB29_43:                              ;   in Loop: Header=BB29_3 Depth=1
	s_or_b64 exec, exec, s[2:3]
	v_min_i32_e32 v11, 4, v35
	v_cmp_lt_i32_e32 vcc, 2, v11
	s_mov_b64 s[40:41], 0
	s_mov_b64 s[52:53], 0
	;; [unrolled: 1-line block ×3, first 2 shown]
                                        ; implicit-def: $sgpr44_sgpr45
                                        ; implicit-def: $sgpr46_sgpr47
                                        ; implicit-def: $sgpr48_sgpr49
	s_and_saveexec_b64 s[2:3], vcc
	s_xor_b64 s[50:51], exec, s[2:3]
	s_cbranch_execz .LBB29_55
; %bb.44:                               ;   in Loop: Header=BB29_3 Depth=1
	v_cmp_lt_i32_e32 vcc, 3, v11
	s_mov_b64 s[2:3], -1
	s_mov_b64 s[54:55], 0
                                        ; implicit-def: $sgpr42_sgpr43
                                        ; implicit-def: $sgpr44_sgpr45
	s_and_saveexec_b64 s[46:47], vcc
	s_cbranch_execz .LBB29_50
; %bb.45:                               ;   in Loop: Header=BB29_3 Depth=1
	v_cmp_eq_u32_e32 vcc, 4, v11
	s_mov_b64 s[2:3], 0
	s_mov_b64 s[54:55], -1
                                        ; implicit-def: $sgpr42_sgpr43
                                        ; implicit-def: $sgpr44_sgpr45
	s_and_saveexec_b64 s[48:49], vcc
	s_cbranch_execz .LBB29_49
; %bb.46:                               ;   in Loop: Header=BB29_3 Depth=1
	s_waitcnt vmcnt(0)
	v_cmp_le_f32_e32 vcc, 0, v9
	v_cmp_ge_f32_e64 s[2:3], 1.0, v9
	s_and_b64 s[54:55], vcc, s[2:3]
	s_mov_b64 s[42:43], 0
	s_mov_b64 s[2:3], 0
	s_and_saveexec_b64 s[44:45], s[54:55]
	s_cbranch_execz .LBB29_48
; %bb.47:                               ;   in Loop: Header=BB29_3 Depth=1
	v_cvt_f32_u32_e32 v17, v17
	v_mov_b32_e32 v21, 0x2f800000
	s_waitcnt lgkmcnt(0)
	v_mov_b32_e32 v22, s17
	v_add_co_u32_e32 v18, vcc, s16, v18
	v_fmac_f32_e32 v21, 0x2f800000, v17
	v_addc_co_u32_e32 v19, vcc, v22, v19, vcc
	v_cmp_le_f32_e32 vcc, v21, v9
	s_mov_b64 s[2:3], exec
	v_cndmask_b32_e64 v9, 0, 1, vcc
	global_store_byte v[18:19], v9, off
.LBB29_48:                              ;   in Loop: Header=BB29_3 Depth=1
	s_or_b64 exec, exec, s[44:45]
	s_mov_b64 s[44:45], -1
	s_xor_b64 s[54:55], exec, -1
	s_and_b64 s[2:3], s[2:3], exec
.LBB29_49:                              ;   in Loop: Header=BB29_3 Depth=1
	s_or_b64 exec, exec, s[48:49]
	s_and_b64 s[54:55], s[54:55], exec
	s_orn2_b64 s[2:3], s[2:3], exec
.LBB29_50:                              ;   in Loop: Header=BB29_3 Depth=1
	s_or_b64 exec, exec, s[46:47]
	s_mov_b64 s[48:49], s[42:43]
	s_and_saveexec_b64 s[46:47], s[2:3]
	s_cbranch_execz .LBB29_54
; %bb.51:                               ;   in Loop: Header=BB29_3 Depth=1
	v_lshlrev_b64 v[14:15], 2, v[14:15]
	s_waitcnt vmcnt(0)
	v_mov_b32_e32 v9, s13
	v_add_co_u32_e32 v14, vcc, s12, v14
	v_addc_co_u32_e32 v15, vcc, v9, v15, vcc
	global_load_dword v9, v[14:15], off
	s_waitcnt vmcnt(0)
	v_cmp_le_f32_e32 vcc, 0, v9
	v_cmp_ge_f32_e64 s[2:3], 1.0, v9
	s_and_b64 s[48:49], vcc, s[2:3]
	s_mov_b64 s[2:3], 0
	s_and_saveexec_b64 s[52:53], s[48:49]
	s_xor_b64 s[48:49], exec, s[52:53]
	s_cbranch_execz .LBB29_53
; %bb.52:                               ;   in Loop: Header=BB29_3 Depth=1
	v_cvt_f32_u32_e32 v14, v20
	v_mov_b32_e32 v15, 0x2f800000
	s_waitcnt lgkmcnt(0)
	v_mov_b32_e32 v17, s17
	v_add_co_u32_e32 v12, vcc, s16, v12
	v_fmac_f32_e32 v15, 0x2f800000, v14
	v_addc_co_u32_e32 v13, vcc, v17, v13, vcc
	v_cmp_le_f32_e32 vcc, v15, v9
	v_cndmask_b32_e64 v9, 0, 1, vcc
	s_mov_b64 s[2:3], exec
	global_store_byte v[12:13], v9, off
.LBB29_53:                              ;   in Loop: Header=BB29_3 Depth=1
	s_or_b64 exec, exec, s[48:49]
	s_andn2_b64 s[48:49], s[42:43], exec
	s_or_b64 s[42:43], s[42:43], exec
	s_andn2_b64 s[44:45], s[44:45], exec
	s_and_b64 s[52:53], s[2:3], exec
.LBB29_54:                              ;   in Loop: Header=BB29_3 Depth=1
	s_or_b64 exec, exec, s[46:47]
	s_and_b64 s[48:49], s[48:49], exec
	s_and_b64 s[46:47], s[42:43], exec
	;; [unrolled: 1-line block ×5, first 2 shown]
.LBB29_55:                              ;   in Loop: Header=BB29_3 Depth=1
	s_andn2_saveexec_b64 s[2:3], s[50:51]
; %bb.56:                               ;   in Loop: Header=BB29_3 Depth=1
	v_cmp_lt_i32_e32 vcc, 1, v11
	s_andn2_b64 s[50:51], s[52:53], exec
	s_and_b64 s[52:53], vcc, exec
	s_mov_b64 s[40:41], exec
	s_andn2_b64 s[48:49], s[48:49], exec
	s_andn2_b64 s[46:47], s[46:47], exec
	s_andn2_b64 s[44:45], s[44:45], exec
	s_or_b64 s[52:53], s[50:51], s[52:53]
; %bb.57:                               ;   in Loop: Header=BB29_3 Depth=1
	s_or_b64 exec, exec, s[2:3]
	s_mov_b64 s[2:3], 0
	s_mov_b64 s[50:51], s[48:49]
	s_and_saveexec_b64 s[54:55], s[52:53]
	s_cbranch_execnz .LBB29_60
; %bb.58:                               ;   in Loop: Header=BB29_3 Depth=1
	s_or_b64 exec, exec, s[54:55]
	s_and_saveexec_b64 s[52:53], s[40:41]
	s_cbranch_execnz .LBB29_63
.LBB29_59:                              ;   in Loop: Header=BB29_3 Depth=1
	s_or_b64 exec, exec, s[52:53]
	s_and_saveexec_b64 s[40:41], s[2:3]
	s_cbranch_execnz .LBB29_64
	s_branch .LBB29_67
.LBB29_60:                              ;   in Loop: Header=BB29_3 Depth=1
	v_lshlrev_b64 v[12:13], 2, v[2:3]
	v_mov_b32_e32 v2, s13
	v_add_co_u32_e32 v12, vcc, s12, v12
	v_addc_co_u32_e32 v13, vcc, v2, v13, vcc
	global_load_dword v2, v[12:13], off
	s_waitcnt vmcnt(0)
	v_cmp_le_f32_e32 vcc, 0, v2
	v_cmp_ge_f32_e64 s[2:3], 1.0, v2
	s_and_b64 s[50:51], vcc, s[2:3]
	s_mov_b64 s[2:3], 0
	s_and_saveexec_b64 s[52:53], s[50:51]
	s_xor_b64 s[50:51], exec, s[52:53]
	s_cbranch_execz .LBB29_62
; %bb.61:                               ;   in Loop: Header=BB29_3 Depth=1
	v_cvt_f32_u32_e32 v7, v7
	v_mov_b32_e32 v9, 0x2f800000
	s_mov_b64 s[2:3], exec
	v_fmac_f32_e32 v9, 0x2f800000, v7
	v_cmp_le_f32_e32 vcc, v9, v2
	v_cndmask_b32_e64 v2, 0, 1, vcc
	s_waitcnt lgkmcnt(0)
	global_store_byte v10, v2, s[16:17]
.LBB29_62:                              ;   in Loop: Header=BB29_3 Depth=1
	s_or_b64 exec, exec, s[50:51]
	s_andn2_b64 s[50:51], s[48:49], exec
	s_or_b64 s[48:49], s[48:49], exec
	s_andn2_b64 s[46:47], s[46:47], exec
	s_andn2_b64 s[44:45], s[44:45], exec
	s_and_b64 s[2:3], s[2:3], exec
	s_andn2_b64 s[40:41], s[40:41], exec
	s_or_b64 exec, exec, s[54:55]
	s_and_saveexec_b64 s[52:53], s[40:41]
	s_cbranch_execz .LBB29_59
.LBB29_63:                              ;   in Loop: Header=BB29_3 Depth=1
	v_cmp_eq_u32_e32 vcc, 1, v11
	s_andn2_b64 s[2:3], s[2:3], exec
	s_and_b64 s[40:41], vcc, exec
	s_andn2_b64 s[50:51], s[50:51], exec
	s_andn2_b64 s[48:49], s[48:49], exec
	;; [unrolled: 1-line block ×4, first 2 shown]
	s_or_b64 s[42:43], s[42:43], exec
	s_or_b64 s[2:3], s[2:3], s[40:41]
	s_or_b64 exec, exec, s[52:53]
	s_and_saveexec_b64 s[40:41], s[2:3]
	s_cbranch_execz .LBB29_67
.LBB29_64:                              ;   in Loop: Header=BB29_3 Depth=1
	s_waitcnt vmcnt(0)
	v_mov_b32_e32 v9, v3
	v_lshlrev_b64 v[8:9], 2, v[8:9]
	v_mov_b32_e32 v2, s13
	v_add_co_u32_e32 v8, vcc, s12, v8
	v_addc_co_u32_e32 v9, vcc, v2, v9, vcc
	global_load_dword v2, v[8:9], off
	s_waitcnt vmcnt(0)
	v_cmp_le_f32_e32 vcc, 0, v2
	v_cmp_ge_f32_e64 s[2:3], 1.0, v2
	s_and_b64 s[54:55], vcc, s[2:3]
	s_mov_b64 s[2:3], 0
	s_and_saveexec_b64 s[52:53], s[54:55]
	s_cbranch_execz .LBB29_66
; %bb.65:                               ;   in Loop: Header=BB29_3 Depth=1
	v_cvt_f32_u32_e32 v7, v16
	v_mov_b32_e32 v8, 0x2f800000
	s_mov_b64 s[2:3], exec
	v_fmac_f32_e32 v8, 0x2f800000, v7
	v_cmp_le_f32_e32 vcc, v8, v2
	v_cndmask_b32_e64 v2, 0, 1, vcc
	s_waitcnt lgkmcnt(0)
	global_store_byte v6, v2, s[16:17]
.LBB29_66:                              ;   in Loop: Header=BB29_3 Depth=1
	s_or_b64 exec, exec, s[52:53]
	s_andn2_b64 s[42:43], s[42:43], exec
	s_and_b64 s[2:3], s[2:3], exec
	s_or_b64 s[50:51], s[50:51], exec
	s_andn2_b64 s[48:49], s[48:49], exec
	s_andn2_b64 s[46:47], s[46:47], exec
	;; [unrolled: 1-line block ×3, first 2 shown]
	s_or_b64 s[42:43], s[42:43], s[2:3]
.LBB29_67:                              ;   in Loop: Header=BB29_3 Depth=1
	s_or_b64 exec, exec, s[40:41]
	s_andn2_b64 s[38:39], s[38:39], exec
	s_and_b64 s[40:41], s[50:51], exec
	s_or_b64 s[38:39], s[38:39], s[40:41]
	s_andn2_b64 s[36:37], s[36:37], exec
	s_and_b64 s[40:41], s[48:49], exec
	s_or_b64 s[36:37], s[36:37], s[40:41]
	;; [unrolled: 3-line block ×3, first 2 shown]
	s_andn2_b64 s[30:31], s[30:31], exec
	s_and_b64 s[40:41], s[44:45], exec
	s_mov_b64 s[2:3], -1
	s_or_b64 s[30:31], s[30:31], s[40:41]
	s_and_saveexec_b64 s[40:41], s[42:43]
	s_cbranch_execz .LBB29_2
; %bb.68:                               ;   in Loop: Header=BB29_3 Depth=1
	v_add_u32_e32 v34, s59, v34
	v_cmp_le_u32_e32 vcc, s33, v34
	s_andn2_b64 s[38:39], s[38:39], exec
	s_andn2_b64 s[36:37], s[36:37], exec
	;; [unrolled: 1-line block ×4, first 2 shown]
	s_orn2_b64 s[2:3], vcc, exec
	s_branch .LBB29_2
.LBB29_69:
	s_or_b64 exec, exec, s[22:23]
	s_xor_b64 s[8:9], s[28:29], -1
	s_xor_b64 s[10:11], s[26:27], -1
	;; [unrolled: 1-line block ×3, first 2 shown]
	s_mov_b64 s[2:3], 0
	s_and_saveexec_b64 s[6:7], s[0:1]
	s_xor_b64 s[0:1], exec, s[6:7]
	s_cbranch_execnz .LBB29_74
; %bb.70:
	s_andn2_saveexec_b64 s[0:1], s[0:1]
	s_cbranch_execnz .LBB29_82
.LBB29_71:
	s_or_b64 exec, exec, s[0:1]
	s_and_b64 exec, exec, s[2:3]
.LBB29_72:
	; divergent unreachable
.LBB29_73:
	s_endpgm
.LBB29_74:
	s_mov_b64 s[6:7], 0
	s_and_saveexec_b64 s[2:3], s[10:11]
	s_xor_b64 s[2:3], exec, s[2:3]
	s_cbranch_execz .LBB29_80
; %bb.75:
	s_and_saveexec_b64 s[10:11], s[8:9]
	s_xor_b64 s[8:9], exec, s[10:11]
	s_cbranch_execz .LBB29_78
; %bb.76:
	s_and_saveexec_b64 s[10:11], s[4:5]
	s_xor_b64 s[4:5], exec, s[10:11]
	s_cbranch_execnz .LBB29_85
.LBB29_77:
	s_or_b64 exec, exec, s[4:5]
	s_and_b64 s[6:7], s[6:7], exec
.LBB29_78:
	s_andn2_saveexec_b64 s[4:5], s[8:9]
	s_cbranch_execnz .LBB29_84
.LBB29_79:
	s_or_b64 exec, exec, s[4:5]
	s_and_b64 s[6:7], s[6:7], exec
.LBB29_80:
	s_andn2_saveexec_b64 s[2:3], s[2:3]
	s_cbranch_execnz .LBB29_83
.LBB29_81:
	s_or_b64 exec, exec, s[2:3]
	s_and_b64 s[2:3], s[6:7], exec
	s_andn2_saveexec_b64 s[0:1], s[0:1]
	s_cbranch_execz .LBB29_71
.LBB29_82:
	s_or_b64 s[2:3], s[2:3], exec
	s_trap 2
	s_or_b64 exec, exec, s[0:1]
	s_and_b64 exec, exec, s[2:3]
	s_cbranch_execnz .LBB29_72
	s_branch .LBB29_73
.LBB29_83:
	s_or_b64 s[6:7], s[6:7], exec
	s_trap 2
	s_branch .LBB29_81
.LBB29_84:
	s_trap 2
	s_or_b64 s[6:7], s[6:7], exec
	s_branch .LBB29_79
.LBB29_85:
	s_mov_b64 s[6:7], exec
	s_trap 2
	s_branch .LBB29_77
	.section	.rodata,"a",@progbits
	.p2align	6, 0x0
	.amdhsa_kernel _ZN2at4cuda12_GLOBAL__N_121kernelPointwiseApply2IZNS_6native9templates4cuda28bernoulli_tensor_cuda_kernelIafEEvRKNS_10TensorBaseES9_NS_15PhiloxCudaStateEEUliRaSB_SB_SB_RKfSD_SD_SD_E_aSC_jLin1ELi2ELi4ELi512ELi2EEEvNS0_6detail10TensorInfoIT0_T2_EENSG_IT1_SI_EESI_T_
		.amdhsa_group_segment_fixed_size 0
		.amdhsa_private_segment_fixed_size 0
		.amdhsa_kernarg_size 728
		.amdhsa_user_sgpr_count 6
		.amdhsa_user_sgpr_private_segment_buffer 1
		.amdhsa_user_sgpr_dispatch_ptr 0
		.amdhsa_user_sgpr_queue_ptr 0
		.amdhsa_user_sgpr_kernarg_segment_ptr 1
		.amdhsa_user_sgpr_dispatch_id 0
		.amdhsa_user_sgpr_flat_scratch_init 0
		.amdhsa_user_sgpr_kernarg_preload_length 0
		.amdhsa_user_sgpr_kernarg_preload_offset 0
		.amdhsa_user_sgpr_private_segment_size 0
		.amdhsa_uses_dynamic_stack 0
		.amdhsa_system_sgpr_private_segment_wavefront_offset 0
		.amdhsa_system_sgpr_workgroup_id_x 1
		.amdhsa_system_sgpr_workgroup_id_y 0
		.amdhsa_system_sgpr_workgroup_id_z 0
		.amdhsa_system_sgpr_workgroup_info 0
		.amdhsa_system_vgpr_workitem_id 0
		.amdhsa_next_free_vgpr 53
		.amdhsa_next_free_sgpr 63
		.amdhsa_accum_offset 56
		.amdhsa_reserve_vcc 1
		.amdhsa_reserve_flat_scratch 0
		.amdhsa_float_round_mode_32 0
		.amdhsa_float_round_mode_16_64 0
		.amdhsa_float_denorm_mode_32 3
		.amdhsa_float_denorm_mode_16_64 3
		.amdhsa_dx10_clamp 1
		.amdhsa_ieee_mode 1
		.amdhsa_fp16_overflow 0
		.amdhsa_tg_split 0
		.amdhsa_exception_fp_ieee_invalid_op 0
		.amdhsa_exception_fp_denorm_src 0
		.amdhsa_exception_fp_ieee_div_zero 0
		.amdhsa_exception_fp_ieee_overflow 0
		.amdhsa_exception_fp_ieee_underflow 0
		.amdhsa_exception_fp_ieee_inexact 0
		.amdhsa_exception_int_div_zero 0
	.end_amdhsa_kernel
	.section	.text._ZN2at4cuda12_GLOBAL__N_121kernelPointwiseApply2IZNS_6native9templates4cuda28bernoulli_tensor_cuda_kernelIafEEvRKNS_10TensorBaseES9_NS_15PhiloxCudaStateEEUliRaSB_SB_SB_RKfSD_SD_SD_E_aSC_jLin1ELi2ELi4ELi512ELi2EEEvNS0_6detail10TensorInfoIT0_T2_EENSG_IT1_SI_EESI_T_,"axG",@progbits,_ZN2at4cuda12_GLOBAL__N_121kernelPointwiseApply2IZNS_6native9templates4cuda28bernoulli_tensor_cuda_kernelIafEEvRKNS_10TensorBaseES9_NS_15PhiloxCudaStateEEUliRaSB_SB_SB_RKfSD_SD_SD_E_aSC_jLin1ELi2ELi4ELi512ELi2EEEvNS0_6detail10TensorInfoIT0_T2_EENSG_IT1_SI_EESI_T_,comdat
.Lfunc_end29:
	.size	_ZN2at4cuda12_GLOBAL__N_121kernelPointwiseApply2IZNS_6native9templates4cuda28bernoulli_tensor_cuda_kernelIafEEvRKNS_10TensorBaseES9_NS_15PhiloxCudaStateEEUliRaSB_SB_SB_RKfSD_SD_SD_E_aSC_jLin1ELi2ELi4ELi512ELi2EEEvNS0_6detail10TensorInfoIT0_T2_EENSG_IT1_SI_EESI_T_, .Lfunc_end29-_ZN2at4cuda12_GLOBAL__N_121kernelPointwiseApply2IZNS_6native9templates4cuda28bernoulli_tensor_cuda_kernelIafEEvRKNS_10TensorBaseES9_NS_15PhiloxCudaStateEEUliRaSB_SB_SB_RKfSD_SD_SD_E_aSC_jLin1ELi2ELi4ELi512ELi2EEEvNS0_6detail10TensorInfoIT0_T2_EENSG_IT1_SI_EESI_T_
                                        ; -- End function
	.section	.AMDGPU.csdata,"",@progbits
; Kernel info:
; codeLenInByte = 3892
; NumSgprs: 67
; NumVgprs: 53
; NumAgprs: 0
; TotalNumVgprs: 53
; ScratchSize: 0
; MemoryBound: 0
; FloatMode: 240
; IeeeMode: 1
; LDSByteSize: 0 bytes/workgroup (compile time only)
; SGPRBlocks: 8
; VGPRBlocks: 6
; NumSGPRsForWavesPerEU: 67
; NumVGPRsForWavesPerEU: 53
; AccumOffset: 56
; Occupancy: 8
; WaveLimiterHint : 1
; COMPUTE_PGM_RSRC2:SCRATCH_EN: 0
; COMPUTE_PGM_RSRC2:USER_SGPR: 6
; COMPUTE_PGM_RSRC2:TRAP_HANDLER: 0
; COMPUTE_PGM_RSRC2:TGID_X_EN: 1
; COMPUTE_PGM_RSRC2:TGID_Y_EN: 0
; COMPUTE_PGM_RSRC2:TGID_Z_EN: 0
; COMPUTE_PGM_RSRC2:TIDIG_COMP_CNT: 0
; COMPUTE_PGM_RSRC3_GFX90A:ACCUM_OFFSET: 13
; COMPUTE_PGM_RSRC3_GFX90A:TG_SPLIT: 0
	.section	.text._ZN2at4cuda12_GLOBAL__N_121kernelPointwiseApply2IZNS_6native9templates4cuda28bernoulli_tensor_cuda_kernelIafEEvRKNS_10TensorBaseES9_NS_15PhiloxCudaStateEEUliRaSB_SB_SB_RKfSD_SD_SD_E_aSC_jLin1ELin1ELi4ELi512ELi2EEEvNS0_6detail10TensorInfoIT0_T2_EENSG_IT1_SI_EESI_T_,"axG",@progbits,_ZN2at4cuda12_GLOBAL__N_121kernelPointwiseApply2IZNS_6native9templates4cuda28bernoulli_tensor_cuda_kernelIafEEvRKNS_10TensorBaseES9_NS_15PhiloxCudaStateEEUliRaSB_SB_SB_RKfSD_SD_SD_E_aSC_jLin1ELin1ELi4ELi512ELi2EEEvNS0_6detail10TensorInfoIT0_T2_EENSG_IT1_SI_EESI_T_,comdat
	.globl	_ZN2at4cuda12_GLOBAL__N_121kernelPointwiseApply2IZNS_6native9templates4cuda28bernoulli_tensor_cuda_kernelIafEEvRKNS_10TensorBaseES9_NS_15PhiloxCudaStateEEUliRaSB_SB_SB_RKfSD_SD_SD_E_aSC_jLin1ELin1ELi4ELi512ELi2EEEvNS0_6detail10TensorInfoIT0_T2_EENSG_IT1_SI_EESI_T_ ; -- Begin function _ZN2at4cuda12_GLOBAL__N_121kernelPointwiseApply2IZNS_6native9templates4cuda28bernoulli_tensor_cuda_kernelIafEEvRKNS_10TensorBaseES9_NS_15PhiloxCudaStateEEUliRaSB_SB_SB_RKfSD_SD_SD_E_aSC_jLin1ELin1ELi4ELi512ELi2EEEvNS0_6detail10TensorInfoIT0_T2_EENSG_IT1_SI_EESI_T_
	.p2align	8
	.type	_ZN2at4cuda12_GLOBAL__N_121kernelPointwiseApply2IZNS_6native9templates4cuda28bernoulli_tensor_cuda_kernelIafEEvRKNS_10TensorBaseES9_NS_15PhiloxCudaStateEEUliRaSB_SB_SB_RKfSD_SD_SD_E_aSC_jLin1ELin1ELi4ELi512ELi2EEEvNS0_6detail10TensorInfoIT0_T2_EENSG_IT1_SI_EESI_T_,@function
_ZN2at4cuda12_GLOBAL__N_121kernelPointwiseApply2IZNS_6native9templates4cuda28bernoulli_tensor_cuda_kernelIafEEvRKNS_10TensorBaseES9_NS_15PhiloxCudaStateEEUliRaSB_SB_SB_RKfSD_SD_SD_E_aSC_jLin1ELin1ELi4ELi512ELi2EEEvNS0_6detail10TensorInfoIT0_T2_EENSG_IT1_SI_EESI_T_: ; @_ZN2at4cuda12_GLOBAL__N_121kernelPointwiseApply2IZNS_6native9templates4cuda28bernoulli_tensor_cuda_kernelIafEEvRKNS_10TensorBaseES9_NS_15PhiloxCudaStateEEUliRaSB_SB_SB_RKfSD_SD_SD_E_aSC_jLin1ELin1ELi4ELi512ELi2EEEvNS0_6detail10TensorInfoIT0_T2_EENSG_IT1_SI_EESI_T_
; %bb.0:
	s_load_dword s2, s[4:5], 0x1e4
	s_load_dword s33, s[4:5], 0x1b0
	s_add_u32 s0, s4, 0x1d8
	s_addc_u32 s1, s5, 0
	s_waitcnt lgkmcnt(0)
	s_and_b32 s2, s2, 0xffff
	s_mul_i32 s6, s6, s2
	v_add_u32_e32 v5, s6, v0
	v_lshlrev_b32_e32 v34, 2, v5
	v_cmp_gt_u32_e32 vcc, s33, v34
	s_and_saveexec_b64 s[6:7], vcc
	s_cbranch_execz .LBB30_85
; %bb.1:
	s_load_dword s0, s[0:1], 0x0
	s_nop 0
	s_load_dword s16, s[4:5], 0x1d0
	s_load_dword s20, s[4:5], 0xd0
	s_add_u32 s22, s4, 0xd8
	s_load_dwordx2 s[6:7], s[4:5], 0x1c8
	s_load_dwordx4 s[8:11], s[4:5], 0x1b8
	s_load_dword s24, s[4:5], 0x1a8
	s_load_dwordx2 s[12:13], s[4:5], 0xd8
	s_load_dword s56, s[4:5], 0x6c
	s_addc_u32 s23, s5, 0
	s_waitcnt lgkmcnt(0)
	s_mul_i32 s21, s0, s2
	s_cmp_gt_i32 s20, 1
	s_cselect_b64 s[0:1], -1, 0
	s_cmp_gt_i32 s24, 1
	s_mov_b32 s58, 0xcd9e8d57
	s_cselect_b64 s[2:3], -1, 0
	s_bitcmp1_b32 s16, 0
	v_mad_u64_u32 v[0:1], s[18:19], v5, s58, 0
	s_cselect_b64 s[16:17], -1, 0
	s_add_i32 s18, s20, -1
	s_mov_b32 s19, 0
	s_lshl_b32 s59, s21, 2
	s_add_i32 s60, s20, 1
	s_lshl_b64 s[20:21], s[18:19], 2
	s_load_dword s57, s[4:5], 0x144
	s_load_dwordx2 s[14:15], s[4:5], 0x0
	s_add_u32 s4, s20, s4
	s_addc_u32 s5, s21, s5
	s_add_u32 s20, s4, 8
	s_addc_u32 s21, s5, 0
	s_add_i32 s18, s24, -1
	s_add_i32 s61, s24, 1
	s_lshl_b64 s[4:5], s[18:19], 2
	s_add_u32 s4, s4, s22
	s_addc_u32 s5, s5, s23
	s_add_u32 s22, s4, 8
	v_cndmask_b32_e64 v2, 0, 1, s[0:1]
	v_mov_b32_e32 v3, 0
	v_mov_b32_e32 v4, v1
	s_addc_u32 s23, s5, 0
	s_mov_b64 s[24:25], 0
	v_cndmask_b32_e64 v1, 0, 1, s[2:3]
	s_mov_b32 s62, 0xd2511f53
	v_cmp_ne_u32_e64 s[0:1], 1, v2
	s_mov_b32 s63, 0xf1bbcdc8
                                        ; implicit-def: $sgpr26_sgpr27
                                        ; implicit-def: $sgpr28_sgpr29
                                        ; implicit-def: $sgpr30_sgpr31
                                        ; implicit-def: $sgpr18_sgpr19
                                        ; implicit-def: $sgpr34_sgpr35
                                        ; implicit-def: $sgpr36_sgpr37
                                        ; implicit-def: $sgpr38_sgpr39
                                        ; implicit-def: $sgpr40_sgpr41
	s_branch .LBB30_3
.LBB30_2:                               ;   in Loop: Header=BB30_3 Depth=1
	s_or_b64 exec, exec, s[4:5]
	s_and_b64 s[2:3], exec, s[2:3]
	s_or_b64 s[24:25], s[2:3], s[24:25]
	s_andn2_b64 s[2:3], s[18:19], exec
	s_and_b64 s[4:5], s[40:41], exec
	s_or_b64 s[18:19], s[2:3], s[4:5]
	s_andn2_b64 s[2:3], s[30:31], exec
	s_and_b64 s[4:5], s[38:39], exec
	;; [unrolled: 3-line block ×4, first 2 shown]
	s_or_b64 s[26:27], s[2:3], s[4:5]
	s_andn2_b64 exec, exec, s[24:25]
	s_cbranch_execz .LBB30_81
.LBB30_3:                               ; =>This Loop Header: Depth=1
                                        ;     Child Loop BB30_6 Depth 2
                                        ;     Child Loop BB30_11 Depth 2
                                        ;     Child Loop BB30_16 Depth 2
                                        ;     Child Loop BB30_21 Depth 2
                                        ;     Child Loop BB30_26 Depth 2
                                        ;     Child Loop BB30_31 Depth 2
                                        ;     Child Loop BB30_36 Depth 2
                                        ;     Child Loop BB30_41 Depth 2
	v_sub_u32_e32 v35, s33, v34
	v_cmp_lt_i32_e64 s[4:5], 0, v35
	v_mov_b32_e32 v6, 0
	s_and_saveexec_b64 s[2:3], s[4:5]
	s_cbranch_execz .LBB30_8
; %bb.4:                                ;   in Loop: Header=BB30_3 Depth=1
	s_and_b64 vcc, exec, s[0:1]
	v_mov_b32_e32 v6, 0
	v_mov_b32_e32 v2, v34
	s_cbranch_vccnz .LBB30_7
; %bb.5:                                ;   in Loop: Header=BB30_3 Depth=1
	v_mov_b32_e32 v6, 0
	s_mov_b64 s[42:43], s[20:21]
	s_mov_b32 s44, s60
	v_mov_b32_e32 v2, v34
.LBB30_6:                               ;   Parent Loop BB30_3 Depth=1
                                        ; =>  This Inner Loop Header: Depth=2
	s_load_dword s45, s[42:43], 0x0
	s_load_dword s46, s[42:43], 0x64
	v_mov_b32_e32 v7, v2
	s_add_i32 s44, s44, -1
	s_waitcnt lgkmcnt(0)
	v_cvt_f32_u32_e32 v2, s45
	s_sub_i32 s47, 0, s45
	s_add_u32 s42, s42, -4
	s_addc_u32 s43, s43, -1
	v_rcp_iflag_f32_e32 v2, v2
	s_cmp_gt_u32 s44, 2
	v_mul_f32_e32 v2, 0x4f7ffffe, v2
	v_cvt_u32_f32_e32 v2, v2
	v_mul_lo_u32 v8, s47, v2
	v_mul_hi_u32 v8, v2, v8
	v_add_u32_e32 v2, v2, v8
	v_mul_hi_u32 v2, v7, v2
	v_mul_lo_u32 v8, v2, s45
	v_sub_u32_e32 v8, v7, v8
	s_waitcnt vmcnt(0)
	v_add_u32_e32 v9, 1, v2
	v_cmp_le_u32_e32 vcc, s45, v8
	v_cndmask_b32_e32 v2, v2, v9, vcc
	v_subrev_u32_e32 v9, s45, v8
	v_cndmask_b32_e32 v8, v8, v9, vcc
	v_add_u32_e32 v9, 1, v2
	v_cmp_le_u32_e32 vcc, s45, v8
	v_cndmask_b32_e32 v2, v2, v9, vcc
	v_mul_lo_u32 v8, v2, s45
	v_sub_u32_e32 v7, v7, v8
	v_mad_u64_u32 v[6:7], s[46:47], s46, v7, v[6:7]
	s_cbranch_scc1 .LBB30_6
.LBB30_7:                               ;   in Loop: Header=BB30_3 Depth=1
	v_mad_u64_u32 v[6:7], s[42:43], s56, v2, v[6:7]
.LBB30_8:                               ;   in Loop: Header=BB30_3 Depth=1
	s_or_b64 exec, exec, s[2:3]
	v_mov_b32_e32 v8, 0
	v_cmp_ne_u32_e64 s[2:3], 1, v1
	s_and_saveexec_b64 s[42:43], s[4:5]
	s_cbranch_execz .LBB30_13
; %bb.9:                                ;   in Loop: Header=BB30_3 Depth=1
	s_and_b64 vcc, exec, s[2:3]
	v_mov_b32_e32 v8, 0
	v_mov_b32_e32 v2, v34
	s_cbranch_vccnz .LBB30_12
; %bb.10:                               ;   in Loop: Header=BB30_3 Depth=1
	v_mov_b32_e32 v8, 0
	s_mov_b64 s[4:5], s[22:23]
	s_mov_b32 s44, s61
	v_mov_b32_e32 v2, v34
.LBB30_11:                              ;   Parent Loop BB30_3 Depth=1
                                        ; =>  This Inner Loop Header: Depth=2
	s_load_dword s45, s[4:5], 0x0
	s_load_dword s46, s[4:5], 0x64
	v_mov_b32_e32 v7, v2
	s_add_i32 s44, s44, -1
	s_waitcnt lgkmcnt(0)
	v_cvt_f32_u32_e32 v2, s45
	s_sub_i32 s47, 0, s45
	s_add_u32 s4, s4, -4
	s_addc_u32 s5, s5, -1
	v_rcp_iflag_f32_e32 v2, v2
	s_cmp_gt_u32 s44, 2
	v_mul_f32_e32 v2, 0x4f7ffffe, v2
	v_cvt_u32_f32_e32 v2, v2
	s_waitcnt vmcnt(0)
	v_mul_lo_u32 v9, s47, v2
	v_mul_hi_u32 v9, v2, v9
	v_add_u32_e32 v2, v2, v9
	v_mul_hi_u32 v2, v7, v2
	v_mul_lo_u32 v9, v2, s45
	v_sub_u32_e32 v9, v7, v9
	v_add_u32_e32 v10, 1, v2
	v_cmp_le_u32_e32 vcc, s45, v9
	v_cndmask_b32_e32 v2, v2, v10, vcc
	v_subrev_u32_e32 v10, s45, v9
	v_cndmask_b32_e32 v9, v9, v10, vcc
	v_add_u32_e32 v10, 1, v2
	v_cmp_le_u32_e32 vcc, s45, v9
	v_cndmask_b32_e32 v2, v2, v10, vcc
	v_mul_lo_u32 v9, v2, s45
	v_sub_u32_e32 v7, v7, v9
	v_mad_u64_u32 v[8:9], s[46:47], s46, v7, v[8:9]
	s_cbranch_scc1 .LBB30_11
.LBB30_12:                              ;   in Loop: Header=BB30_3 Depth=1
	s_waitcnt vmcnt(0) lgkmcnt(0)
	v_mad_u64_u32 v[8:9], s[4:5], s57, v2, v[8:9]
.LBB30_13:                              ;   in Loop: Header=BB30_3 Depth=1
	s_or_b64 exec, exec, s[42:43]
	v_or_b32_e32 v7, 1, v34
	v_cmp_lt_i32_e64 s[4:5], 1, v35
	v_mov_b32_e32 v10, 0
	s_and_saveexec_b64 s[42:43], s[4:5]
	s_cbranch_execz .LBB30_18
; %bb.14:                               ;   in Loop: Header=BB30_3 Depth=1
	s_and_b64 vcc, exec, s[0:1]
	v_mov_b32_e32 v10, 0
	v_mov_b32_e32 v2, v7
	s_cbranch_vccnz .LBB30_17
; %bb.15:                               ;   in Loop: Header=BB30_3 Depth=1
	v_mov_b32_e32 v10, 0
	s_mov_b64 s[44:45], s[20:21]
	s_mov_b32 s46, s60
	v_mov_b32_e32 v2, v7
.LBB30_16:                              ;   Parent Loop BB30_3 Depth=1
                                        ; =>  This Inner Loop Header: Depth=2
	s_load_dword s47, s[44:45], 0x0
	s_load_dword s48, s[44:45], 0x64
	s_waitcnt vmcnt(0)
	v_mov_b32_e32 v9, v2
	s_add_i32 s46, s46, -1
	s_waitcnt lgkmcnt(0)
	v_cvt_f32_u32_e32 v2, s47
	s_sub_i32 s49, 0, s47
	s_add_u32 s44, s44, -4
	s_addc_u32 s45, s45, -1
	v_rcp_iflag_f32_e32 v2, v2
	s_cmp_gt_u32 s46, 2
	v_mul_f32_e32 v2, 0x4f7ffffe, v2
	v_cvt_u32_f32_e32 v2, v2
	v_mul_lo_u32 v11, s49, v2
	v_mul_hi_u32 v11, v2, v11
	v_add_u32_e32 v2, v2, v11
	v_mul_hi_u32 v2, v9, v2
	v_mul_lo_u32 v11, v2, s47
	v_sub_u32_e32 v11, v9, v11
	v_add_u32_e32 v12, 1, v2
	v_cmp_le_u32_e32 vcc, s47, v11
	v_cndmask_b32_e32 v2, v2, v12, vcc
	v_subrev_u32_e32 v12, s47, v11
	v_cndmask_b32_e32 v11, v11, v12, vcc
	v_add_u32_e32 v12, 1, v2
	v_cmp_le_u32_e32 vcc, s47, v11
	v_cndmask_b32_e32 v2, v2, v12, vcc
	v_mul_lo_u32 v11, v2, s47
	v_sub_u32_e32 v9, v9, v11
	v_mad_u64_u32 v[10:11], s[48:49], s48, v9, v[10:11]
	s_cbranch_scc1 .LBB30_16
.LBB30_17:                              ;   in Loop: Header=BB30_3 Depth=1
	v_mad_u64_u32 v[10:11], s[44:45], s56, v2, v[10:11]
.LBB30_18:                              ;   in Loop: Header=BB30_3 Depth=1
	s_or_b64 exec, exec, s[42:43]
	v_mov_b32_e32 v2, 0
	s_and_saveexec_b64 s[42:43], s[4:5]
	s_cbranch_execz .LBB30_23
; %bb.19:                               ;   in Loop: Header=BB30_3 Depth=1
	s_and_b64 vcc, exec, s[2:3]
	v_mov_b32_e32 v12, 0
	s_cbranch_vccnz .LBB30_22
; %bb.20:                               ;   in Loop: Header=BB30_3 Depth=1
	v_mov_b32_e32 v12, 0
	s_mov_b64 s[4:5], s[22:23]
	s_mov_b32 s44, s61
.LBB30_21:                              ;   Parent Loop BB30_3 Depth=1
                                        ; =>  This Inner Loop Header: Depth=2
	s_load_dword s45, s[4:5], 0x0
	s_load_dword s46, s[4:5], 0x64
	v_mov_b32_e32 v2, v7
	s_add_i32 s44, s44, -1
	s_waitcnt lgkmcnt(0)
	v_cvt_f32_u32_e32 v7, s45
	s_sub_i32 s47, 0, s45
	s_add_u32 s4, s4, -4
	s_addc_u32 s5, s5, -1
	v_rcp_iflag_f32_e32 v7, v7
	s_cmp_gt_u32 s44, 2
	v_mul_f32_e32 v7, 0x4f7ffffe, v7
	v_cvt_u32_f32_e32 v7, v7
	s_waitcnt vmcnt(0)
	v_mul_lo_u32 v9, s47, v7
	v_mul_hi_u32 v9, v7, v9
	v_add_u32_e32 v7, v7, v9
	v_mul_hi_u32 v7, v2, v7
	v_mul_lo_u32 v9, v7, s45
	v_sub_u32_e32 v9, v2, v9
	v_add_u32_e32 v11, 1, v7
	v_cmp_le_u32_e32 vcc, s45, v9
	v_cndmask_b32_e32 v7, v7, v11, vcc
	v_subrev_u32_e32 v11, s45, v9
	v_cndmask_b32_e32 v9, v9, v11, vcc
	v_add_u32_e32 v11, 1, v7
	v_cmp_le_u32_e32 vcc, s45, v9
	v_cndmask_b32_e32 v7, v7, v11, vcc
	v_mul_lo_u32 v9, v7, s45
	v_sub_u32_e32 v2, v2, v9
	v_mad_u64_u32 v[12:13], s[46:47], s46, v2, v[12:13]
	s_cbranch_scc1 .LBB30_21
.LBB30_22:                              ;   in Loop: Header=BB30_3 Depth=1
	s_waitcnt lgkmcnt(0)
	v_mad_u64_u32 v[12:13], s[4:5], s57, v7, v[12:13]
	v_mov_b32_e32 v2, v12
.LBB30_23:                              ;   in Loop: Header=BB30_3 Depth=1
	s_or_b64 exec, exec, s[42:43]
	v_or_b32_e32 v7, 2, v34
	v_cmp_lt_i32_e64 s[4:5], 2, v35
	v_mov_b32_e32 v12, 0
	s_and_saveexec_b64 s[42:43], s[4:5]
	s_cbranch_execz .LBB30_28
; %bb.24:                               ;   in Loop: Header=BB30_3 Depth=1
	s_and_b64 vcc, exec, s[0:1]
	v_mov_b32_e32 v12, 0
	s_waitcnt vmcnt(0)
	v_mov_b32_e32 v9, v7
	s_cbranch_vccnz .LBB30_27
; %bb.25:                               ;   in Loop: Header=BB30_3 Depth=1
	v_mov_b32_e32 v12, 0
	s_mov_b64 s[44:45], s[20:21]
	s_mov_b32 s46, s60
	v_mov_b32_e32 v9, v7
.LBB30_26:                              ;   Parent Loop BB30_3 Depth=1
                                        ; =>  This Inner Loop Header: Depth=2
	s_load_dword s47, s[44:45], 0x0
	s_load_dword s48, s[44:45], 0x64
	v_mov_b32_e32 v11, v9
	s_add_i32 s46, s46, -1
	s_waitcnt lgkmcnt(0)
	v_cvt_f32_u32_e32 v9, s47
	s_sub_i32 s49, 0, s47
	s_add_u32 s44, s44, -4
	s_addc_u32 s45, s45, -1
	v_rcp_iflag_f32_e32 v9, v9
	s_cmp_gt_u32 s46, 2
	v_mul_f32_e32 v9, 0x4f7ffffe, v9
	v_cvt_u32_f32_e32 v9, v9
	v_mul_lo_u32 v13, s49, v9
	v_mul_hi_u32 v13, v9, v13
	v_add_u32_e32 v9, v9, v13
	v_mul_hi_u32 v9, v11, v9
	v_mul_lo_u32 v13, v9, s47
	v_sub_u32_e32 v13, v11, v13
	v_add_u32_e32 v14, 1, v9
	v_cmp_le_u32_e32 vcc, s47, v13
	v_cndmask_b32_e32 v9, v9, v14, vcc
	v_subrev_u32_e32 v14, s47, v13
	v_cndmask_b32_e32 v13, v13, v14, vcc
	v_add_u32_e32 v14, 1, v9
	v_cmp_le_u32_e32 vcc, s47, v13
	v_cndmask_b32_e32 v9, v9, v14, vcc
	v_mul_lo_u32 v13, v9, s47
	v_sub_u32_e32 v11, v11, v13
	v_mad_u64_u32 v[12:13], s[48:49], s48, v11, v[12:13]
	s_cbranch_scc1 .LBB30_26
.LBB30_27:                              ;   in Loop: Header=BB30_3 Depth=1
	v_mad_u64_u32 v[12:13], s[44:45], s56, v9, v[12:13]
.LBB30_28:                              ;   in Loop: Header=BB30_3 Depth=1
	s_or_b64 exec, exec, s[42:43]
	v_pk_mov_b32 v[14:15], 0, 0
	s_and_saveexec_b64 s[42:43], s[4:5]
	s_cbranch_execz .LBB30_33
; %bb.29:                               ;   in Loop: Header=BB30_3 Depth=1
	s_and_b64 vcc, exec, s[2:3]
	v_mov_b32_e32 v14, 0
	s_cbranch_vccnz .LBB30_32
; %bb.30:                               ;   in Loop: Header=BB30_3 Depth=1
	v_mov_b32_e32 v14, 0
	s_mov_b64 s[4:5], s[22:23]
	s_mov_b32 s44, s61
.LBB30_31:                              ;   Parent Loop BB30_3 Depth=1
                                        ; =>  This Inner Loop Header: Depth=2
	s_load_dword s45, s[4:5], 0x0
	s_load_dword s46, s[4:5], 0x64
	s_waitcnt vmcnt(0)
	v_mov_b32_e32 v9, v7
	s_add_i32 s44, s44, -1
	s_waitcnt lgkmcnt(0)
	v_cvt_f32_u32_e32 v7, s45
	s_sub_i32 s47, 0, s45
	s_add_u32 s4, s4, -4
	s_addc_u32 s5, s5, -1
	v_rcp_iflag_f32_e32 v7, v7
	s_cmp_gt_u32 s44, 2
	v_mul_f32_e32 v7, 0x4f7ffffe, v7
	v_cvt_u32_f32_e32 v7, v7
	v_mul_lo_u32 v11, s47, v7
	v_mul_hi_u32 v11, v7, v11
	v_add_u32_e32 v7, v7, v11
	v_mul_hi_u32 v7, v9, v7
	v_mul_lo_u32 v11, v7, s45
	v_sub_u32_e32 v11, v9, v11
	v_add_u32_e32 v13, 1, v7
	v_cmp_le_u32_e32 vcc, s45, v11
	v_cndmask_b32_e32 v7, v7, v13, vcc
	v_subrev_u32_e32 v13, s45, v11
	v_cndmask_b32_e32 v11, v11, v13, vcc
	v_add_u32_e32 v13, 1, v7
	v_cmp_le_u32_e32 vcc, s45, v11
	v_cndmask_b32_e32 v7, v7, v13, vcc
	v_mul_lo_u32 v11, v7, s45
	v_sub_u32_e32 v9, v9, v11
	v_mad_u64_u32 v[14:15], s[46:47], s46, v9, v[14:15]
	s_cbranch_scc1 .LBB30_31
.LBB30_32:                              ;   in Loop: Header=BB30_3 Depth=1
	s_waitcnt lgkmcnt(0)
	v_mad_u64_u32 v[14:15], s[4:5], s57, v7, v[14:15]
	v_mov_b32_e32 v15, v3
.LBB30_33:                              ;   in Loop: Header=BB30_3 Depth=1
	s_or_b64 exec, exec, s[42:43]
	v_or_b32_e32 v7, 3, v34
	v_cmp_lt_i32_e64 s[4:5], 3, v35
	v_pk_mov_b32 v[18:19], 0, 0
	s_and_saveexec_b64 s[42:43], s[4:5]
	s_cbranch_execz .LBB30_38
; %bb.34:                               ;   in Loop: Header=BB30_3 Depth=1
	s_and_b64 vcc, exec, s[0:1]
	v_mov_b32_e32 v16, 0
	s_waitcnt vmcnt(0)
	v_mov_b32_e32 v9, v7
	s_cbranch_vccnz .LBB30_37
; %bb.35:                               ;   in Loop: Header=BB30_3 Depth=1
	v_mov_b32_e32 v16, 0
	s_mov_b64 s[44:45], s[20:21]
	s_mov_b32 s46, s60
	v_mov_b32_e32 v9, v7
.LBB30_36:                              ;   Parent Loop BB30_3 Depth=1
                                        ; =>  This Inner Loop Header: Depth=2
	s_load_dword s47, s[44:45], 0x0
	s_load_dword s48, s[44:45], 0x64
	v_mov_b32_e32 v11, v9
	s_add_i32 s46, s46, -1
	s_waitcnt lgkmcnt(0)
	v_cvt_f32_u32_e32 v9, s47
	s_sub_i32 s49, 0, s47
	s_add_u32 s44, s44, -4
	s_addc_u32 s45, s45, -1
	v_rcp_iflag_f32_e32 v9, v9
	s_cmp_gt_u32 s46, 2
	v_mul_f32_e32 v9, 0x4f7ffffe, v9
	v_cvt_u32_f32_e32 v9, v9
	v_mul_lo_u32 v13, s49, v9
	v_mul_hi_u32 v13, v9, v13
	v_add_u32_e32 v9, v9, v13
	v_mul_hi_u32 v9, v11, v9
	v_mul_lo_u32 v13, v9, s47
	v_sub_u32_e32 v13, v11, v13
	v_add_u32_e32 v17, 1, v9
	v_cmp_le_u32_e32 vcc, s47, v13
	v_cndmask_b32_e32 v9, v9, v17, vcc
	v_subrev_u32_e32 v17, s47, v13
	v_cndmask_b32_e32 v13, v13, v17, vcc
	v_add_u32_e32 v17, 1, v9
	v_cmp_le_u32_e32 vcc, s47, v13
	v_cndmask_b32_e32 v9, v9, v17, vcc
	v_mul_lo_u32 v13, v9, s47
	v_sub_u32_e32 v11, v11, v13
	v_mad_u64_u32 v[16:17], s[48:49], s48, v11, v[16:17]
	s_cbranch_scc1 .LBB30_36
.LBB30_37:                              ;   in Loop: Header=BB30_3 Depth=1
	v_mad_u64_u32 v[18:19], s[44:45], s56, v9, v[16:17]
	v_mov_b32_e32 v19, v3
.LBB30_38:                              ;   in Loop: Header=BB30_3 Depth=1
	s_or_b64 exec, exec, s[42:43]
	v_pk_mov_b32 v[16:17], 0, 0
	s_and_saveexec_b64 s[42:43], s[4:5]
	s_cbranch_execz .LBB30_43
; %bb.39:                               ;   in Loop: Header=BB30_3 Depth=1
	s_and_b64 vcc, exec, s[2:3]
	v_mov_b32_e32 v16, 0
	s_cbranch_vccnz .LBB30_42
; %bb.40:                               ;   in Loop: Header=BB30_3 Depth=1
	v_mov_b32_e32 v16, 0
	s_mov_b64 s[2:3], s[22:23]
	s_mov_b32 s4, s61
.LBB30_41:                              ;   Parent Loop BB30_3 Depth=1
                                        ; =>  This Inner Loop Header: Depth=2
	s_load_dword s5, s[2:3], 0x0
	s_load_dword s44, s[2:3], 0x64
	s_waitcnt vmcnt(0)
	v_mov_b32_e32 v9, v7
	s_add_i32 s4, s4, -1
	s_waitcnt lgkmcnt(0)
	v_cvt_f32_u32_e32 v7, s5
	s_sub_i32 s45, 0, s5
	s_add_u32 s2, s2, -4
	s_addc_u32 s3, s3, -1
	v_rcp_iflag_f32_e32 v7, v7
	s_cmp_gt_u32 s4, 2
	v_mul_f32_e32 v7, 0x4f7ffffe, v7
	v_cvt_u32_f32_e32 v7, v7
	v_mul_lo_u32 v11, s45, v7
	v_mul_hi_u32 v11, v7, v11
	v_add_u32_e32 v7, v7, v11
	v_mul_hi_u32 v7, v9, v7
	v_mul_lo_u32 v11, v7, s5
	v_sub_u32_e32 v11, v9, v11
	v_add_u32_e32 v13, 1, v7
	v_cmp_le_u32_e32 vcc, s5, v11
	v_cndmask_b32_e32 v7, v7, v13, vcc
	v_subrev_u32_e32 v13, s5, v11
	v_cndmask_b32_e32 v11, v11, v13, vcc
	v_add_u32_e32 v13, 1, v7
	v_cmp_le_u32_e32 vcc, s5, v11
	v_cndmask_b32_e32 v7, v7, v13, vcc
	v_mul_lo_u32 v11, v7, s5
	v_sub_u32_e32 v9, v9, v11
	v_mad_u64_u32 v[16:17], s[44:45], s44, v9, v[16:17]
	s_cbranch_scc1 .LBB30_41
.LBB30_42:                              ;   in Loop: Header=BB30_3 Depth=1
	s_waitcnt lgkmcnt(0)
	v_mad_u64_u32 v[16:17], s[2:3], s57, v7, v[16:17]
	v_mov_b32_e32 v17, v3
.LBB30_43:                              ;   in Loop: Header=BB30_3 Depth=1
	s_or_b64 exec, exec, s[42:43]
	v_lshlrev_b64 v[16:17], 2, v[16:17]
	v_mov_b32_e32 v7, s13
	v_add_co_u32_e32 v16, vcc, s12, v16
	v_addc_co_u32_e32 v17, vcc, v7, v17, vcc
	global_load_dword v9, v[16:17], off
	s_andn2_b64 vcc, exec, s[16:17]
	v_pk_mov_b32 v[16:17], s[10:11], s[10:11] op_sel:[0,1]
	v_pk_mov_b32 v[20:21], s[8:9], s[8:9] op_sel:[0,1]
	s_cbranch_vccnz .LBB30_45
; %bb.44:                               ;   in Loop: Header=BB30_3 Depth=1
	v_pk_mov_b32 v[16:17], s[10:11], s[10:11] op_sel:[0,1]
	flat_load_dwordx2 v[16:17], v[16:17]
	v_pk_mov_b32 v[20:21], s[8:9], s[8:9] op_sel:[0,1]
	flat_load_dwordx2 v[20:21], v[20:21]
	v_mov_b32_e32 v7, s7
	s_waitcnt vmcnt(0) lgkmcnt(0)
	v_add_co_u32_e32 v16, vcc, s6, v16
	v_addc_co_u32_e32 v17, vcc, v17, v7, vcc
.LBB30_45:                              ;   in Loop: Header=BB30_3 Depth=1
	v_alignbit_b32 v7, v17, v16, 2
	v_lshrrev_b32_e32 v13, 2, v17
	v_xor_b32_e32 v22, v4, v20
	v_and_b32_e32 v11, 3, v16
	v_mad_u64_u32 v[16:17], s[2:3], v7, s62, 0
	v_xor_b32_e32 v22, v22, v13
	v_xor_b32_e32 v17, v17, v21
	v_add_u32_e32 v39, 0xbb67ae85, v21
	v_mad_u64_u32 v[22:23], s[2:3], v22, s62, 0
	v_mad_u64_u32 v[24:25], s[2:3], v17, s58, 0
	v_xor_b32_e32 v23, v39, v23
	v_add_u32_e32 v38, 0x9e3779b9, v20
	v_xor_b32_e32 v17, v0, v25
	v_xor_b32_e32 v23, v23, v16
	v_xor_b32_e32 v17, v17, v38
	v_add_u32_e32 v40, 0x3c6ef372, v20
	v_mad_u64_u32 v[26:27], s[2:3], v23, s58, 0
	v_add_u32_e32 v41, 0x76cf5d0a, v21
	v_mad_u64_u32 v[16:17], s[2:3], v17, s62, 0
	v_xor_b32_e32 v23, v40, v27
	v_xor_b32_e32 v23, v23, v24
	v_xor_b32_e32 v17, v41, v17
	v_xor_b32_e32 v17, v17, v22
	v_add_u32_e32 v43, 0x32370b8f, v21
	v_mad_u64_u32 v[22:23], s[2:3], v23, s62, 0
	v_add_u32_e32 v42, 0xdaa66d2b, v20
	v_mad_u64_u32 v[24:25], s[2:3], v17, s58, 0
	v_xor_b32_e32 v23, v43, v23
	;; [unrolled: 8-line block ×5, first 2 shown]
	v_xor_b32_e32 v23, v23, v24
	v_xor_b32_e32 v17, v49, v17
	;; [unrolled: 1-line block ×3, first 2 shown]
	v_add_u32_e32 v51, 0x1fd5c5a3, v21
	v_mad_u64_u32 v[22:23], s[2:3], v23, s62, 0
	v_xor_b32_e32 v23, v51, v23
	v_xor_b32_e32 v16, v23, v16
	v_add_u32_e32 v50, 0x5384540f, v20
	v_mad_u64_u32 v[28:29], s[2:3], v17, s58, 0
	v_add_co_u32_e32 v36, vcc, s63, v20
	v_mad_u64_u32 v[24:25], s[2:3], v16, s58, 0
	v_xor_b32_e32 v17, v50, v29
	v_xor_b32_e32 v16, v36, v25
	;; [unrolled: 1-line block ×4, first 2 shown]
	v_mad_u64_u32 v[26:27], s[2:3], v17, s62, 0
	v_mad_u64_u32 v[16:17], s[2:3], v16, s62, 0
	v_add_co_u32_e32 v7, vcc, 1, v7
	v_xor_b32_e32 v17, v17, v26
	v_cndmask_b32_e64 v26, 0, 1, vcc
	v_addc_co_u32_e32 v13, vcc, 0, v13, vcc
	v_cmp_eq_u32_e32 vcc, 0, v13
	v_cndmask_b32_e32 v26, 0, v26, vcc
	v_add_u32_e32 v30, v26, v5
	v_cmp_eq_u32_e32 vcc, 0, v30
	v_mad_u64_u32 v[30:31], s[2:3], v30, s58, 0
	v_mad_u64_u32 v[28:29], s[2:3], v7, s62, 0
	v_xor_b32_e32 v7, v31, v20
	v_cndmask_b32_e32 v26, 0, v26, vcc
	v_xor_b32_e32 v7, v13, v7
	v_xor_b32_e32 v13, v29, v21
	;; [unrolled: 1-line block ×3, first 2 shown]
	v_mad_u64_u32 v[32:33], s[2:3], v13, s58, 0
	v_add_u32_e32 v23, 0xdb3d7428, v21
	v_add_u32_e32 v25, 0x8ff34781, v20
	;; [unrolled: 1-line block ×3, first 2 shown]
	v_mad_u64_u32 v[20:21], s[2:3], v7, s62, 0
	v_xor_b32_e32 v7, v38, v33
	v_xor_b32_e32 v7, v7, v30
	v_xor_b32_e32 v13, v39, v21
	v_xor_b32_e32 v13, v13, v28
	v_mad_u64_u32 v[28:29], s[2:3], v7, s62, 0
	v_mad_u64_u32 v[30:31], s[2:3], v13, s58, 0
	v_xor_b32_e32 v13, v41, v29
	v_xor_b32_e32 v7, v40, v31
	v_xor_b32_e32 v13, v13, v20
	v_xor_b32_e32 v7, v7, v32
	v_mad_u64_u32 v[32:33], s[2:3], v13, s58, 0
	;; [unrolled: 6-line block ×7, first 2 shown]
	v_xor_b32_e32 v7, v23, v31
	v_xor_b32_e32 v7, v7, v20
	v_mad_u64_u32 v[32:33], s[2:3], v13, s58, 0
	v_mad_u64_u32 v[20:21], s[2:3], v7, s58, 0
	v_xor_b32_e32 v7, v21, v32
	v_xor_b32_e32 v17, v37, v17
	;; [unrolled: 1-line block ×3, first 2 shown]
	v_cmp_lt_i32_e32 vcc, 1, v11
                                        ; implicit-def: $vgpr13
	s_and_saveexec_b64 s[2:3], vcc
	s_xor_b64 s[2:3], exec, s[2:3]
	s_cbranch_execz .LBB30_51
; %bb.46:                               ;   in Loop: Header=BB30_3 Depth=1
	v_cmp_lt_i32_e32 vcc, 2, v11
                                        ; implicit-def: $vgpr13
	s_and_saveexec_b64 s[4:5], vcc
	s_xor_b64 s[4:5], exec, s[4:5]
; %bb.47:                               ;   in Loop: Header=BB30_3 Depth=1
	v_xor_b32_e32 v11, v36, v33
	v_xor_b32_e32 v11, v11, v28
	v_mul_hi_u32 v11, v11, s62
	v_xor_b32_e32 v11, v11, v30
	v_xor_b32_e32 v13, v37, v11
                                        ; implicit-def: $vgpr17
; %bb.48:                               ;   in Loop: Header=BB30_3 Depth=1
	s_andn2_saveexec_b64 s[4:5], s[4:5]
; %bb.49:                               ;   in Loop: Header=BB30_3 Depth=1
	v_mov_b32_e32 v13, v20
	v_mov_b32_e32 v20, v7
	;; [unrolled: 1-line block ×4, first 2 shown]
; %bb.50:                               ;   in Loop: Header=BB30_3 Depth=1
	s_or_b64 exec, exec, s[4:5]
                                        ; implicit-def: $vgpr22_vgpr23
                                        ; implicit-def: $vgpr24_vgpr25
                                        ; implicit-def: $vgpr11
                                        ; implicit-def: $vgpr17
                                        ; implicit-def: $vgpr26_vgpr27
                                        ; implicit-def: $vgpr23
                                        ; implicit-def: $vgpr25
.LBB30_51:                              ;   in Loop: Header=BB30_3 Depth=1
	s_andn2_saveexec_b64 s[2:3], s[2:3]
	s_cbranch_execz .LBB30_55
; %bb.52:                               ;   in Loop: Header=BB30_3 Depth=1
	v_xor_b32_e32 v13, v23, v27
	v_xor_b32_e32 v13, v13, v22
	v_mad_u64_u32 v[22:23], s[4:5], v13, s58, 0
	v_xor_b32_e32 v13, v23, v24
	v_xor_b32_e32 v21, v25, v13
	v_cmp_eq_u32_e32 vcc, 1, v11
	v_mov_b32_e32 v13, v16
	v_mov_b32_e32 v20, v17
	;; [unrolled: 1-line block ×3, first 2 shown]
	s_and_saveexec_b64 s[4:5], vcc
; %bb.53:                               ;   in Loop: Header=BB30_3 Depth=1
	v_mov_b32_e32 v13, v7
	v_mov_b32_e32 v20, v16
	;; [unrolled: 1-line block ×4, first 2 shown]
; %bb.54:                               ;   in Loop: Header=BB30_3 Depth=1
	s_or_b64 exec, exec, s[4:5]
	v_mov_b32_e32 v16, v21
	v_mov_b32_e32 v7, v11
.LBB30_55:                              ;   in Loop: Header=BB30_3 Depth=1
	s_or_b64 exec, exec, s[2:3]
	v_min_i32_e32 v11, 4, v35
	v_cmp_lt_i32_e32 vcc, 2, v11
	s_mov_b64 s[4:5], 0
	s_mov_b64 s[52:53], 0
	;; [unrolled: 1-line block ×3, first 2 shown]
                                        ; implicit-def: $sgpr44_sgpr45
                                        ; implicit-def: $sgpr46_sgpr47
                                        ; implicit-def: $sgpr48_sgpr49
	s_and_saveexec_b64 s[2:3], vcc
	s_xor_b64 s[50:51], exec, s[2:3]
	s_cbranch_execz .LBB30_67
; %bb.56:                               ;   in Loop: Header=BB30_3 Depth=1
	v_cmp_lt_i32_e32 vcc, 3, v11
	s_mov_b64 s[2:3], -1
	s_mov_b64 s[54:55], 0
                                        ; implicit-def: $sgpr42_sgpr43
                                        ; implicit-def: $sgpr44_sgpr45
	s_and_saveexec_b64 s[46:47], vcc
	s_cbranch_execz .LBB30_62
; %bb.57:                               ;   in Loop: Header=BB30_3 Depth=1
	v_cmp_eq_u32_e32 vcc, 4, v11
	s_mov_b64 s[2:3], 0
	s_mov_b64 s[54:55], -1
                                        ; implicit-def: $sgpr42_sgpr43
                                        ; implicit-def: $sgpr44_sgpr45
	s_and_saveexec_b64 s[48:49], vcc
	s_cbranch_execz .LBB30_61
; %bb.58:                               ;   in Loop: Header=BB30_3 Depth=1
	s_waitcnt vmcnt(0)
	v_cmp_le_f32_e32 vcc, 0, v9
	v_cmp_ge_f32_e64 s[2:3], 1.0, v9
	s_and_b64 s[54:55], vcc, s[2:3]
	s_mov_b64 s[42:43], 0
	s_mov_b64 s[2:3], 0
	s_and_saveexec_b64 s[44:45], s[54:55]
	s_cbranch_execz .LBB30_60
; %bb.59:                               ;   in Loop: Header=BB30_3 Depth=1
	v_cvt_f32_u32_e32 v13, v13
	v_mov_b32_e32 v17, 0x2f800000
	s_waitcnt lgkmcnt(0)
	v_mov_b32_e32 v21, s15
	v_add_co_u32_e32 v18, vcc, s14, v18
	v_fmac_f32_e32 v17, 0x2f800000, v13
	v_addc_co_u32_e32 v19, vcc, v21, v19, vcc
	v_cmp_le_f32_e32 vcc, v17, v9
	s_mov_b64 s[2:3], exec
	v_cndmask_b32_e64 v9, 0, 1, vcc
	global_store_byte v[18:19], v9, off
.LBB30_60:                              ;   in Loop: Header=BB30_3 Depth=1
	s_or_b64 exec, exec, s[44:45]
	s_mov_b64 s[44:45], -1
	s_xor_b64 s[54:55], exec, -1
	s_and_b64 s[2:3], s[2:3], exec
.LBB30_61:                              ;   in Loop: Header=BB30_3 Depth=1
	s_or_b64 exec, exec, s[48:49]
	s_and_b64 s[54:55], s[54:55], exec
	s_orn2_b64 s[2:3], s[2:3], exec
.LBB30_62:                              ;   in Loop: Header=BB30_3 Depth=1
	s_or_b64 exec, exec, s[46:47]
	s_mov_b64 s[48:49], s[42:43]
	s_and_saveexec_b64 s[46:47], s[2:3]
	s_cbranch_execz .LBB30_66
; %bb.63:                               ;   in Loop: Header=BB30_3 Depth=1
	v_lshlrev_b64 v[14:15], 2, v[14:15]
	s_waitcnt vmcnt(0)
	v_mov_b32_e32 v9, s13
	v_add_co_u32_e32 v14, vcc, s12, v14
	v_addc_co_u32_e32 v15, vcc, v9, v15, vcc
	global_load_dword v9, v[14:15], off
	s_waitcnt vmcnt(0)
	v_cmp_le_f32_e32 vcc, 0, v9
	v_cmp_ge_f32_e64 s[2:3], 1.0, v9
	s_and_b64 s[48:49], vcc, s[2:3]
	s_mov_b64 s[2:3], 0
	s_and_saveexec_b64 s[52:53], s[48:49]
	s_xor_b64 s[48:49], exec, s[52:53]
	s_cbranch_execz .LBB30_65
; %bb.64:                               ;   in Loop: Header=BB30_3 Depth=1
	v_cvt_f32_u32_e32 v13, v20
	v_mov_b32_e32 v14, 0x2f800000
	s_mov_b64 s[2:3], exec
	v_fmac_f32_e32 v14, 0x2f800000, v13
	v_cmp_le_f32_e32 vcc, v14, v9
	v_cndmask_b32_e64 v9, 0, 1, vcc
	s_waitcnt lgkmcnt(0)
	global_store_byte v12, v9, s[14:15]
.LBB30_65:                              ;   in Loop: Header=BB30_3 Depth=1
	s_or_b64 exec, exec, s[48:49]
	s_andn2_b64 s[48:49], s[42:43], exec
	s_or_b64 s[42:43], s[42:43], exec
	s_andn2_b64 s[44:45], s[44:45], exec
	s_and_b64 s[52:53], s[2:3], exec
.LBB30_66:                              ;   in Loop: Header=BB30_3 Depth=1
	s_or_b64 exec, exec, s[46:47]
	s_and_b64 s[48:49], s[48:49], exec
	s_and_b64 s[46:47], s[42:43], exec
	;; [unrolled: 1-line block ×5, first 2 shown]
.LBB30_67:                              ;   in Loop: Header=BB30_3 Depth=1
	s_andn2_saveexec_b64 s[2:3], s[50:51]
; %bb.68:                               ;   in Loop: Header=BB30_3 Depth=1
	v_cmp_lt_i32_e32 vcc, 1, v11
	s_andn2_b64 s[50:51], s[52:53], exec
	s_and_b64 s[52:53], vcc, exec
	s_mov_b64 s[4:5], exec
	s_andn2_b64 s[48:49], s[48:49], exec
	s_andn2_b64 s[46:47], s[46:47], exec
	;; [unrolled: 1-line block ×3, first 2 shown]
	s_or_b64 s[52:53], s[50:51], s[52:53]
; %bb.69:                               ;   in Loop: Header=BB30_3 Depth=1
	s_or_b64 exec, exec, s[2:3]
	s_mov_b64 s[2:3], 0
	s_mov_b64 s[50:51], s[48:49]
	s_and_saveexec_b64 s[54:55], s[52:53]
	s_cbranch_execnz .LBB30_72
; %bb.70:                               ;   in Loop: Header=BB30_3 Depth=1
	s_or_b64 exec, exec, s[54:55]
	s_and_saveexec_b64 s[52:53], s[4:5]
	s_cbranch_execnz .LBB30_75
.LBB30_71:                              ;   in Loop: Header=BB30_3 Depth=1
	s_or_b64 exec, exec, s[52:53]
	s_and_saveexec_b64 s[4:5], s[2:3]
	s_cbranch_execnz .LBB30_76
	s_branch .LBB30_79
.LBB30_72:                              ;   in Loop: Header=BB30_3 Depth=1
	v_lshlrev_b64 v[12:13], 2, v[2:3]
	v_mov_b32_e32 v2, s13
	v_add_co_u32_e32 v12, vcc, s12, v12
	v_addc_co_u32_e32 v13, vcc, v2, v13, vcc
	global_load_dword v2, v[12:13], off
	s_waitcnt vmcnt(0)
	v_cmp_le_f32_e32 vcc, 0, v2
	v_cmp_ge_f32_e64 s[2:3], 1.0, v2
	s_and_b64 s[50:51], vcc, s[2:3]
	s_mov_b64 s[2:3], 0
	s_and_saveexec_b64 s[52:53], s[50:51]
	s_xor_b64 s[50:51], exec, s[52:53]
	s_cbranch_execz .LBB30_74
; %bb.73:                               ;   in Loop: Header=BB30_3 Depth=1
	v_cvt_f32_u32_e32 v7, v7
	v_mov_b32_e32 v9, 0x2f800000
	s_mov_b64 s[2:3], exec
	v_fmac_f32_e32 v9, 0x2f800000, v7
	v_cmp_le_f32_e32 vcc, v9, v2
	v_cndmask_b32_e64 v2, 0, 1, vcc
	s_waitcnt lgkmcnt(0)
	global_store_byte v10, v2, s[14:15]
.LBB30_74:                              ;   in Loop: Header=BB30_3 Depth=1
	s_or_b64 exec, exec, s[50:51]
	s_andn2_b64 s[50:51], s[48:49], exec
	s_or_b64 s[48:49], s[48:49], exec
	s_andn2_b64 s[46:47], s[46:47], exec
	s_andn2_b64 s[44:45], s[44:45], exec
	s_and_b64 s[2:3], s[2:3], exec
	s_andn2_b64 s[4:5], s[4:5], exec
	s_or_b64 exec, exec, s[54:55]
	s_and_saveexec_b64 s[52:53], s[4:5]
	s_cbranch_execz .LBB30_71
.LBB30_75:                              ;   in Loop: Header=BB30_3 Depth=1
	v_cmp_eq_u32_e32 vcc, 1, v11
	s_andn2_b64 s[2:3], s[2:3], exec
	s_and_b64 s[4:5], vcc, exec
	s_andn2_b64 s[50:51], s[50:51], exec
	s_andn2_b64 s[48:49], s[48:49], exec
	;; [unrolled: 1-line block ×4, first 2 shown]
	s_or_b64 s[42:43], s[42:43], exec
	s_or_b64 s[2:3], s[2:3], s[4:5]
	s_or_b64 exec, exec, s[52:53]
	s_and_saveexec_b64 s[4:5], s[2:3]
	s_cbranch_execz .LBB30_79
.LBB30_76:                              ;   in Loop: Header=BB30_3 Depth=1
	s_waitcnt vmcnt(0)
	v_mov_b32_e32 v9, v3
	v_lshlrev_b64 v[8:9], 2, v[8:9]
	v_mov_b32_e32 v2, s13
	v_add_co_u32_e32 v8, vcc, s12, v8
	v_addc_co_u32_e32 v9, vcc, v2, v9, vcc
	global_load_dword v2, v[8:9], off
	s_waitcnt vmcnt(0)
	v_cmp_le_f32_e32 vcc, 0, v2
	v_cmp_ge_f32_e64 s[2:3], 1.0, v2
	s_and_b64 s[54:55], vcc, s[2:3]
	s_mov_b64 s[2:3], 0
	s_and_saveexec_b64 s[52:53], s[54:55]
	s_cbranch_execz .LBB30_78
; %bb.77:                               ;   in Loop: Header=BB30_3 Depth=1
	v_cvt_f32_u32_e32 v7, v16
	v_mov_b32_e32 v8, 0x2f800000
	s_mov_b64 s[2:3], exec
	v_fmac_f32_e32 v8, 0x2f800000, v7
	v_cmp_le_f32_e32 vcc, v8, v2
	v_cndmask_b32_e64 v2, 0, 1, vcc
	s_waitcnt lgkmcnt(0)
	global_store_byte v6, v2, s[14:15]
.LBB30_78:                              ;   in Loop: Header=BB30_3 Depth=1
	s_or_b64 exec, exec, s[52:53]
	s_andn2_b64 s[42:43], s[42:43], exec
	s_and_b64 s[2:3], s[2:3], exec
	s_or_b64 s[50:51], s[50:51], exec
	s_andn2_b64 s[48:49], s[48:49], exec
	s_andn2_b64 s[46:47], s[46:47], exec
	;; [unrolled: 1-line block ×3, first 2 shown]
	s_or_b64 s[42:43], s[42:43], s[2:3]
.LBB30_79:                              ;   in Loop: Header=BB30_3 Depth=1
	s_or_b64 exec, exec, s[4:5]
	s_andn2_b64 s[4:5], s[40:41], exec
	s_and_b64 s[40:41], s[50:51], exec
	s_or_b64 s[40:41], s[4:5], s[40:41]
	s_andn2_b64 s[4:5], s[38:39], exec
	s_and_b64 s[38:39], s[48:49], exec
	s_or_b64 s[38:39], s[4:5], s[38:39]
	;; [unrolled: 3-line block ×3, first 2 shown]
	s_andn2_b64 s[4:5], s[34:35], exec
	s_and_b64 s[34:35], s[44:45], exec
	s_mov_b64 s[2:3], -1
	s_or_b64 s[34:35], s[4:5], s[34:35]
	s_and_saveexec_b64 s[4:5], s[42:43]
	s_cbranch_execz .LBB30_2
; %bb.80:                               ;   in Loop: Header=BB30_3 Depth=1
	v_add_u32_e32 v34, s59, v34
	v_cmp_le_u32_e32 vcc, s33, v34
	s_andn2_b64 s[40:41], s[40:41], exec
	s_andn2_b64 s[38:39], s[38:39], exec
	s_andn2_b64 s[36:37], s[36:37], exec
	s_andn2_b64 s[34:35], s[34:35], exec
	s_orn2_b64 s[2:3], vcc, exec
	s_branch .LBB30_2
.LBB30_81:
	s_or_b64 exec, exec, s[24:25]
	s_xor_b64 s[6:7], s[30:31], -1
	s_xor_b64 s[8:9], s[28:29], -1
	;; [unrolled: 1-line block ×3, first 2 shown]
	s_mov_b64 s[2:3], 0
	s_and_saveexec_b64 s[4:5], s[0:1]
	s_xor_b64 s[0:1], exec, s[4:5]
	s_cbranch_execnz .LBB30_86
; %bb.82:
	s_andn2_saveexec_b64 s[0:1], s[0:1]
	s_cbranch_execnz .LBB30_94
.LBB30_83:
	s_or_b64 exec, exec, s[0:1]
	s_and_b64 exec, exec, s[2:3]
.LBB30_84:
	; divergent unreachable
.LBB30_85:
	s_endpgm
.LBB30_86:
	s_mov_b64 s[4:5], 0
	s_and_saveexec_b64 s[2:3], s[8:9]
	s_xor_b64 s[2:3], exec, s[2:3]
	s_cbranch_execz .LBB30_92
; %bb.87:
	s_and_saveexec_b64 s[8:9], s[6:7]
	s_xor_b64 s[6:7], exec, s[8:9]
	s_cbranch_execz .LBB30_90
; %bb.88:
	s_and_saveexec_b64 s[8:9], s[18:19]
	s_xor_b64 s[8:9], exec, s[8:9]
	s_cbranch_execnz .LBB30_97
.LBB30_89:
	s_or_b64 exec, exec, s[8:9]
	s_and_b64 s[4:5], s[4:5], exec
.LBB30_90:
	s_andn2_saveexec_b64 s[6:7], s[6:7]
	s_cbranch_execnz .LBB30_96
.LBB30_91:
	s_or_b64 exec, exec, s[6:7]
	s_and_b64 s[4:5], s[4:5], exec
.LBB30_92:
	s_andn2_saveexec_b64 s[2:3], s[2:3]
	s_cbranch_execnz .LBB30_95
.LBB30_93:
	s_or_b64 exec, exec, s[2:3]
	s_and_b64 s[2:3], s[4:5], exec
	s_andn2_saveexec_b64 s[0:1], s[0:1]
	s_cbranch_execz .LBB30_83
.LBB30_94:
	s_or_b64 s[2:3], s[2:3], exec
	s_trap 2
	s_or_b64 exec, exec, s[0:1]
	s_and_b64 exec, exec, s[2:3]
	s_cbranch_execnz .LBB30_84
	s_branch .LBB30_85
.LBB30_95:
	s_or_b64 s[4:5], s[4:5], exec
	s_trap 2
	s_branch .LBB30_93
.LBB30_96:
	s_trap 2
	s_or_b64 s[4:5], s[4:5], exec
	s_branch .LBB30_91
.LBB30_97:
	s_mov_b64 s[4:5], exec
	s_trap 2
	s_branch .LBB30_89
	.section	.rodata,"a",@progbits
	.p2align	6, 0x0
	.amdhsa_kernel _ZN2at4cuda12_GLOBAL__N_121kernelPointwiseApply2IZNS_6native9templates4cuda28bernoulli_tensor_cuda_kernelIafEEvRKNS_10TensorBaseES9_NS_15PhiloxCudaStateEEUliRaSB_SB_SB_RKfSD_SD_SD_E_aSC_jLin1ELin1ELi4ELi512ELi2EEEvNS0_6detail10TensorInfoIT0_T2_EENSG_IT1_SI_EESI_T_
		.amdhsa_group_segment_fixed_size 0
		.amdhsa_private_segment_fixed_size 0
		.amdhsa_kernarg_size 728
		.amdhsa_user_sgpr_count 6
		.amdhsa_user_sgpr_private_segment_buffer 1
		.amdhsa_user_sgpr_dispatch_ptr 0
		.amdhsa_user_sgpr_queue_ptr 0
		.amdhsa_user_sgpr_kernarg_segment_ptr 1
		.amdhsa_user_sgpr_dispatch_id 0
		.amdhsa_user_sgpr_flat_scratch_init 0
		.amdhsa_user_sgpr_kernarg_preload_length 0
		.amdhsa_user_sgpr_kernarg_preload_offset 0
		.amdhsa_user_sgpr_private_segment_size 0
		.amdhsa_uses_dynamic_stack 0
		.amdhsa_system_sgpr_private_segment_wavefront_offset 0
		.amdhsa_system_sgpr_workgroup_id_x 1
		.amdhsa_system_sgpr_workgroup_id_y 0
		.amdhsa_system_sgpr_workgroup_id_z 0
		.amdhsa_system_sgpr_workgroup_info 0
		.amdhsa_system_vgpr_workitem_id 0
		.amdhsa_next_free_vgpr 52
		.amdhsa_next_free_sgpr 64
		.amdhsa_accum_offset 52
		.amdhsa_reserve_vcc 1
		.amdhsa_reserve_flat_scratch 0
		.amdhsa_float_round_mode_32 0
		.amdhsa_float_round_mode_16_64 0
		.amdhsa_float_denorm_mode_32 3
		.amdhsa_float_denorm_mode_16_64 3
		.amdhsa_dx10_clamp 1
		.amdhsa_ieee_mode 1
		.amdhsa_fp16_overflow 0
		.amdhsa_tg_split 0
		.amdhsa_exception_fp_ieee_invalid_op 0
		.amdhsa_exception_fp_denorm_src 0
		.amdhsa_exception_fp_ieee_div_zero 0
		.amdhsa_exception_fp_ieee_overflow 0
		.amdhsa_exception_fp_ieee_underflow 0
		.amdhsa_exception_fp_ieee_inexact 0
		.amdhsa_exception_int_div_zero 0
	.end_amdhsa_kernel
	.section	.text._ZN2at4cuda12_GLOBAL__N_121kernelPointwiseApply2IZNS_6native9templates4cuda28bernoulli_tensor_cuda_kernelIafEEvRKNS_10TensorBaseES9_NS_15PhiloxCudaStateEEUliRaSB_SB_SB_RKfSD_SD_SD_E_aSC_jLin1ELin1ELi4ELi512ELi2EEEvNS0_6detail10TensorInfoIT0_T2_EENSG_IT1_SI_EESI_T_,"axG",@progbits,_ZN2at4cuda12_GLOBAL__N_121kernelPointwiseApply2IZNS_6native9templates4cuda28bernoulli_tensor_cuda_kernelIafEEvRKNS_10TensorBaseES9_NS_15PhiloxCudaStateEEUliRaSB_SB_SB_RKfSD_SD_SD_E_aSC_jLin1ELin1ELi4ELi512ELi2EEEvNS0_6detail10TensorInfoIT0_T2_EENSG_IT1_SI_EESI_T_,comdat
.Lfunc_end30:
	.size	_ZN2at4cuda12_GLOBAL__N_121kernelPointwiseApply2IZNS_6native9templates4cuda28bernoulli_tensor_cuda_kernelIafEEvRKNS_10TensorBaseES9_NS_15PhiloxCudaStateEEUliRaSB_SB_SB_RKfSD_SD_SD_E_aSC_jLin1ELin1ELi4ELi512ELi2EEEvNS0_6detail10TensorInfoIT0_T2_EENSG_IT1_SI_EESI_T_, .Lfunc_end30-_ZN2at4cuda12_GLOBAL__N_121kernelPointwiseApply2IZNS_6native9templates4cuda28bernoulli_tensor_cuda_kernelIafEEvRKNS_10TensorBaseES9_NS_15PhiloxCudaStateEEUliRaSB_SB_SB_RKfSD_SD_SD_E_aSC_jLin1ELin1ELi4ELi512ELi2EEEvNS0_6detail10TensorInfoIT0_T2_EENSG_IT1_SI_EESI_T_
                                        ; -- End function
	.section	.AMDGPU.csdata,"",@progbits
; Kernel info:
; codeLenInByte = 4364
; NumSgprs: 68
; NumVgprs: 52
; NumAgprs: 0
; TotalNumVgprs: 52
; ScratchSize: 0
; MemoryBound: 0
; FloatMode: 240
; IeeeMode: 1
; LDSByteSize: 0 bytes/workgroup (compile time only)
; SGPRBlocks: 8
; VGPRBlocks: 6
; NumSGPRsForWavesPerEU: 68
; NumVGPRsForWavesPerEU: 52
; AccumOffset: 52
; Occupancy: 8
; WaveLimiterHint : 1
; COMPUTE_PGM_RSRC2:SCRATCH_EN: 0
; COMPUTE_PGM_RSRC2:USER_SGPR: 6
; COMPUTE_PGM_RSRC2:TRAP_HANDLER: 0
; COMPUTE_PGM_RSRC2:TGID_X_EN: 1
; COMPUTE_PGM_RSRC2:TGID_Y_EN: 0
; COMPUTE_PGM_RSRC2:TGID_Z_EN: 0
; COMPUTE_PGM_RSRC2:TIDIG_COMP_CNT: 0
; COMPUTE_PGM_RSRC3_GFX90A:ACCUM_OFFSET: 12
; COMPUTE_PGM_RSRC3_GFX90A:TG_SPLIT: 0
	.section	.text._ZN2at4cuda12_GLOBAL__N_121kernelPointwiseApply2IZNS_6native9templates4cuda28bernoulli_tensor_cuda_kernelIafEEvRKNS_10TensorBaseES9_NS_15PhiloxCudaStateEEUliRaSB_SB_SB_RKfSD_SD_SD_E_aSC_mLi1ELi1ELi4ELi512ELi2EEEvNS0_6detail10TensorInfoIT0_T2_EENSG_IT1_SI_EESI_T_,"axG",@progbits,_ZN2at4cuda12_GLOBAL__N_121kernelPointwiseApply2IZNS_6native9templates4cuda28bernoulli_tensor_cuda_kernelIafEEvRKNS_10TensorBaseES9_NS_15PhiloxCudaStateEEUliRaSB_SB_SB_RKfSD_SD_SD_E_aSC_mLi1ELi1ELi4ELi512ELi2EEEvNS0_6detail10TensorInfoIT0_T2_EENSG_IT1_SI_EESI_T_,comdat
	.globl	_ZN2at4cuda12_GLOBAL__N_121kernelPointwiseApply2IZNS_6native9templates4cuda28bernoulli_tensor_cuda_kernelIafEEvRKNS_10TensorBaseES9_NS_15PhiloxCudaStateEEUliRaSB_SB_SB_RKfSD_SD_SD_E_aSC_mLi1ELi1ELi4ELi512ELi2EEEvNS0_6detail10TensorInfoIT0_T2_EENSG_IT1_SI_EESI_T_ ; -- Begin function _ZN2at4cuda12_GLOBAL__N_121kernelPointwiseApply2IZNS_6native9templates4cuda28bernoulli_tensor_cuda_kernelIafEEvRKNS_10TensorBaseES9_NS_15PhiloxCudaStateEEUliRaSB_SB_SB_RKfSD_SD_SD_E_aSC_mLi1ELi1ELi4ELi512ELi2EEEvNS0_6detail10TensorInfoIT0_T2_EENSG_IT1_SI_EESI_T_
	.p2align	8
	.type	_ZN2at4cuda12_GLOBAL__N_121kernelPointwiseApply2IZNS_6native9templates4cuda28bernoulli_tensor_cuda_kernelIafEEvRKNS_10TensorBaseES9_NS_15PhiloxCudaStateEEUliRaSB_SB_SB_RKfSD_SD_SD_E_aSC_mLi1ELi1ELi4ELi512ELi2EEEvNS0_6detail10TensorInfoIT0_T2_EENSG_IT1_SI_EESI_T_,@function
_ZN2at4cuda12_GLOBAL__N_121kernelPointwiseApply2IZNS_6native9templates4cuda28bernoulli_tensor_cuda_kernelIafEEvRKNS_10TensorBaseES9_NS_15PhiloxCudaStateEEUliRaSB_SB_SB_RKfSD_SD_SD_E_aSC_mLi1ELi1ELi4ELi512ELi2EEEvNS0_6detail10TensorInfoIT0_T2_EENSG_IT1_SI_EESI_T_: ; @_ZN2at4cuda12_GLOBAL__N_121kernelPointwiseApply2IZNS_6native9templates4cuda28bernoulli_tensor_cuda_kernelIafEEvRKNS_10TensorBaseES9_NS_15PhiloxCudaStateEEUliRaSB_SB_SB_RKfSD_SD_SD_E_aSC_mLi1ELi1ELi4ELi512ELi2EEEvNS0_6detail10TensorInfoIT0_T2_EENSG_IT1_SI_EESI_T_
; %bb.0:
	s_load_dword s2, s[4:5], 0x374
	s_load_dwordx8 s[8:15], s[4:5], 0x340
	s_add_u32 s0, s4, 0x368
	s_addc_u32 s1, s5, 0
	v_mov_b32_e32 v1, 0
	s_waitcnt lgkmcnt(0)
	s_and_b32 s2, s2, 0xffff
	s_mul_i32 s6, s6, s2
	v_add_u32_e32 v5, s6, v0
	v_lshlrev_b32_e32 v0, 2, v5
	v_cmp_gt_u64_e32 vcc, s[8:9], v[0:1]
	s_and_saveexec_b64 s[6:7], vcc
	s_cbranch_execz .LBB31_43
; %bb.1:
	s_load_dword s3, s[0:1], 0x0
	s_load_dword s22, s[4:5], 0x360
	s_load_dwordx2 s[6:7], s[4:5], 0x0
	s_load_dwordx2 s[18:19], s[4:5], 0xd0
	;; [unrolled: 1-line block ×4, first 2 shown]
	s_waitcnt lgkmcnt(0)
	s_mul_i32 s3, s3, s2
	s_bitcmp1_b32 s22, 0
	s_mov_b32 s33, 0xcd9e8d57
	v_pk_mov_b32 v[6:7], s[18:19], s[18:19] op_sel:[0,1]
	s_cselect_b64 s[4:5], -1, 0
	v_mad_u64_u32 v[2:3], s[0:1], v5, s33, 0
	s_lshl_b32 s56, s3, 2
	v_mad_u64_u32 v[6:7], s[0:1], s18, v0, v[6:7]
	s_mul_i32 s0, s19, s56
	s_mul_hi_u32 s1, s18, s56
	v_add_co_u32_e32 v16, vcc, 2, v0
	s_add_i32 s58, s1, s0
	v_addc_co_u32_e64 v17, s[0:1], 0, 0, vcc
	v_add_co_u32_e32 v18, vcc, 3, v0
	v_mul_lo_u32 v10, s19, v16
	v_mul_lo_u32 v11, s18, v17
	v_mad_u64_u32 v[8:9], s[0:1], s18, v16, 0
	v_addc_co_u32_e64 v19, s[0:1], 0, 0, vcc
	v_add3_u32 v9, v9, v11, v10
	v_mul_lo_u32 v12, s19, v18
	v_mul_lo_u32 v13, s18, v19
	v_mad_u64_u32 v[10:11], s[0:1], s18, v18, 0
	v_mul_lo_u32 v14, s19, v0
	v_add3_u32 v11, v11, v13, v12
	v_mad_u64_u32 v[12:13], s[0:1], s18, v0, 0
	v_add_u32_e32 v7, v14, v7
	v_add_u32_e32 v13, v13, v14
	v_pk_mov_b32 v[14:15], s[20:21], s[20:21] op_sel:[0,1]
	v_mad_u64_u32 v[14:15], s[0:1], s20, v0, v[14:15]
	s_mul_i32 s0, s21, s56
	s_mul_hi_u32 s1, s20, s56
	s_add_i32 s60, s1, s0
	v_mul_lo_u32 v20, s21, v16
	v_mul_lo_u32 v21, s20, v17
	v_mad_u64_u32 v[16:17], s[0:1], s20, v16, 0
	v_add3_u32 v17, v17, v21, v20
	v_mul_lo_u32 v20, s21, v18
	v_mul_lo_u32 v21, s20, v19
	v_mad_u64_u32 v[18:19], s[0:1], s20, v18, 0
	v_mul_lo_u32 v22, s21, v0
	v_add3_u32 v19, v19, v21, v20
	v_mad_u64_u32 v[20:21], s[0:1], s20, v0, 0
	v_mov_b32_e32 v4, v3
	s_mov_b32 s57, 0
	v_sub_u32_e32 v3, s8, v0
	s_mul_i32 s59, s18, s56
	v_add_u32_e32 v15, v22, v15
	s_mul_i32 s61, s20, s56
	v_add_u32_e32 v21, v21, v22
	s_mov_b64 s[20:21], 0
	s_mov_b32 s62, 0xd2511f53
	v_mov_b32_e32 v38, s17
	s_mov_b32 s63, 0xf1bbcdc8
	s_mov_b64 s[36:37], 0
	s_mov_b64 s[40:41], 0
                                        ; implicit-def: $sgpr22_sgpr23
                                        ; implicit-def: $sgpr24_sgpr25
                                        ; implicit-def: $sgpr26_sgpr27
                                        ; implicit-def: $sgpr18_sgpr19
                                        ; implicit-def: $sgpr28_sgpr29
                                        ; implicit-def: $sgpr30_sgpr31
                                        ; implicit-def: $sgpr34_sgpr35
                                        ; implicit-def: $sgpr38_sgpr39
	s_branch .LBB31_3
.LBB31_2:                               ;   in Loop: Header=BB31_3 Depth=1
	s_or_b64 exec, exec, s[2:3]
	s_and_b64 s[0:1], exec, s[0:1]
	s_or_b64 s[20:21], s[0:1], s[20:21]
	s_andn2_b64 s[0:1], s[18:19], exec
	s_and_b64 s[2:3], s[38:39], exec
	s_or_b64 s[18:19], s[0:1], s[2:3]
	s_andn2_b64 s[0:1], s[26:27], exec
	s_and_b64 s[2:3], s[34:35], exec
	;; [unrolled: 3-line block ×4, first 2 shown]
	s_or_b64 s[22:23], s[0:1], s[2:3]
	s_andn2_b64 exec, exec, s[20:21]
	s_cbranch_execz .LBB31_39
.LBB31_3:                               ; =>This Inner Loop Header: Depth=1
	v_mov_b32_e32 v22, s37
	v_add_co_u32_e32 v24, vcc, s36, v18
	v_addc_co_u32_e32 v22, vcc, v19, v22, vcc
	v_cmp_lt_i32_e64 s[0:1], 3, v3
	v_cndmask_b32_e64 v23, 0, v22, s[0:1]
	v_cndmask_b32_e64 v22, 0, v24, s[0:1]
	v_lshlrev_b64 v[22:23], 2, v[22:23]
	v_add_co_u32_e32 v22, vcc, s16, v22
	v_addc_co_u32_e32 v23, vcc, v38, v23, vcc
	global_load_dword v39, v[22:23], off
	s_andn2_b64 vcc, exec, s[4:5]
	v_pk_mov_b32 v[22:23], s[12:13], s[12:13] op_sel:[0,1]
	v_pk_mov_b32 v[24:25], s[10:11], s[10:11] op_sel:[0,1]
	s_cbranch_vccnz .LBB31_5
; %bb.4:                                ;   in Loop: Header=BB31_3 Depth=1
	v_pk_mov_b32 v[22:23], s[12:13], s[12:13] op_sel:[0,1]
	flat_load_dwordx2 v[22:23], v[22:23]
	v_pk_mov_b32 v[24:25], s[10:11], s[10:11] op_sel:[0,1]
	flat_load_dwordx2 v[24:25], v[24:25]
	v_mov_b32_e32 v26, s15
	s_waitcnt vmcnt(0) lgkmcnt(0)
	v_add_co_u32_e32 v22, vcc, s14, v22
	v_addc_co_u32_e32 v23, vcc, v23, v26, vcc
.LBB31_5:                               ;   in Loop: Header=BB31_3 Depth=1
	v_alignbit_b32 v34, v23, v22, 2
	v_lshrrev_b32_e32 v35, 2, v23
	v_xor_b32_e32 v26, v4, v24
	v_and_b32_e32 v40, 3, v22
	v_mad_u64_u32 v[22:23], s[2:3], v34, s62, 0
	v_xor_b32_e32 v26, v26, v35
	v_xor_b32_e32 v23, v23, v25
	v_add_u32_e32 v45, 0xbb67ae85, v25
	v_mad_u64_u32 v[26:27], s[2:3], v26, s62, 0
	v_mad_u64_u32 v[28:29], s[2:3], v23, s33, 0
	v_xor_b32_e32 v27, v45, v27
	v_add_u32_e32 v44, 0x9e3779b9, v24
	v_xor_b32_e32 v23, v2, v29
	v_xor_b32_e32 v27, v27, v22
	v_xor_b32_e32 v23, v23, v44
	v_add_u32_e32 v46, 0x3c6ef372, v24
	v_mad_u64_u32 v[30:31], s[2:3], v27, s33, 0
	v_add_u32_e32 v47, 0x76cf5d0a, v25
	v_mad_u64_u32 v[22:23], s[2:3], v23, s62, 0
	v_xor_b32_e32 v27, v46, v31
	v_xor_b32_e32 v27, v27, v28
	v_xor_b32_e32 v23, v47, v23
	v_xor_b32_e32 v23, v23, v26
	v_add_u32_e32 v49, 0x32370b8f, v25
	v_mad_u64_u32 v[26:27], s[2:3], v27, s62, 0
	v_add_u32_e32 v48, 0xdaa66d2b, v24
	v_mad_u64_u32 v[28:29], s[2:3], v23, s33, 0
	v_xor_b32_e32 v27, v49, v27
	;; [unrolled: 8-line block ×5, first 2 shown]
	v_xor_b32_e32 v27, v27, v28
	v_xor_b32_e32 v23, v55, v23
	;; [unrolled: 1-line block ×3, first 2 shown]
	v_add_u32_e32 v57, 0x1fd5c5a3, v25
	v_mad_u64_u32 v[26:27], s[2:3], v27, s62, 0
	v_xor_b32_e32 v27, v57, v27
	v_xor_b32_e32 v22, v27, v22
	v_add_u32_e32 v56, 0x5384540f, v24
	v_mad_u64_u32 v[32:33], s[2:3], v23, s33, 0
	v_add_co_u32_e32 v42, vcc, s63, v24
	v_mad_u64_u32 v[28:29], s[2:3], v22, s33, 0
	v_xor_b32_e32 v23, v56, v33
	v_xor_b32_e32 v22, v42, v29
	;; [unrolled: 1-line block ×4, first 2 shown]
	v_mad_u64_u32 v[30:31], s[2:3], v23, s62, 0
	v_mad_u64_u32 v[22:23], s[2:3], v22, s62, 0
	v_add_u32_e32 v43, 0x96a522ad, v25
	v_xor_b32_e32 v23, v23, v30
	v_xor_b32_e32 v41, v43, v23
	v_add_co_u32_e32 v23, vcc, 1, v34
	v_cndmask_b32_e64 v30, 0, 1, vcc
	v_addc_co_u32_e32 v36, vcc, 0, v35, vcc
	v_cmp_eq_u32_e32 vcc, 0, v36
	v_cndmask_b32_e32 v30, 0, v30, vcc
	v_add_u32_e32 v34, v30, v5
	v_cmp_eq_u32_e32 vcc, 0, v34
	v_mad_u64_u32 v[32:33], s[2:3], v23, s62, 0
	v_mad_u64_u32 v[34:35], s[2:3], v34, s33, 0
	v_add_u32_e32 v29, 0x8ff34781, v24
	v_cndmask_b32_e32 v30, 0, v30, vcc
	v_xor_b32_e32 v23, v35, v24
	v_xor_b32_e32 v24, v33, v25
	;; [unrolled: 1-line block ×4, first 2 shown]
	v_mad_u64_u32 v[36:37], s[2:3], v30, s33, 0
	v_add_u32_e32 v27, 0xdb3d7428, v25
	v_mad_u64_u32 v[24:25], s[2:3], v23, s62, 0
	v_xor_b32_e32 v23, v44, v37
	v_xor_b32_e32 v23, v23, v34
	v_xor_b32_e32 v25, v45, v25
	v_xor_b32_e32 v25, v25, v32
	v_mad_u64_u32 v[32:33], s[2:3], v23, s62, 0
	v_mad_u64_u32 v[34:35], s[2:3], v25, s33, 0
	v_xor_b32_e32 v25, v47, v33
	v_xor_b32_e32 v23, v46, v35
	v_xor_b32_e32 v30, v25, v24
	v_xor_b32_e32 v23, v23, v36
	v_mad_u64_u32 v[36:37], s[2:3], v30, s33, 0
	;; [unrolled: 6-line block ×7, first 2 shown]
	v_xor_b32_e32 v23, v27, v35
	v_xor_b32_e32 v23, v23, v24
	v_mad_u64_u32 v[36:37], s[2:3], v25, s33, 0
	v_mad_u64_u32 v[24:25], s[2:3], v23, s33, 0
	v_xor_b32_e32 v23, v25, v36
	v_xor_b32_e32 v23, v29, v23
	v_cmp_lt_i32_e32 vcc, 1, v40
                                        ; implicit-def: $vgpr33
	s_and_saveexec_b64 s[2:3], vcc
	s_xor_b64 s[2:3], exec, s[2:3]
	s_cbranch_execz .LBB31_11
; %bb.6:                                ;   in Loop: Header=BB31_3 Depth=1
	v_cmp_lt_i32_e32 vcc, 2, v40
                                        ; implicit-def: $vgpr33
	s_and_saveexec_b64 s[42:43], vcc
	s_xor_b64 s[42:43], exec, s[42:43]
; %bb.7:                                ;   in Loop: Header=BB31_3 Depth=1
	v_xor_b32_e32 v25, v42, v37
	v_xor_b32_e32 v25, v25, v32
	v_mul_hi_u32 v25, v25, s62
	v_xor_b32_e32 v25, v25, v34
	v_xor_b32_e32 v33, v43, v25
                                        ; implicit-def: $vgpr41
; %bb.8:                                ;   in Loop: Header=BB31_3 Depth=1
	s_andn2_saveexec_b64 s[42:43], s[42:43]
; %bb.9:                                ;   in Loop: Header=BB31_3 Depth=1
	v_mov_b32_e32 v33, v24
	v_mov_b32_e32 v24, v23
	;; [unrolled: 1-line block ×4, first 2 shown]
; %bb.10:                               ;   in Loop: Header=BB31_3 Depth=1
	s_or_b64 exec, exec, s[42:43]
                                        ; implicit-def: $vgpr26_vgpr27
                                        ; implicit-def: $vgpr28_vgpr29
                                        ; implicit-def: $vgpr40
                                        ; implicit-def: $vgpr41
                                        ; implicit-def: $vgpr30_vgpr31
                                        ; implicit-def: $vgpr27
                                        ; implicit-def: $vgpr29
.LBB31_11:                              ;   in Loop: Header=BB31_3 Depth=1
	s_andn2_saveexec_b64 s[2:3], s[2:3]
	s_cbranch_execz .LBB31_15
; %bb.12:                               ;   in Loop: Header=BB31_3 Depth=1
	v_xor_b32_e32 v24, v27, v31
	v_xor_b32_e32 v24, v24, v26
	v_mad_u64_u32 v[26:27], s[42:43], v24, s33, 0
	v_xor_b32_e32 v24, v27, v28
	v_xor_b32_e32 v25, v29, v24
	v_cmp_eq_u32_e32 vcc, 1, v40
	v_mov_b32_e32 v33, v22
	v_mov_b32_e32 v24, v41
	;; [unrolled: 1-line block ×3, first 2 shown]
	s_and_saveexec_b64 s[42:43], vcc
; %bb.13:                               ;   in Loop: Header=BB31_3 Depth=1
	v_mov_b32_e32 v33, v23
	v_mov_b32_e32 v24, v22
	;; [unrolled: 1-line block ×4, first 2 shown]
; %bb.14:                               ;   in Loop: Header=BB31_3 Depth=1
	s_or_b64 exec, exec, s[42:43]
	v_mov_b32_e32 v22, v25
	v_mov_b32_e32 v23, v27
.LBB31_15:                              ;   in Loop: Header=BB31_3 Depth=1
	s_or_b64 exec, exec, s[2:3]
	v_min_i32_e32 v25, 4, v3
	v_cmp_lt_i32_e32 vcc, 2, v25
	s_mov_b64 s[42:43], 0
	s_mov_b64 s[2:3], 0
                                        ; implicit-def: $sgpr44_sgpr45
                                        ; implicit-def: $sgpr46_sgpr47
                                        ; implicit-def: $sgpr48_sgpr49
	s_and_saveexec_b64 s[50:51], vcc
	s_xor_b64 s[50:51], exec, s[50:51]
	s_cbranch_execz .LBB31_25
; %bb.16:                               ;   in Loop: Header=BB31_3 Depth=1
	v_cmp_lt_i32_e32 vcc, 3, v25
	s_mov_b64 s[2:3], -1
                                        ; implicit-def: $sgpr44_sgpr45
                                        ; implicit-def: $sgpr52_sgpr53
	s_and_saveexec_b64 s[46:47], vcc
	s_cbranch_execz .LBB31_20
; %bb.17:                               ;   in Loop: Header=BB31_3 Depth=1
	s_waitcnt vmcnt(0)
	v_cmp_le_f32_e32 vcc, 0, v39
	v_cmp_ge_f32_e64 s[2:3], 1.0, v39
	s_and_b64 s[52:53], vcc, s[2:3]
	s_mov_b64 s[44:45], 0
	s_mov_b64 s[2:3], 0
	s_and_saveexec_b64 s[48:49], s[52:53]
	s_cbranch_execz .LBB31_19
; %bb.18:                               ;   in Loop: Header=BB31_3 Depth=1
	v_cvt_f32_u32_e32 v26, v33
	v_mov_b32_e32 v28, 0x2f800000
	v_mov_b32_e32 v27, s41
	;; [unrolled: 1-line block ×3, first 2 shown]
	v_fmac_f32_e32 v28, 0x2f800000, v26
	v_add_co_u32_e32 v26, vcc, s40, v10
	v_addc_co_u32_e32 v27, vcc, v11, v27, vcc
	v_cndmask_b32_e64 v26, 0, v26, s[0:1]
	v_cndmask_b32_e64 v27, 0, v27, s[0:1]
	v_add_co_u32_e32 v26, vcc, s6, v26
	v_addc_co_u32_e32 v27, vcc, v29, v27, vcc
	v_cmp_le_f32_e32 vcc, v28, v39
	s_mov_b64 s[2:3], exec
	v_cndmask_b32_e64 v28, 0, 1, vcc
	global_store_byte v[26:27], v28, off
.LBB31_19:                              ;   in Loop: Header=BB31_3 Depth=1
	s_or_b64 exec, exec, s[48:49]
	s_mov_b64 s[52:53], -1
	s_orn2_b64 s[2:3], s[2:3], exec
.LBB31_20:                              ;   in Loop: Header=BB31_3 Depth=1
	s_or_b64 exec, exec, s[46:47]
	s_mov_b64 s[0:1], 0
	s_mov_b64 s[48:49], s[44:45]
	s_and_saveexec_b64 s[46:47], s[2:3]
	s_cbranch_execz .LBB31_24
; %bb.21:                               ;   in Loop: Header=BB31_3 Depth=1
	v_mov_b32_e32 v26, s37
	v_add_co_u32_e32 v28, vcc, s36, v16
	v_addc_co_u32_e32 v26, vcc, v17, v26, vcc
	v_cmp_lt_i32_e32 vcc, 2, v3
	v_cndmask_b32_e32 v27, 0, v26, vcc
	v_cndmask_b32_e32 v26, 0, v28, vcc
	v_lshlrev_b64 v[26:27], 2, v[26:27]
	v_mov_b32_e32 v28, s17
	v_add_co_u32_e64 v26, s[0:1], s16, v26
	v_addc_co_u32_e64 v27, s[0:1], v28, v27, s[0:1]
	global_load_dword v26, v[26:27], off
	s_waitcnt vmcnt(0)
	v_cmp_le_f32_e64 s[0:1], 0, v26
	v_cmp_ge_f32_e64 s[2:3], 1.0, v26
	s_and_b64 s[0:1], s[0:1], s[2:3]
	s_mov_b64 s[2:3], 0
	s_and_saveexec_b64 s[48:49], s[0:1]
	s_xor_b64 s[48:49], exec, s[48:49]
	s_cbranch_execz .LBB31_23
; %bb.22:                               ;   in Loop: Header=BB31_3 Depth=1
	v_cvt_f32_u32_e32 v24, v24
	v_mov_b32_e32 v27, 0x2f800000
	v_mov_b32_e32 v28, s41
	;; [unrolled: 1-line block ×3, first 2 shown]
	v_fmac_f32_e32 v27, 0x2f800000, v24
	v_add_co_u32_e64 v24, s[0:1], s40, v8
	v_addc_co_u32_e64 v28, s[0:1], v9, v28, s[0:1]
	v_cndmask_b32_e32 v24, 0, v24, vcc
	v_cndmask_b32_e32 v29, 0, v28, vcc
	v_add_co_u32_e32 v28, vcc, s6, v24
	v_addc_co_u32_e32 v29, vcc, v30, v29, vcc
	v_cmp_le_f32_e32 vcc, v27, v26
	v_cndmask_b32_e64 v24, 0, 1, vcc
	s_mov_b64 s[2:3], exec
	global_store_byte v[28:29], v24, off
.LBB31_23:                              ;   in Loop: Header=BB31_3 Depth=1
	s_or_b64 exec, exec, s[48:49]
	s_andn2_b64 s[48:49], s[44:45], exec
	s_or_b64 s[44:45], s[44:45], exec
	s_andn2_b64 s[52:53], s[52:53], exec
	s_and_b64 s[0:1], s[2:3], exec
.LBB31_24:                              ;   in Loop: Header=BB31_3 Depth=1
	s_or_b64 exec, exec, s[46:47]
	s_and_b64 s[48:49], s[48:49], exec
	s_and_b64 s[46:47], s[44:45], exec
	;; [unrolled: 1-line block ×4, first 2 shown]
.LBB31_25:                              ;   in Loop: Header=BB31_3 Depth=1
	s_andn2_saveexec_b64 s[0:1], s[50:51]
; %bb.26:                               ;   in Loop: Header=BB31_3 Depth=1
	v_cmp_lt_i32_e32 vcc, 1, v25
	s_andn2_b64 s[2:3], s[2:3], exec
	s_and_b64 s[50:51], vcc, exec
	s_mov_b64 s[42:43], exec
	s_andn2_b64 s[48:49], s[48:49], exec
	s_andn2_b64 s[46:47], s[46:47], exec
	;; [unrolled: 1-line block ×3, first 2 shown]
	s_or_b64 s[2:3], s[2:3], s[50:51]
; %bb.27:                               ;   in Loop: Header=BB31_3 Depth=1
	s_or_b64 exec, exec, s[0:1]
	s_mov_b64 s[50:51], 0
	s_mov_b64 s[0:1], 0
	;; [unrolled: 1-line block ×3, first 2 shown]
	s_and_saveexec_b64 s[54:55], s[2:3]
	s_cbranch_execnz .LBB31_30
; %bb.28:                               ;   in Loop: Header=BB31_3 Depth=1
	s_or_b64 exec, exec, s[54:55]
	s_and_saveexec_b64 s[2:3], s[42:43]
	s_cbranch_execnz .LBB31_33
.LBB31_29:                              ;   in Loop: Header=BB31_3 Depth=1
	s_or_b64 exec, exec, s[2:3]
	s_and_saveexec_b64 s[42:43], s[0:1]
	s_cbranch_execnz .LBB31_34
	s_branch .LBB31_37
.LBB31_30:                              ;   in Loop: Header=BB31_3 Depth=1
	v_mov_b32_e32 v24, s37
	v_add_co_u32_e32 v26, vcc, s36, v14
	v_addc_co_u32_e32 v24, vcc, v15, v24, vcc
	v_cmp_lt_i32_e32 vcc, 1, v3
	v_cndmask_b32_e32 v27, 0, v24, vcc
	v_cndmask_b32_e32 v26, 0, v26, vcc
	v_lshlrev_b64 v[26:27], 2, v[26:27]
	v_mov_b32_e32 v24, s17
	v_add_co_u32_e64 v26, s[0:1], s16, v26
	v_addc_co_u32_e64 v27, s[0:1], v24, v27, s[0:1]
	global_load_dword v24, v[26:27], off
	s_waitcnt vmcnt(0)
	v_cmp_le_f32_e64 s[0:1], 0, v24
	v_cmp_ge_f32_e64 s[2:3], 1.0, v24
	s_and_b64 s[0:1], s[0:1], s[2:3]
	s_mov_b64 s[2:3], 0
	s_and_saveexec_b64 s[52:53], s[0:1]
	s_xor_b64 s[52:53], exec, s[52:53]
	s_cbranch_execz .LBB31_32
; %bb.31:                               ;   in Loop: Header=BB31_3 Depth=1
	v_cvt_f32_u32_e32 v23, v23
	v_mov_b32_e32 v28, 0x2f800000
	v_mov_b32_e32 v26, s41
	;; [unrolled: 1-line block ×3, first 2 shown]
	v_fmac_f32_e32 v28, 0x2f800000, v23
	v_add_co_u32_e64 v23, s[0:1], s40, v6
	v_addc_co_u32_e64 v26, s[0:1], v7, v26, s[0:1]
	v_cndmask_b32_e32 v23, 0, v23, vcc
	v_cndmask_b32_e32 v27, 0, v26, vcc
	v_add_co_u32_e32 v26, vcc, s6, v23
	v_addc_co_u32_e32 v27, vcc, v29, v27, vcc
	v_cmp_le_f32_e32 vcc, v28, v24
	v_cndmask_b32_e64 v23, 0, 1, vcc
	s_mov_b64 s[2:3], exec
	global_store_byte v[26:27], v23, off
.LBB31_32:                              ;   in Loop: Header=BB31_3 Depth=1
	s_or_b64 exec, exec, s[52:53]
	s_andn2_b64 s[52:53], s[48:49], exec
	s_or_b64 s[48:49], s[48:49], exec
	s_andn2_b64 s[46:47], s[46:47], exec
	s_andn2_b64 s[44:45], s[44:45], exec
	s_and_b64 s[0:1], s[2:3], exec
	s_andn2_b64 s[42:43], s[42:43], exec
	s_or_b64 exec, exec, s[54:55]
	s_and_saveexec_b64 s[2:3], s[42:43]
	s_cbranch_execz .LBB31_29
.LBB31_33:                              ;   in Loop: Header=BB31_3 Depth=1
	v_cmp_eq_u32_e32 vcc, 1, v25
	s_andn2_b64 s[0:1], s[0:1], exec
	s_and_b64 s[42:43], vcc, exec
	s_mov_b64 s[50:51], exec
	s_andn2_b64 s[52:53], s[52:53], exec
	s_andn2_b64 s[48:49], s[48:49], exec
	;; [unrolled: 1-line block ×4, first 2 shown]
	s_or_b64 s[0:1], s[0:1], s[42:43]
	s_or_b64 exec, exec, s[2:3]
	s_and_saveexec_b64 s[42:43], s[0:1]
	s_cbranch_execz .LBB31_37
.LBB31_34:                              ;   in Loop: Header=BB31_3 Depth=1
	v_mov_b32_e32 v23, s37
	v_add_co_u32_e32 v24, vcc, s36, v20
	v_addc_co_u32_e32 v23, vcc, v21, v23, vcc
	v_cmp_lt_i32_e32 vcc, 0, v3
	v_cndmask_b32_e32 v25, 0, v23, vcc
	v_cndmask_b32_e32 v24, 0, v24, vcc
	v_lshlrev_b64 v[24:25], 2, v[24:25]
	v_mov_b32_e32 v23, s17
	v_add_co_u32_e64 v24, s[0:1], s16, v24
	v_addc_co_u32_e64 v25, s[0:1], v23, v25, s[0:1]
	global_load_dword v23, v[24:25], off
	s_waitcnt vmcnt(0)
	v_cmp_le_f32_e64 s[0:1], 0, v23
	v_cmp_ge_f32_e64 s[2:3], 1.0, v23
	s_and_b64 s[0:1], s[0:1], s[2:3]
	s_mov_b64 s[2:3], 0
	s_and_saveexec_b64 s[54:55], s[0:1]
	s_cbranch_execz .LBB31_36
; %bb.35:                               ;   in Loop: Header=BB31_3 Depth=1
	v_cvt_f32_u32_e32 v22, v22
	v_mov_b32_e32 v26, 0x2f800000
	v_mov_b32_e32 v24, s41
	;; [unrolled: 1-line block ×3, first 2 shown]
	v_fmac_f32_e32 v26, 0x2f800000, v22
	v_add_co_u32_e64 v22, s[0:1], s40, v12
	v_addc_co_u32_e64 v24, s[0:1], v13, v24, s[0:1]
	v_cndmask_b32_e32 v22, 0, v22, vcc
	v_cndmask_b32_e32 v25, 0, v24, vcc
	v_add_co_u32_e32 v24, vcc, s6, v22
	v_addc_co_u32_e32 v25, vcc, v27, v25, vcc
	v_cmp_le_f32_e32 vcc, v26, v23
	s_mov_b64 s[2:3], exec
	v_cndmask_b32_e64 v22, 0, 1, vcc
	global_store_byte v[24:25], v22, off
.LBB31_36:                              ;   in Loop: Header=BB31_3 Depth=1
	s_or_b64 exec, exec, s[54:55]
	s_andn2_b64 s[0:1], s[50:51], exec
	s_and_b64 s[2:3], s[2:3], exec
	s_or_b64 s[52:53], s[52:53], exec
	s_andn2_b64 s[48:49], s[48:49], exec
	s_andn2_b64 s[46:47], s[46:47], exec
	;; [unrolled: 1-line block ×3, first 2 shown]
	s_or_b64 s[50:51], s[0:1], s[2:3]
.LBB31_37:                              ;   in Loop: Header=BB31_3 Depth=1
	s_or_b64 exec, exec, s[42:43]
	s_andn2_b64 s[2:3], s[38:39], exec
	s_and_b64 s[38:39], s[52:53], exec
	s_or_b64 s[38:39], s[2:3], s[38:39]
	s_andn2_b64 s[2:3], s[34:35], exec
	s_and_b64 s[34:35], s[48:49], exec
	s_or_b64 s[34:35], s[2:3], s[34:35]
	;; [unrolled: 3-line block ×3, first 2 shown]
	s_andn2_b64 s[2:3], s[28:29], exec
	s_and_b64 s[28:29], s[44:45], exec
	s_mov_b64 s[0:1], -1
	s_or_b64 s[28:29], s[2:3], s[28:29]
	s_and_saveexec_b64 s[2:3], s[50:51]
	s_cbranch_execz .LBB31_2
; %bb.38:                               ;   in Loop: Header=BB31_3 Depth=1
	v_mov_b32_e32 v22, s57
	v_add_co_u32_e32 v0, vcc, s56, v0
	s_add_u32 s40, s40, s59
	v_addc_co_u32_e32 v1, vcc, v1, v22, vcc
	s_addc_u32 s41, s41, s58
	s_add_u32 s36, s36, s61
	v_cmp_le_u64_e32 vcc, s[8:9], v[0:1]
	v_subrev_u32_e32 v3, s56, v3
	s_addc_u32 s37, s37, s60
	s_andn2_b64 s[38:39], s[38:39], exec
	s_andn2_b64 s[34:35], s[34:35], exec
	;; [unrolled: 1-line block ×4, first 2 shown]
	s_orn2_b64 s[0:1], vcc, exec
	s_branch .LBB31_2
.LBB31_39:
	s_or_b64 exec, exec, s[20:21]
	s_xor_b64 s[6:7], s[26:27], -1
	s_xor_b64 s[8:9], s[24:25], -1
	;; [unrolled: 1-line block ×3, first 2 shown]
	s_mov_b64 s[2:3], 0
	s_and_saveexec_b64 s[4:5], s[0:1]
	s_xor_b64 s[0:1], exec, s[4:5]
	s_cbranch_execnz .LBB31_44
; %bb.40:
	s_andn2_saveexec_b64 s[0:1], s[0:1]
	s_cbranch_execnz .LBB31_52
.LBB31_41:
	s_or_b64 exec, exec, s[0:1]
	s_and_b64 exec, exec, s[2:3]
.LBB31_42:
	; divergent unreachable
.LBB31_43:
	s_endpgm
.LBB31_44:
	s_mov_b64 s[4:5], 0
	s_and_saveexec_b64 s[2:3], s[8:9]
	s_xor_b64 s[2:3], exec, s[2:3]
	s_cbranch_execz .LBB31_50
; %bb.45:
	s_and_saveexec_b64 s[8:9], s[6:7]
	s_xor_b64 s[6:7], exec, s[8:9]
	s_cbranch_execz .LBB31_48
; %bb.46:
	s_and_saveexec_b64 s[8:9], s[18:19]
	s_xor_b64 s[8:9], exec, s[8:9]
	s_cbranch_execnz .LBB31_55
.LBB31_47:
	s_or_b64 exec, exec, s[8:9]
	s_and_b64 s[4:5], s[4:5], exec
.LBB31_48:
	s_andn2_saveexec_b64 s[6:7], s[6:7]
	s_cbranch_execnz .LBB31_54
.LBB31_49:
	s_or_b64 exec, exec, s[6:7]
	s_and_b64 s[4:5], s[4:5], exec
.LBB31_50:
	s_andn2_saveexec_b64 s[2:3], s[2:3]
	s_cbranch_execnz .LBB31_53
.LBB31_51:
	s_or_b64 exec, exec, s[2:3]
	s_and_b64 s[2:3], s[4:5], exec
	s_andn2_saveexec_b64 s[0:1], s[0:1]
	s_cbranch_execz .LBB31_41
.LBB31_52:
	s_or_b64 s[2:3], s[2:3], exec
	s_trap 2
	s_or_b64 exec, exec, s[0:1]
	s_and_b64 exec, exec, s[2:3]
	s_cbranch_execnz .LBB31_42
	s_branch .LBB31_43
.LBB31_53:
	s_or_b64 s[4:5], s[4:5], exec
	s_trap 2
	s_branch .LBB31_51
.LBB31_54:
	s_trap 2
	s_or_b64 s[4:5], s[4:5], exec
	s_branch .LBB31_49
.LBB31_55:
	s_mov_b64 s[4:5], exec
	s_trap 2
	s_branch .LBB31_47
	.section	.rodata,"a",@progbits
	.p2align	6, 0x0
	.amdhsa_kernel _ZN2at4cuda12_GLOBAL__N_121kernelPointwiseApply2IZNS_6native9templates4cuda28bernoulli_tensor_cuda_kernelIafEEvRKNS_10TensorBaseES9_NS_15PhiloxCudaStateEEUliRaSB_SB_SB_RKfSD_SD_SD_E_aSC_mLi1ELi1ELi4ELi512ELi2EEEvNS0_6detail10TensorInfoIT0_T2_EENSG_IT1_SI_EESI_T_
		.amdhsa_group_segment_fixed_size 0
		.amdhsa_private_segment_fixed_size 0
		.amdhsa_kernarg_size 1128
		.amdhsa_user_sgpr_count 6
		.amdhsa_user_sgpr_private_segment_buffer 1
		.amdhsa_user_sgpr_dispatch_ptr 0
		.amdhsa_user_sgpr_queue_ptr 0
		.amdhsa_user_sgpr_kernarg_segment_ptr 1
		.amdhsa_user_sgpr_dispatch_id 0
		.amdhsa_user_sgpr_flat_scratch_init 0
		.amdhsa_user_sgpr_kernarg_preload_length 0
		.amdhsa_user_sgpr_kernarg_preload_offset 0
		.amdhsa_user_sgpr_private_segment_size 0
		.amdhsa_uses_dynamic_stack 0
		.amdhsa_system_sgpr_private_segment_wavefront_offset 0
		.amdhsa_system_sgpr_workgroup_id_x 1
		.amdhsa_system_sgpr_workgroup_id_y 0
		.amdhsa_system_sgpr_workgroup_id_z 0
		.amdhsa_system_sgpr_workgroup_info 0
		.amdhsa_system_vgpr_workitem_id 0
		.amdhsa_next_free_vgpr 58
		.amdhsa_next_free_sgpr 64
		.amdhsa_accum_offset 60
		.amdhsa_reserve_vcc 1
		.amdhsa_reserve_flat_scratch 0
		.amdhsa_float_round_mode_32 0
		.amdhsa_float_round_mode_16_64 0
		.amdhsa_float_denorm_mode_32 3
		.amdhsa_float_denorm_mode_16_64 3
		.amdhsa_dx10_clamp 1
		.amdhsa_ieee_mode 1
		.amdhsa_fp16_overflow 0
		.amdhsa_tg_split 0
		.amdhsa_exception_fp_ieee_invalid_op 0
		.amdhsa_exception_fp_denorm_src 0
		.amdhsa_exception_fp_ieee_div_zero 0
		.amdhsa_exception_fp_ieee_overflow 0
		.amdhsa_exception_fp_ieee_underflow 0
		.amdhsa_exception_fp_ieee_inexact 0
		.amdhsa_exception_int_div_zero 0
	.end_amdhsa_kernel
	.section	.text._ZN2at4cuda12_GLOBAL__N_121kernelPointwiseApply2IZNS_6native9templates4cuda28bernoulli_tensor_cuda_kernelIafEEvRKNS_10TensorBaseES9_NS_15PhiloxCudaStateEEUliRaSB_SB_SB_RKfSD_SD_SD_E_aSC_mLi1ELi1ELi4ELi512ELi2EEEvNS0_6detail10TensorInfoIT0_T2_EENSG_IT1_SI_EESI_T_,"axG",@progbits,_ZN2at4cuda12_GLOBAL__N_121kernelPointwiseApply2IZNS_6native9templates4cuda28bernoulli_tensor_cuda_kernelIafEEvRKNS_10TensorBaseES9_NS_15PhiloxCudaStateEEUliRaSB_SB_SB_RKfSD_SD_SD_E_aSC_mLi1ELi1ELi4ELi512ELi2EEEvNS0_6detail10TensorInfoIT0_T2_EENSG_IT1_SI_EESI_T_,comdat
.Lfunc_end31:
	.size	_ZN2at4cuda12_GLOBAL__N_121kernelPointwiseApply2IZNS_6native9templates4cuda28bernoulli_tensor_cuda_kernelIafEEvRKNS_10TensorBaseES9_NS_15PhiloxCudaStateEEUliRaSB_SB_SB_RKfSD_SD_SD_E_aSC_mLi1ELi1ELi4ELi512ELi2EEEvNS0_6detail10TensorInfoIT0_T2_EENSG_IT1_SI_EESI_T_, .Lfunc_end31-_ZN2at4cuda12_GLOBAL__N_121kernelPointwiseApply2IZNS_6native9templates4cuda28bernoulli_tensor_cuda_kernelIafEEvRKNS_10TensorBaseES9_NS_15PhiloxCudaStateEEUliRaSB_SB_SB_RKfSD_SD_SD_E_aSC_mLi1ELi1ELi4ELi512ELi2EEEvNS0_6detail10TensorInfoIT0_T2_EENSG_IT1_SI_EESI_T_
                                        ; -- End function
	.section	.AMDGPU.csdata,"",@progbits
; Kernel info:
; codeLenInByte = 2912
; NumSgprs: 68
; NumVgprs: 58
; NumAgprs: 0
; TotalNumVgprs: 58
; ScratchSize: 0
; MemoryBound: 0
; FloatMode: 240
; IeeeMode: 1
; LDSByteSize: 0 bytes/workgroup (compile time only)
; SGPRBlocks: 8
; VGPRBlocks: 7
; NumSGPRsForWavesPerEU: 68
; NumVGPRsForWavesPerEU: 58
; AccumOffset: 60
; Occupancy: 8
; WaveLimiterHint : 1
; COMPUTE_PGM_RSRC2:SCRATCH_EN: 0
; COMPUTE_PGM_RSRC2:USER_SGPR: 6
; COMPUTE_PGM_RSRC2:TRAP_HANDLER: 0
; COMPUTE_PGM_RSRC2:TGID_X_EN: 1
; COMPUTE_PGM_RSRC2:TGID_Y_EN: 0
; COMPUTE_PGM_RSRC2:TGID_Z_EN: 0
; COMPUTE_PGM_RSRC2:TIDIG_COMP_CNT: 0
; COMPUTE_PGM_RSRC3_GFX90A:ACCUM_OFFSET: 14
; COMPUTE_PGM_RSRC3_GFX90A:TG_SPLIT: 0
	.section	.text._ZN2at4cuda12_GLOBAL__N_121kernelPointwiseApply2IZNS_6native9templates4cuda28bernoulli_tensor_cuda_kernelIafEEvRKNS_10TensorBaseES9_NS_15PhiloxCudaStateEEUliRaSB_SB_SB_RKfSD_SD_SD_E_aSC_mLin1ELin1ELi4ELi512ELi2EEEvNS0_6detail10TensorInfoIT0_T2_EENSG_IT1_SI_EESI_T_,"axG",@progbits,_ZN2at4cuda12_GLOBAL__N_121kernelPointwiseApply2IZNS_6native9templates4cuda28bernoulli_tensor_cuda_kernelIafEEvRKNS_10TensorBaseES9_NS_15PhiloxCudaStateEEUliRaSB_SB_SB_RKfSD_SD_SD_E_aSC_mLin1ELin1ELi4ELi512ELi2EEEvNS0_6detail10TensorInfoIT0_T2_EENSG_IT1_SI_EESI_T_,comdat
	.globl	_ZN2at4cuda12_GLOBAL__N_121kernelPointwiseApply2IZNS_6native9templates4cuda28bernoulli_tensor_cuda_kernelIafEEvRKNS_10TensorBaseES9_NS_15PhiloxCudaStateEEUliRaSB_SB_SB_RKfSD_SD_SD_E_aSC_mLin1ELin1ELi4ELi512ELi2EEEvNS0_6detail10TensorInfoIT0_T2_EENSG_IT1_SI_EESI_T_ ; -- Begin function _ZN2at4cuda12_GLOBAL__N_121kernelPointwiseApply2IZNS_6native9templates4cuda28bernoulli_tensor_cuda_kernelIafEEvRKNS_10TensorBaseES9_NS_15PhiloxCudaStateEEUliRaSB_SB_SB_RKfSD_SD_SD_E_aSC_mLin1ELin1ELi4ELi512ELi2EEEvNS0_6detail10TensorInfoIT0_T2_EENSG_IT1_SI_EESI_T_
	.p2align	8
	.type	_ZN2at4cuda12_GLOBAL__N_121kernelPointwiseApply2IZNS_6native9templates4cuda28bernoulli_tensor_cuda_kernelIafEEvRKNS_10TensorBaseES9_NS_15PhiloxCudaStateEEUliRaSB_SB_SB_RKfSD_SD_SD_E_aSC_mLin1ELin1ELi4ELi512ELi2EEEvNS0_6detail10TensorInfoIT0_T2_EENSG_IT1_SI_EESI_T_,@function
_ZN2at4cuda12_GLOBAL__N_121kernelPointwiseApply2IZNS_6native9templates4cuda28bernoulli_tensor_cuda_kernelIafEEvRKNS_10TensorBaseES9_NS_15PhiloxCudaStateEEUliRaSB_SB_SB_RKfSD_SD_SD_E_aSC_mLin1ELin1ELi4ELi512ELi2EEEvNS0_6detail10TensorInfoIT0_T2_EENSG_IT1_SI_EESI_T_: ; @_ZN2at4cuda12_GLOBAL__N_121kernelPointwiseApply2IZNS_6native9templates4cuda28bernoulli_tensor_cuda_kernelIafEEvRKNS_10TensorBaseES9_NS_15PhiloxCudaStateEEUliRaSB_SB_SB_RKfSD_SD_SD_E_aSC_mLin1ELin1ELi4ELi512ELi2EEEvNS0_6detail10TensorInfoIT0_T2_EENSG_IT1_SI_EESI_T_
; %bb.0:
	s_load_dword s2, s[4:5], 0x374
	s_load_dwordx8 s[8:15], s[4:5], 0x340
	s_add_u32 s0, s4, 0x368
	s_addc_u32 s1, s5, 0
	v_mov_b32_e32 v2, 0
	s_waitcnt lgkmcnt(0)
	s_and_b32 s2, s2, 0xffff
	s_mul_i32 s6, s6, s2
	v_add_u32_e32 v7, s6, v0
	v_lshlrev_b32_e32 v0, 2, v7
	v_mov_b32_e32 v1, v2
	v_cmp_gt_u64_e32 vcc, s[8:9], v[0:1]
	s_and_saveexec_b64 s[6:7], vcc
	s_cbranch_execz .LBB32_114
; %bb.1:
	s_load_dword s0, s[0:1], 0x0
	s_add_u32 s6, s4, 0x1a0
	s_load_dword s7, s[4:5], 0x198
	s_load_dwordx2 s[20:21], s[4:5], 0x270
	s_addc_u32 s28, s5, 0
	s_waitcnt lgkmcnt(0)
	s_mul_i32 s29, s0, s2
	s_load_dword s2, s[4:5], 0x360
	s_load_dword s34, s[4:5], 0x338
	s_load_dwordx2 s[16:17], s[4:5], 0x1a0
	s_load_dwordx2 s[18:19], s[4:5], 0xd0
	s_load_dwordx2 s[24:25], s[4:5], 0x0
	s_cmp_gt_i32 s7, 1
	s_cselect_b64 s[0:1], -1, 0
	s_waitcnt lgkmcnt(0)
	s_cmp_gt_i32 s34, 1
	s_mov_b32 s33, 0xcd9e8d57
	s_cselect_b64 s[22:23], -1, 0
	s_bitcmp1_b32 s2, 0
	v_mad_u64_u32 v[4:5], s[2:3], v7, s33, 0
	s_mov_b32 s63, 0
	s_cselect_b64 s[26:27], -1, 0
	s_add_i32 s2, s7, -1
	s_mov_b32 s3, s63
	s_lshl_b32 s62, s29, 2
	s_add_i32 s64, s7, 1
	s_lshl_b64 s[2:3], s[2:3], 3
	s_add_u32 s2, s2, s4
	s_addc_u32 s3, s3, s5
	s_add_u32 s30, s2, 8
	s_addc_u32 s31, s3, 0
	s_add_i32 s2, s34, -1
	s_mov_b32 s3, s63
	s_add_i32 s65, s34, 1
	s_lshl_b64 s[2:3], s[2:3], 3
	s_add_u32 s2, s2, s6
	s_addc_u32 s3, s3, s28
	s_add_u32 s34, s2, 8
	v_mov_b32_e32 v6, v5
	s_addc_u32 s35, s3, 0
	s_mov_b64 s[36:37], 0
	v_cndmask_b32_e64 v5, 0, 1, s[0:1]
	s_mov_b32 s66, 0xd2511f53
	s_mov_b32 s67, 0xf1bbcdc8
                                        ; implicit-def: $sgpr38_sgpr39
                                        ; implicit-def: $sgpr40_sgpr41
                                        ; implicit-def: $sgpr42_sgpr43
                                        ; implicit-def: $sgpr28_sgpr29
                                        ; implicit-def: $sgpr44_sgpr45
                                        ; implicit-def: $sgpr46_sgpr47
                                        ; implicit-def: $sgpr48_sgpr49
                                        ; implicit-def: $sgpr50_sgpr51
	s_branch .LBB32_3
.LBB32_2:                               ;   in Loop: Header=BB32_3 Depth=1
	s_or_b64 exec, exec, s[2:3]
	s_and_b64 s[0:1], exec, s[0:1]
	s_or_b64 s[36:37], s[0:1], s[36:37]
	s_andn2_b64 s[0:1], s[28:29], exec
	s_and_b64 s[2:3], s[50:51], exec
	s_or_b64 s[28:29], s[0:1], s[2:3]
	s_andn2_b64 s[0:1], s[42:43], exec
	s_and_b64 s[2:3], s[48:49], exec
	;; [unrolled: 3-line block ×4, first 2 shown]
	s_or_b64 s[38:39], s[0:1], s[2:3]
	s_andn2_b64 exec, exec, s[36:37]
	s_cbranch_execz .LBB32_110
.LBB32_3:                               ; =>This Loop Header: Depth=1
                                        ;     Child Loop BB32_5 Depth 2
                                        ;     Child Loop BB32_14 Depth 2
	;; [unrolled: 1-line block ×8, first 2 shown]
	v_sub_u32_e32 v38, s8, v0
	v_cmp_lt_i32_e64 s[4:5], 0, v38
	v_pk_mov_b32 v[8:9], 0, 0
	v_cmp_ne_u32_e64 s[0:1], 1, v5
	s_and_saveexec_b64 s[6:7], s[4:5]
	s_cbranch_execz .LBB32_12
; %bb.4:                                ;   in Loop: Header=BB32_3 Depth=1
	s_and_b64 vcc, exec, s[0:1]
	v_pk_mov_b32 v[8:9], 0, 0
	s_mov_b64 s[52:53], s[30:31]
	s_mov_b32 s58, s64
	v_pk_mov_b32 v[10:11], v[0:1], v[0:1] op_sel:[0,1]
	v_pk_mov_b32 v[12:13], v[0:1], v[0:1] op_sel:[0,1]
	s_cbranch_vccnz .LBB32_11
.LBB32_5:                               ;   Parent Loop BB32_3 Depth=1
                                        ; =>  This Inner Loop Header: Depth=2
	s_load_dwordx2 s[54:55], s[52:53], 0x0
                                        ; implicit-def: $vgpr12_vgpr13
	s_waitcnt lgkmcnt(0)
	v_or_b32_e32 v3, s55, v11
	v_cmp_ne_u64_e32 vcc, 0, v[2:3]
	s_and_saveexec_b64 s[2:3], vcc
	s_xor_b64 s[56:57], exec, s[2:3]
	s_cbranch_execz .LBB32_7
; %bb.6:                                ;   in Loop: Header=BB32_5 Depth=2
	v_cvt_f32_u32_e32 v3, s54
	v_cvt_f32_u32_e32 v12, s55
	s_sub_u32 s2, 0, s54
	s_subb_u32 s3, 0, s55
	v_mac_f32_e32 v3, 0x4f800000, v12
	v_rcp_f32_e32 v3, v3
	v_mul_f32_e32 v3, 0x5f7ffffc, v3
	v_mul_f32_e32 v12, 0x2f800000, v3
	v_trunc_f32_e32 v12, v12
	v_mac_f32_e32 v3, 0xcf800000, v12
	v_cvt_u32_f32_e32 v12, v12
	v_cvt_u32_f32_e32 v3, v3
	v_mul_lo_u32 v13, s2, v12
	v_mul_hi_u32 v15, s2, v3
	v_mul_lo_u32 v14, s3, v3
	v_add_u32_e32 v13, v15, v13
	v_mul_lo_u32 v16, s2, v3
	v_add_u32_e32 v13, v13, v14
	v_mul_hi_u32 v15, v3, v16
	v_mul_lo_u32 v17, v3, v13
	v_mul_hi_u32 v14, v3, v13
	v_add_co_u32_e32 v15, vcc, v15, v17
	v_addc_co_u32_e32 v14, vcc, 0, v14, vcc
	v_mul_hi_u32 v18, v12, v16
	v_mul_lo_u32 v16, v12, v16
	v_add_co_u32_e32 v15, vcc, v15, v16
	v_mul_hi_u32 v17, v12, v13
	v_addc_co_u32_e32 v14, vcc, v14, v18, vcc
	v_addc_co_u32_e32 v15, vcc, 0, v17, vcc
	v_mul_lo_u32 v13, v12, v13
	v_add_co_u32_e32 v13, vcc, v14, v13
	v_addc_co_u32_e32 v14, vcc, 0, v15, vcc
	v_add_co_u32_e32 v3, vcc, v3, v13
	v_addc_co_u32_e32 v12, vcc, v12, v14, vcc
	v_mul_lo_u32 v13, s2, v12
	v_mul_hi_u32 v14, s2, v3
	v_add_u32_e32 v13, v14, v13
	v_mul_lo_u32 v14, s3, v3
	v_add_u32_e32 v13, v13, v14
	v_mul_lo_u32 v15, s2, v3
	v_mul_hi_u32 v16, v12, v15
	v_mul_lo_u32 v17, v12, v15
	v_mul_lo_u32 v19, v3, v13
	v_mul_hi_u32 v15, v3, v15
	v_mul_hi_u32 v18, v3, v13
	v_add_co_u32_e32 v15, vcc, v15, v19
	v_addc_co_u32_e32 v18, vcc, 0, v18, vcc
	v_add_co_u32_e32 v15, vcc, v15, v17
	v_mul_hi_u32 v14, v12, v13
	v_addc_co_u32_e32 v15, vcc, v18, v16, vcc
	v_addc_co_u32_e32 v14, vcc, 0, v14, vcc
	v_mul_lo_u32 v13, v12, v13
	v_add_co_u32_e32 v13, vcc, v15, v13
	v_addc_co_u32_e32 v14, vcc, 0, v14, vcc
	v_add_co_u32_e32 v3, vcc, v3, v13
	v_addc_co_u32_e32 v14, vcc, v12, v14, vcc
	v_mad_u64_u32 v[12:13], s[2:3], v10, v14, 0
	v_mul_hi_u32 v15, v10, v3
	v_add_co_u32_e32 v16, vcc, v15, v12
	v_addc_co_u32_e32 v17, vcc, 0, v13, vcc
	v_mad_u64_u32 v[12:13], s[2:3], v11, v14, 0
	v_mad_u64_u32 v[14:15], s[2:3], v11, v3, 0
	v_add_co_u32_e32 v3, vcc, v16, v14
	v_addc_co_u32_e32 v3, vcc, v17, v15, vcc
	v_addc_co_u32_e32 v13, vcc, 0, v13, vcc
	v_add_co_u32_e32 v3, vcc, v3, v12
	v_addc_co_u32_e32 v14, vcc, 0, v13, vcc
	v_mul_lo_u32 v15, s55, v3
	v_mul_lo_u32 v16, s54, v14
	v_mad_u64_u32 v[12:13], s[2:3], s54, v3, 0
	v_add3_u32 v13, v13, v16, v15
	v_sub_u32_e32 v15, v11, v13
	v_mov_b32_e32 v16, s55
	v_sub_co_u32_e32 v12, vcc, v10, v12
	v_subb_co_u32_e64 v15, s[2:3], v15, v16, vcc
	v_subrev_co_u32_e64 v16, s[2:3], s54, v12
	v_subbrev_co_u32_e64 v15, s[2:3], 0, v15, s[2:3]
	v_cmp_le_u32_e64 s[2:3], s55, v15
	v_cndmask_b32_e64 v17, 0, -1, s[2:3]
	v_cmp_le_u32_e64 s[2:3], s54, v16
	v_cndmask_b32_e64 v16, 0, -1, s[2:3]
	v_cmp_eq_u32_e64 s[2:3], s55, v15
	v_cndmask_b32_e64 v15, v17, v16, s[2:3]
	v_add_co_u32_e64 v16, s[2:3], 2, v3
	v_addc_co_u32_e64 v17, s[2:3], 0, v14, s[2:3]
	v_add_co_u32_e64 v18, s[2:3], 1, v3
	v_addc_co_u32_e64 v19, s[2:3], 0, v14, s[2:3]
	v_subb_co_u32_e32 v13, vcc, v11, v13, vcc
	v_cmp_ne_u32_e64 s[2:3], 0, v15
	v_cmp_le_u32_e32 vcc, s55, v13
	v_cndmask_b32_e64 v15, v19, v17, s[2:3]
	v_cndmask_b32_e64 v17, 0, -1, vcc
	v_cmp_le_u32_e32 vcc, s54, v12
	v_cndmask_b32_e64 v12, 0, -1, vcc
	v_cmp_eq_u32_e32 vcc, s55, v13
	v_cndmask_b32_e32 v12, v17, v12, vcc
	v_cmp_ne_u32_e32 vcc, 0, v12
	v_cndmask_b32_e64 v12, v18, v16, s[2:3]
	v_cndmask_b32_e32 v13, v14, v15, vcc
	v_cndmask_b32_e32 v12, v3, v12, vcc
.LBB32_7:                               ;   in Loop: Header=BB32_5 Depth=2
	s_andn2_saveexec_b64 s[2:3], s[56:57]
	s_cbranch_execz .LBB32_9
; %bb.8:                                ;   in Loop: Header=BB32_5 Depth=2
	v_cvt_f32_u32_e32 v3, s54
	s_sub_i32 s56, 0, s54
	v_rcp_iflag_f32_e32 v3, v3
	v_mul_f32_e32 v3, 0x4f7ffffe, v3
	v_cvt_u32_f32_e32 v3, v3
	v_mul_lo_u32 v12, s56, v3
	v_mul_hi_u32 v12, v3, v12
	v_add_u32_e32 v3, v3, v12
	v_mul_hi_u32 v3, v10, v3
	v_mul_lo_u32 v12, v3, s54
	v_sub_u32_e32 v12, v10, v12
	v_add_u32_e32 v13, 1, v3
	v_subrev_u32_e32 v14, s54, v12
	v_cmp_le_u32_e32 vcc, s54, v12
	v_cndmask_b32_e32 v12, v12, v14, vcc
	v_cndmask_b32_e32 v3, v3, v13, vcc
	v_add_u32_e32 v13, 1, v3
	v_cmp_le_u32_e32 vcc, s54, v12
	v_cndmask_b32_e32 v12, v3, v13, vcc
	v_mov_b32_e32 v13, v2
.LBB32_9:                               ;   in Loop: Header=BB32_5 Depth=2
	s_or_b64 exec, exec, s[2:3]
	v_mad_u64_u32 v[14:15], s[2:3], v12, s54, 0
	s_load_dwordx2 s[2:3], s[52:53], 0xc8
	v_mul_lo_u32 v3, v13, s54
	v_mul_lo_u32 v16, v12, s55
	v_add3_u32 v3, v15, v16, v3
	v_sub_co_u32_e32 v10, vcc, v10, v14
	s_add_i32 s58, s58, -1
	v_subb_co_u32_e32 v3, vcc, v11, v3, vcc
	s_add_u32 s52, s52, -8
	s_waitcnt lgkmcnt(0)
	v_mul_lo_u32 v3, s2, v3
	v_mul_lo_u32 v11, s3, v10
	v_mad_u64_u32 v[8:9], s[2:3], s2, v10, v[8:9]
	s_addc_u32 s53, s53, -1
	s_cmp_gt_u32 s58, 2
	v_add3_u32 v9, v11, v9, v3
	s_cbranch_scc0 .LBB32_11
; %bb.10:                               ;   in Loop: Header=BB32_5 Depth=2
	v_pk_mov_b32 v[10:11], v[12:13], v[12:13] op_sel:[0,1]
	s_branch .LBB32_5
.LBB32_11:                              ;   in Loop: Header=BB32_3 Depth=1
	v_mad_u64_u32 v[8:9], s[2:3], s18, v12, v[8:9]
	v_mul_lo_u32 v3, s18, v13
	v_mul_lo_u32 v10, s19, v12
	v_add3_u32 v9, v10, v9, v3
.LBB32_12:                              ;   in Loop: Header=BB32_3 Depth=1
	s_or_b64 exec, exec, s[6:7]
	v_cndmask_b32_e64 v3, 0, 1, s[22:23]
	v_pk_mov_b32 v[10:11], 0, 0
	v_cmp_ne_u32_e64 s[2:3], 1, v3
	s_and_saveexec_b64 s[6:7], s[4:5]
	s_cbranch_execz .LBB32_21
; %bb.13:                               ;   in Loop: Header=BB32_3 Depth=1
	s_and_b64 vcc, exec, s[2:3]
	v_pk_mov_b32 v[10:11], 0, 0
	s_mov_b64 s[52:53], s[34:35]
	s_mov_b32 s58, s65
	v_pk_mov_b32 v[12:13], v[0:1], v[0:1] op_sel:[0,1]
	v_pk_mov_b32 v[14:15], v[0:1], v[0:1] op_sel:[0,1]
	s_cbranch_vccnz .LBB32_20
.LBB32_14:                              ;   Parent Loop BB32_3 Depth=1
                                        ; =>  This Inner Loop Header: Depth=2
	s_load_dwordx2 s[54:55], s[52:53], 0x0
                                        ; implicit-def: $vgpr14_vgpr15
	s_waitcnt lgkmcnt(0)
	v_or_b32_e32 v3, s55, v13
	v_cmp_ne_u64_e32 vcc, 0, v[2:3]
	s_and_saveexec_b64 s[4:5], vcc
	s_xor_b64 s[56:57], exec, s[4:5]
	s_cbranch_execz .LBB32_16
; %bb.15:                               ;   in Loop: Header=BB32_14 Depth=2
	v_cvt_f32_u32_e32 v3, s54
	v_cvt_f32_u32_e32 v14, s55
	s_sub_u32 s4, 0, s54
	s_subb_u32 s5, 0, s55
	v_mac_f32_e32 v3, 0x4f800000, v14
	v_rcp_f32_e32 v3, v3
	v_mul_f32_e32 v3, 0x5f7ffffc, v3
	v_mul_f32_e32 v14, 0x2f800000, v3
	v_trunc_f32_e32 v14, v14
	v_mac_f32_e32 v3, 0xcf800000, v14
	v_cvt_u32_f32_e32 v14, v14
	v_cvt_u32_f32_e32 v3, v3
	v_mul_lo_u32 v15, s4, v14
	v_mul_hi_u32 v17, s4, v3
	v_mul_lo_u32 v16, s5, v3
	v_add_u32_e32 v15, v17, v15
	v_mul_lo_u32 v18, s4, v3
	v_add_u32_e32 v15, v15, v16
	v_mul_hi_u32 v17, v3, v18
	v_mul_lo_u32 v19, v3, v15
	v_mul_hi_u32 v16, v3, v15
	v_add_co_u32_e32 v17, vcc, v17, v19
	v_addc_co_u32_e32 v16, vcc, 0, v16, vcc
	v_mul_hi_u32 v20, v14, v18
	v_mul_lo_u32 v18, v14, v18
	v_add_co_u32_e32 v17, vcc, v17, v18
	v_mul_hi_u32 v19, v14, v15
	v_addc_co_u32_e32 v16, vcc, v16, v20, vcc
	v_addc_co_u32_e32 v17, vcc, 0, v19, vcc
	v_mul_lo_u32 v15, v14, v15
	v_add_co_u32_e32 v15, vcc, v16, v15
	v_addc_co_u32_e32 v16, vcc, 0, v17, vcc
	v_add_co_u32_e32 v3, vcc, v3, v15
	v_addc_co_u32_e32 v14, vcc, v14, v16, vcc
	v_mul_lo_u32 v15, s4, v14
	v_mul_hi_u32 v16, s4, v3
	v_add_u32_e32 v15, v16, v15
	v_mul_lo_u32 v16, s5, v3
	v_add_u32_e32 v15, v15, v16
	v_mul_lo_u32 v17, s4, v3
	v_mul_hi_u32 v18, v14, v17
	v_mul_lo_u32 v19, v14, v17
	v_mul_lo_u32 v21, v3, v15
	v_mul_hi_u32 v17, v3, v17
	v_mul_hi_u32 v20, v3, v15
	v_add_co_u32_e32 v17, vcc, v17, v21
	v_addc_co_u32_e32 v20, vcc, 0, v20, vcc
	v_add_co_u32_e32 v17, vcc, v17, v19
	v_mul_hi_u32 v16, v14, v15
	v_addc_co_u32_e32 v17, vcc, v20, v18, vcc
	v_addc_co_u32_e32 v16, vcc, 0, v16, vcc
	v_mul_lo_u32 v15, v14, v15
	v_add_co_u32_e32 v15, vcc, v17, v15
	v_addc_co_u32_e32 v16, vcc, 0, v16, vcc
	v_add_co_u32_e32 v3, vcc, v3, v15
	v_addc_co_u32_e32 v16, vcc, v14, v16, vcc
	v_mad_u64_u32 v[14:15], s[4:5], v12, v16, 0
	v_mul_hi_u32 v17, v12, v3
	v_add_co_u32_e32 v18, vcc, v17, v14
	v_addc_co_u32_e32 v19, vcc, 0, v15, vcc
	v_mad_u64_u32 v[14:15], s[4:5], v13, v16, 0
	v_mad_u64_u32 v[16:17], s[4:5], v13, v3, 0
	v_add_co_u32_e32 v3, vcc, v18, v16
	v_addc_co_u32_e32 v3, vcc, v19, v17, vcc
	v_addc_co_u32_e32 v15, vcc, 0, v15, vcc
	v_add_co_u32_e32 v3, vcc, v3, v14
	v_addc_co_u32_e32 v16, vcc, 0, v15, vcc
	v_mul_lo_u32 v17, s55, v3
	v_mul_lo_u32 v18, s54, v16
	v_mad_u64_u32 v[14:15], s[4:5], s54, v3, 0
	v_add3_u32 v15, v15, v18, v17
	v_sub_u32_e32 v17, v13, v15
	v_mov_b32_e32 v18, s55
	v_sub_co_u32_e32 v14, vcc, v12, v14
	v_subb_co_u32_e64 v17, s[4:5], v17, v18, vcc
	v_subrev_co_u32_e64 v18, s[4:5], s54, v14
	v_subbrev_co_u32_e64 v17, s[4:5], 0, v17, s[4:5]
	v_cmp_le_u32_e64 s[4:5], s55, v17
	v_cndmask_b32_e64 v19, 0, -1, s[4:5]
	v_cmp_le_u32_e64 s[4:5], s54, v18
	v_cndmask_b32_e64 v18, 0, -1, s[4:5]
	v_cmp_eq_u32_e64 s[4:5], s55, v17
	v_cndmask_b32_e64 v17, v19, v18, s[4:5]
	v_add_co_u32_e64 v18, s[4:5], 2, v3
	v_addc_co_u32_e64 v19, s[4:5], 0, v16, s[4:5]
	v_add_co_u32_e64 v20, s[4:5], 1, v3
	v_addc_co_u32_e64 v21, s[4:5], 0, v16, s[4:5]
	v_subb_co_u32_e32 v15, vcc, v13, v15, vcc
	v_cmp_ne_u32_e64 s[4:5], 0, v17
	v_cmp_le_u32_e32 vcc, s55, v15
	v_cndmask_b32_e64 v17, v21, v19, s[4:5]
	v_cndmask_b32_e64 v19, 0, -1, vcc
	v_cmp_le_u32_e32 vcc, s54, v14
	v_cndmask_b32_e64 v14, 0, -1, vcc
	v_cmp_eq_u32_e32 vcc, s55, v15
	v_cndmask_b32_e32 v14, v19, v14, vcc
	v_cmp_ne_u32_e32 vcc, 0, v14
	v_cndmask_b32_e64 v14, v20, v18, s[4:5]
	v_cndmask_b32_e32 v15, v16, v17, vcc
	v_cndmask_b32_e32 v14, v3, v14, vcc
.LBB32_16:                              ;   in Loop: Header=BB32_14 Depth=2
	s_andn2_saveexec_b64 s[4:5], s[56:57]
	s_cbranch_execz .LBB32_18
; %bb.17:                               ;   in Loop: Header=BB32_14 Depth=2
	v_cvt_f32_u32_e32 v3, s54
	s_sub_i32 s56, 0, s54
	v_rcp_iflag_f32_e32 v3, v3
	v_mul_f32_e32 v3, 0x4f7ffffe, v3
	v_cvt_u32_f32_e32 v3, v3
	v_mul_lo_u32 v14, s56, v3
	v_mul_hi_u32 v14, v3, v14
	v_add_u32_e32 v3, v3, v14
	v_mul_hi_u32 v3, v12, v3
	v_mul_lo_u32 v14, v3, s54
	v_sub_u32_e32 v14, v12, v14
	v_add_u32_e32 v15, 1, v3
	v_subrev_u32_e32 v16, s54, v14
	v_cmp_le_u32_e32 vcc, s54, v14
	v_cndmask_b32_e32 v14, v14, v16, vcc
	v_cndmask_b32_e32 v3, v3, v15, vcc
	v_add_u32_e32 v15, 1, v3
	v_cmp_le_u32_e32 vcc, s54, v14
	v_cndmask_b32_e32 v14, v3, v15, vcc
	v_mov_b32_e32 v15, v2
.LBB32_18:                              ;   in Loop: Header=BB32_14 Depth=2
	s_or_b64 exec, exec, s[4:5]
	v_mad_u64_u32 v[16:17], s[4:5], v14, s54, 0
	s_load_dwordx2 s[4:5], s[52:53], 0xc8
	v_mul_lo_u32 v3, v15, s54
	v_mul_lo_u32 v18, v14, s55
	v_add3_u32 v3, v17, v18, v3
	v_sub_co_u32_e32 v12, vcc, v12, v16
	s_add_i32 s58, s58, -1
	v_subb_co_u32_e32 v3, vcc, v13, v3, vcc
	s_add_u32 s52, s52, -8
	s_waitcnt lgkmcnt(0)
	v_mul_lo_u32 v3, s4, v3
	v_mul_lo_u32 v13, s5, v12
	v_mad_u64_u32 v[10:11], s[4:5], s4, v12, v[10:11]
	s_addc_u32 s53, s53, -1
	s_cmp_gt_u32 s58, 2
	v_add3_u32 v11, v13, v11, v3
	s_cbranch_scc0 .LBB32_20
; %bb.19:                               ;   in Loop: Header=BB32_14 Depth=2
	v_pk_mov_b32 v[12:13], v[14:15], v[14:15] op_sel:[0,1]
	s_branch .LBB32_14
.LBB32_20:                              ;   in Loop: Header=BB32_3 Depth=1
	v_mad_u64_u32 v[10:11], s[4:5], s20, v14, v[10:11]
	v_mul_lo_u32 v3, s20, v15
	v_mul_lo_u32 v12, s21, v14
	v_add3_u32 v11, v12, v11, v3
.LBB32_21:                              ;   in Loop: Header=BB32_3 Depth=1
	s_or_b64 exec, exec, s[6:7]
	v_or_b32_e32 v16, 1, v0
	v_mov_b32_e32 v17, v1
	v_cmp_lt_i32_e64 s[4:5], 1, v38
	v_pk_mov_b32 v[12:13], 0, 0
	s_and_saveexec_b64 s[52:53], s[4:5]
	s_cbranch_execz .LBB32_30
; %bb.22:                               ;   in Loop: Header=BB32_3 Depth=1
	s_and_b64 vcc, exec, s[0:1]
	v_pk_mov_b32 v[12:13], 0, 0
	s_mov_b64 s[54:55], s[30:31]
	s_mov_b32 s60, s64
	v_pk_mov_b32 v[14:15], v[16:17], v[16:17] op_sel:[0,1]
	v_pk_mov_b32 v[18:19], v[16:17], v[16:17] op_sel:[0,1]
	s_cbranch_vccnz .LBB32_29
.LBB32_23:                              ;   Parent Loop BB32_3 Depth=1
                                        ; =>  This Inner Loop Header: Depth=2
	s_load_dwordx2 s[56:57], s[54:55], 0x0
                                        ; implicit-def: $vgpr18_vgpr19
	s_waitcnt lgkmcnt(0)
	v_or_b32_e32 v3, s57, v15
	v_cmp_ne_u64_e32 vcc, 0, v[2:3]
	s_and_saveexec_b64 s[6:7], vcc
	s_xor_b64 s[58:59], exec, s[6:7]
	s_cbranch_execz .LBB32_25
; %bb.24:                               ;   in Loop: Header=BB32_23 Depth=2
	v_cvt_f32_u32_e32 v3, s56
	v_cvt_f32_u32_e32 v18, s57
	s_sub_u32 s6, 0, s56
	s_subb_u32 s7, 0, s57
	v_mac_f32_e32 v3, 0x4f800000, v18
	v_rcp_f32_e32 v3, v3
	v_mul_f32_e32 v3, 0x5f7ffffc, v3
	v_mul_f32_e32 v18, 0x2f800000, v3
	v_trunc_f32_e32 v18, v18
	v_mac_f32_e32 v3, 0xcf800000, v18
	v_cvt_u32_f32_e32 v18, v18
	v_cvt_u32_f32_e32 v3, v3
	v_mul_lo_u32 v19, s6, v18
	v_mul_hi_u32 v21, s6, v3
	v_mul_lo_u32 v20, s7, v3
	v_add_u32_e32 v19, v21, v19
	v_mul_lo_u32 v22, s6, v3
	v_add_u32_e32 v19, v19, v20
	v_mul_hi_u32 v21, v3, v22
	v_mul_lo_u32 v23, v3, v19
	v_mul_hi_u32 v20, v3, v19
	v_add_co_u32_e32 v21, vcc, v21, v23
	v_addc_co_u32_e32 v20, vcc, 0, v20, vcc
	v_mul_hi_u32 v24, v18, v22
	v_mul_lo_u32 v22, v18, v22
	v_add_co_u32_e32 v21, vcc, v21, v22
	v_mul_hi_u32 v23, v18, v19
	v_addc_co_u32_e32 v20, vcc, v20, v24, vcc
	v_addc_co_u32_e32 v21, vcc, 0, v23, vcc
	v_mul_lo_u32 v19, v18, v19
	v_add_co_u32_e32 v19, vcc, v20, v19
	v_addc_co_u32_e32 v20, vcc, 0, v21, vcc
	v_add_co_u32_e32 v3, vcc, v3, v19
	v_addc_co_u32_e32 v18, vcc, v18, v20, vcc
	v_mul_lo_u32 v19, s6, v18
	v_mul_hi_u32 v20, s6, v3
	v_add_u32_e32 v19, v20, v19
	v_mul_lo_u32 v20, s7, v3
	v_add_u32_e32 v19, v19, v20
	v_mul_lo_u32 v21, s6, v3
	v_mul_hi_u32 v22, v18, v21
	v_mul_lo_u32 v23, v18, v21
	v_mul_lo_u32 v25, v3, v19
	v_mul_hi_u32 v21, v3, v21
	v_mul_hi_u32 v24, v3, v19
	v_add_co_u32_e32 v21, vcc, v21, v25
	v_addc_co_u32_e32 v24, vcc, 0, v24, vcc
	v_add_co_u32_e32 v21, vcc, v21, v23
	v_mul_hi_u32 v20, v18, v19
	v_addc_co_u32_e32 v21, vcc, v24, v22, vcc
	v_addc_co_u32_e32 v20, vcc, 0, v20, vcc
	v_mul_lo_u32 v19, v18, v19
	v_add_co_u32_e32 v19, vcc, v21, v19
	v_addc_co_u32_e32 v20, vcc, 0, v20, vcc
	v_add_co_u32_e32 v3, vcc, v3, v19
	v_addc_co_u32_e32 v20, vcc, v18, v20, vcc
	v_mad_u64_u32 v[18:19], s[6:7], v14, v20, 0
	v_mul_hi_u32 v21, v14, v3
	v_add_co_u32_e32 v22, vcc, v21, v18
	v_addc_co_u32_e32 v23, vcc, 0, v19, vcc
	v_mad_u64_u32 v[18:19], s[6:7], v15, v20, 0
	v_mad_u64_u32 v[20:21], s[6:7], v15, v3, 0
	v_add_co_u32_e32 v3, vcc, v22, v20
	v_addc_co_u32_e32 v3, vcc, v23, v21, vcc
	v_addc_co_u32_e32 v19, vcc, 0, v19, vcc
	v_add_co_u32_e32 v3, vcc, v3, v18
	v_addc_co_u32_e32 v20, vcc, 0, v19, vcc
	v_mul_lo_u32 v21, s57, v3
	v_mul_lo_u32 v22, s56, v20
	v_mad_u64_u32 v[18:19], s[6:7], s56, v3, 0
	v_add3_u32 v19, v19, v22, v21
	v_sub_u32_e32 v21, v15, v19
	v_mov_b32_e32 v22, s57
	v_sub_co_u32_e32 v18, vcc, v14, v18
	v_subb_co_u32_e64 v21, s[6:7], v21, v22, vcc
	v_subrev_co_u32_e64 v22, s[6:7], s56, v18
	v_subbrev_co_u32_e64 v21, s[6:7], 0, v21, s[6:7]
	v_cmp_le_u32_e64 s[6:7], s57, v21
	v_cndmask_b32_e64 v23, 0, -1, s[6:7]
	v_cmp_le_u32_e64 s[6:7], s56, v22
	v_cndmask_b32_e64 v22, 0, -1, s[6:7]
	v_cmp_eq_u32_e64 s[6:7], s57, v21
	v_cndmask_b32_e64 v21, v23, v22, s[6:7]
	v_add_co_u32_e64 v22, s[6:7], 2, v3
	v_addc_co_u32_e64 v23, s[6:7], 0, v20, s[6:7]
	v_add_co_u32_e64 v24, s[6:7], 1, v3
	v_addc_co_u32_e64 v25, s[6:7], 0, v20, s[6:7]
	v_subb_co_u32_e32 v19, vcc, v15, v19, vcc
	v_cmp_ne_u32_e64 s[6:7], 0, v21
	v_cmp_le_u32_e32 vcc, s57, v19
	v_cndmask_b32_e64 v21, v25, v23, s[6:7]
	v_cndmask_b32_e64 v23, 0, -1, vcc
	v_cmp_le_u32_e32 vcc, s56, v18
	v_cndmask_b32_e64 v18, 0, -1, vcc
	v_cmp_eq_u32_e32 vcc, s57, v19
	v_cndmask_b32_e32 v18, v23, v18, vcc
	v_cmp_ne_u32_e32 vcc, 0, v18
	v_cndmask_b32_e64 v18, v24, v22, s[6:7]
	v_cndmask_b32_e32 v19, v20, v21, vcc
	v_cndmask_b32_e32 v18, v3, v18, vcc
.LBB32_25:                              ;   in Loop: Header=BB32_23 Depth=2
	s_andn2_saveexec_b64 s[6:7], s[58:59]
	s_cbranch_execz .LBB32_27
; %bb.26:                               ;   in Loop: Header=BB32_23 Depth=2
	v_cvt_f32_u32_e32 v3, s56
	s_sub_i32 s58, 0, s56
	v_rcp_iflag_f32_e32 v3, v3
	v_mul_f32_e32 v3, 0x4f7ffffe, v3
	v_cvt_u32_f32_e32 v3, v3
	v_mul_lo_u32 v18, s58, v3
	v_mul_hi_u32 v18, v3, v18
	v_add_u32_e32 v3, v3, v18
	v_mul_hi_u32 v3, v14, v3
	v_mul_lo_u32 v18, v3, s56
	v_sub_u32_e32 v18, v14, v18
	v_add_u32_e32 v19, 1, v3
	v_subrev_u32_e32 v20, s56, v18
	v_cmp_le_u32_e32 vcc, s56, v18
	v_cndmask_b32_e32 v18, v18, v20, vcc
	v_cndmask_b32_e32 v3, v3, v19, vcc
	v_add_u32_e32 v19, 1, v3
	v_cmp_le_u32_e32 vcc, s56, v18
	v_cndmask_b32_e32 v18, v3, v19, vcc
	v_mov_b32_e32 v19, v2
.LBB32_27:                              ;   in Loop: Header=BB32_23 Depth=2
	s_or_b64 exec, exec, s[6:7]
	v_mad_u64_u32 v[20:21], s[6:7], v18, s56, 0
	s_load_dwordx2 s[6:7], s[54:55], 0xc8
	v_mul_lo_u32 v3, v19, s56
	v_mul_lo_u32 v22, v18, s57
	v_add3_u32 v3, v21, v22, v3
	v_sub_co_u32_e32 v14, vcc, v14, v20
	s_add_i32 s60, s60, -1
	v_subb_co_u32_e32 v3, vcc, v15, v3, vcc
	s_add_u32 s54, s54, -8
	s_waitcnt lgkmcnt(0)
	v_mul_lo_u32 v3, s6, v3
	v_mul_lo_u32 v15, s7, v14
	v_mad_u64_u32 v[12:13], s[6:7], s6, v14, v[12:13]
	s_addc_u32 s55, s55, -1
	s_cmp_gt_u32 s60, 2
	v_add3_u32 v13, v15, v13, v3
	s_cbranch_scc0 .LBB32_29
; %bb.28:                               ;   in Loop: Header=BB32_23 Depth=2
	v_pk_mov_b32 v[14:15], v[18:19], v[18:19] op_sel:[0,1]
	s_branch .LBB32_23
.LBB32_29:                              ;   in Loop: Header=BB32_3 Depth=1
	v_mad_u64_u32 v[12:13], s[6:7], s18, v18, v[12:13]
	v_mul_lo_u32 v3, s18, v19
	v_mul_lo_u32 v14, s19, v18
	v_add3_u32 v13, v14, v13, v3
.LBB32_30:                              ;   in Loop: Header=BB32_3 Depth=1
	s_or_b64 exec, exec, s[52:53]
	v_pk_mov_b32 v[14:15], 0, 0
	s_and_saveexec_b64 s[6:7], s[4:5]
	s_cbranch_execz .LBB32_33
; %bb.31:                               ;   in Loop: Header=BB32_3 Depth=1
	s_and_b64 vcc, exec, s[2:3]
	v_pk_mov_b32 v[14:15], 0, 0
	s_mov_b64 s[52:53], s[34:35]
	s_mov_b32 s58, s65
	s_cbranch_vccz .LBB32_42
.LBB32_32:                              ;   in Loop: Header=BB32_3 Depth=1
	v_mad_u64_u32 v[14:15], s[4:5], s20, v16, v[14:15]
	v_mul_lo_u32 v3, s20, v17
	v_mul_lo_u32 v16, s21, v16
	v_add3_u32 v15, v16, v15, v3
.LBB32_33:                              ;   in Loop: Header=BB32_3 Depth=1
	s_or_b64 exec, exec, s[6:7]
	v_or_b32_e32 v20, 2, v0
	v_mov_b32_e32 v21, v1
	v_cmp_lt_i32_e64 s[4:5], 2, v38
	v_pk_mov_b32 v[16:17], 0, 0
	s_and_saveexec_b64 s[52:53], s[4:5]
	s_cbranch_execz .LBB32_47
; %bb.34:                               ;   in Loop: Header=BB32_3 Depth=1
	s_and_b64 vcc, exec, s[0:1]
	v_pk_mov_b32 v[16:17], 0, 0
	s_mov_b64 s[54:55], s[30:31]
	s_mov_b32 s60, s64
	v_pk_mov_b32 v[18:19], v[20:21], v[20:21] op_sel:[0,1]
	v_pk_mov_b32 v[22:23], v[20:21], v[20:21] op_sel:[0,1]
	s_cbranch_vccnz .LBB32_46
.LBB32_35:                              ;   Parent Loop BB32_3 Depth=1
                                        ; =>  This Inner Loop Header: Depth=2
	s_load_dwordx2 s[56:57], s[54:55], 0x0
                                        ; implicit-def: $vgpr22_vgpr23
	s_waitcnt lgkmcnt(0)
	v_or_b32_e32 v3, s57, v19
	v_cmp_ne_u64_e32 vcc, 0, v[2:3]
	s_and_saveexec_b64 s[6:7], vcc
	s_xor_b64 s[58:59], exec, s[6:7]
	s_cbranch_execz .LBB32_37
; %bb.36:                               ;   in Loop: Header=BB32_35 Depth=2
	v_cvt_f32_u32_e32 v3, s56
	v_cvt_f32_u32_e32 v22, s57
	s_sub_u32 s6, 0, s56
	s_subb_u32 s7, 0, s57
	v_mac_f32_e32 v3, 0x4f800000, v22
	v_rcp_f32_e32 v3, v3
	v_mul_f32_e32 v3, 0x5f7ffffc, v3
	v_mul_f32_e32 v22, 0x2f800000, v3
	v_trunc_f32_e32 v22, v22
	v_mac_f32_e32 v3, 0xcf800000, v22
	v_cvt_u32_f32_e32 v22, v22
	v_cvt_u32_f32_e32 v3, v3
	v_mul_lo_u32 v23, s6, v22
	v_mul_hi_u32 v25, s6, v3
	v_mul_lo_u32 v24, s7, v3
	v_add_u32_e32 v23, v25, v23
	v_mul_lo_u32 v26, s6, v3
	v_add_u32_e32 v23, v23, v24
	v_mul_hi_u32 v25, v3, v26
	v_mul_lo_u32 v27, v3, v23
	v_mul_hi_u32 v24, v3, v23
	v_add_co_u32_e32 v25, vcc, v25, v27
	v_addc_co_u32_e32 v24, vcc, 0, v24, vcc
	v_mul_hi_u32 v28, v22, v26
	v_mul_lo_u32 v26, v22, v26
	v_add_co_u32_e32 v25, vcc, v25, v26
	v_mul_hi_u32 v27, v22, v23
	v_addc_co_u32_e32 v24, vcc, v24, v28, vcc
	v_addc_co_u32_e32 v25, vcc, 0, v27, vcc
	v_mul_lo_u32 v23, v22, v23
	v_add_co_u32_e32 v23, vcc, v24, v23
	v_addc_co_u32_e32 v24, vcc, 0, v25, vcc
	v_add_co_u32_e32 v3, vcc, v3, v23
	v_addc_co_u32_e32 v22, vcc, v22, v24, vcc
	v_mul_lo_u32 v23, s6, v22
	v_mul_hi_u32 v24, s6, v3
	v_add_u32_e32 v23, v24, v23
	v_mul_lo_u32 v24, s7, v3
	v_add_u32_e32 v23, v23, v24
	v_mul_lo_u32 v25, s6, v3
	v_mul_hi_u32 v26, v22, v25
	v_mul_lo_u32 v27, v22, v25
	v_mul_lo_u32 v29, v3, v23
	v_mul_hi_u32 v25, v3, v25
	v_mul_hi_u32 v28, v3, v23
	v_add_co_u32_e32 v25, vcc, v25, v29
	v_addc_co_u32_e32 v28, vcc, 0, v28, vcc
	v_add_co_u32_e32 v25, vcc, v25, v27
	v_mul_hi_u32 v24, v22, v23
	v_addc_co_u32_e32 v25, vcc, v28, v26, vcc
	v_addc_co_u32_e32 v24, vcc, 0, v24, vcc
	v_mul_lo_u32 v23, v22, v23
	v_add_co_u32_e32 v23, vcc, v25, v23
	v_addc_co_u32_e32 v24, vcc, 0, v24, vcc
	v_add_co_u32_e32 v3, vcc, v3, v23
	v_addc_co_u32_e32 v24, vcc, v22, v24, vcc
	v_mad_u64_u32 v[22:23], s[6:7], v18, v24, 0
	v_mul_hi_u32 v25, v18, v3
	v_add_co_u32_e32 v26, vcc, v25, v22
	v_addc_co_u32_e32 v27, vcc, 0, v23, vcc
	v_mad_u64_u32 v[22:23], s[6:7], v19, v24, 0
	v_mad_u64_u32 v[24:25], s[6:7], v19, v3, 0
	v_add_co_u32_e32 v3, vcc, v26, v24
	v_addc_co_u32_e32 v3, vcc, v27, v25, vcc
	v_addc_co_u32_e32 v23, vcc, 0, v23, vcc
	v_add_co_u32_e32 v3, vcc, v3, v22
	v_addc_co_u32_e32 v24, vcc, 0, v23, vcc
	v_mul_lo_u32 v25, s57, v3
	v_mul_lo_u32 v26, s56, v24
	v_mad_u64_u32 v[22:23], s[6:7], s56, v3, 0
	v_add3_u32 v23, v23, v26, v25
	v_sub_u32_e32 v25, v19, v23
	v_mov_b32_e32 v26, s57
	v_sub_co_u32_e32 v22, vcc, v18, v22
	v_subb_co_u32_e64 v25, s[6:7], v25, v26, vcc
	v_subrev_co_u32_e64 v26, s[6:7], s56, v22
	v_subbrev_co_u32_e64 v25, s[6:7], 0, v25, s[6:7]
	v_cmp_le_u32_e64 s[6:7], s57, v25
	v_cndmask_b32_e64 v27, 0, -1, s[6:7]
	v_cmp_le_u32_e64 s[6:7], s56, v26
	v_cndmask_b32_e64 v26, 0, -1, s[6:7]
	v_cmp_eq_u32_e64 s[6:7], s57, v25
	v_cndmask_b32_e64 v25, v27, v26, s[6:7]
	v_add_co_u32_e64 v26, s[6:7], 2, v3
	v_addc_co_u32_e64 v27, s[6:7], 0, v24, s[6:7]
	v_add_co_u32_e64 v28, s[6:7], 1, v3
	v_addc_co_u32_e64 v29, s[6:7], 0, v24, s[6:7]
	v_subb_co_u32_e32 v23, vcc, v19, v23, vcc
	v_cmp_ne_u32_e64 s[6:7], 0, v25
	v_cmp_le_u32_e32 vcc, s57, v23
	v_cndmask_b32_e64 v25, v29, v27, s[6:7]
	v_cndmask_b32_e64 v27, 0, -1, vcc
	v_cmp_le_u32_e32 vcc, s56, v22
	v_cndmask_b32_e64 v22, 0, -1, vcc
	v_cmp_eq_u32_e32 vcc, s57, v23
	v_cndmask_b32_e32 v22, v27, v22, vcc
	v_cmp_ne_u32_e32 vcc, 0, v22
	v_cndmask_b32_e64 v22, v28, v26, s[6:7]
	v_cndmask_b32_e32 v23, v24, v25, vcc
	v_cndmask_b32_e32 v22, v3, v22, vcc
.LBB32_37:                              ;   in Loop: Header=BB32_35 Depth=2
	s_andn2_saveexec_b64 s[6:7], s[58:59]
	s_cbranch_execz .LBB32_39
; %bb.38:                               ;   in Loop: Header=BB32_35 Depth=2
	v_cvt_f32_u32_e32 v3, s56
	s_sub_i32 s58, 0, s56
	v_rcp_iflag_f32_e32 v3, v3
	v_mul_f32_e32 v3, 0x4f7ffffe, v3
	v_cvt_u32_f32_e32 v3, v3
	v_mul_lo_u32 v22, s58, v3
	v_mul_hi_u32 v22, v3, v22
	v_add_u32_e32 v3, v3, v22
	v_mul_hi_u32 v3, v18, v3
	v_mul_lo_u32 v22, v3, s56
	v_sub_u32_e32 v22, v18, v22
	v_add_u32_e32 v23, 1, v3
	v_subrev_u32_e32 v24, s56, v22
	v_cmp_le_u32_e32 vcc, s56, v22
	v_cndmask_b32_e32 v22, v22, v24, vcc
	v_cndmask_b32_e32 v3, v3, v23, vcc
	v_add_u32_e32 v23, 1, v3
	v_cmp_le_u32_e32 vcc, s56, v22
	v_cndmask_b32_e32 v22, v3, v23, vcc
	v_mov_b32_e32 v23, v2
.LBB32_39:                              ;   in Loop: Header=BB32_35 Depth=2
	s_or_b64 exec, exec, s[6:7]
	v_mad_u64_u32 v[24:25], s[6:7], v22, s56, 0
	s_load_dwordx2 s[6:7], s[54:55], 0xc8
	v_mul_lo_u32 v3, v23, s56
	v_mul_lo_u32 v26, v22, s57
	v_add3_u32 v3, v25, v26, v3
	v_sub_co_u32_e32 v18, vcc, v18, v24
	s_add_i32 s60, s60, -1
	v_subb_co_u32_e32 v3, vcc, v19, v3, vcc
	s_add_u32 s54, s54, -8
	s_waitcnt lgkmcnt(0)
	v_mul_lo_u32 v3, s6, v3
	v_mul_lo_u32 v19, s7, v18
	v_mad_u64_u32 v[16:17], s[6:7], s6, v18, v[16:17]
	s_addc_u32 s55, s55, -1
	s_cmp_gt_u32 s60, 2
	v_add3_u32 v17, v19, v17, v3
	s_cbranch_scc0 .LBB32_46
; %bb.40:                               ;   in Loop: Header=BB32_35 Depth=2
	v_pk_mov_b32 v[18:19], v[22:23], v[22:23] op_sel:[0,1]
	s_branch .LBB32_35
.LBB32_41:                              ;   in Loop: Header=BB32_42 Depth=2
	s_or_b64 exec, exec, s[4:5]
	v_mad_u64_u32 v[20:21], s[4:5], v18, s54, 0
	s_load_dwordx2 s[4:5], s[52:53], 0xc8
	v_mul_lo_u32 v3, v19, s54
	v_mul_lo_u32 v22, v18, s55
	v_add3_u32 v3, v21, v22, v3
	v_sub_co_u32_e32 v16, vcc, v16, v20
	s_add_i32 s58, s58, -1
	v_subb_co_u32_e32 v3, vcc, v17, v3, vcc
	s_add_u32 s52, s52, -8
	s_waitcnt lgkmcnt(0)
	v_mul_lo_u32 v3, s4, v3
	v_mul_lo_u32 v17, s5, v16
	v_mad_u64_u32 v[14:15], s[4:5], s4, v16, v[14:15]
	s_addc_u32 s53, s53, -1
	s_cmp_gt_u32 s58, 2
	v_add3_u32 v15, v17, v15, v3
	v_pk_mov_b32 v[16:17], v[18:19], v[18:19] op_sel:[0,1]
	s_cbranch_scc0 .LBB32_32
.LBB32_42:                              ;   Parent Loop BB32_3 Depth=1
                                        ; =>  This Inner Loop Header: Depth=2
	s_load_dwordx2 s[54:55], s[52:53], 0x0
                                        ; implicit-def: $vgpr18_vgpr19
	s_waitcnt lgkmcnt(0)
	v_or_b32_e32 v3, s55, v17
	v_cmp_ne_u64_e32 vcc, 0, v[2:3]
	s_and_saveexec_b64 s[4:5], vcc
	s_xor_b64 s[56:57], exec, s[4:5]
	s_cbranch_execz .LBB32_44
; %bb.43:                               ;   in Loop: Header=BB32_42 Depth=2
	v_cvt_f32_u32_e32 v3, s54
	v_cvt_f32_u32_e32 v18, s55
	s_sub_u32 s4, 0, s54
	s_subb_u32 s5, 0, s55
	v_mac_f32_e32 v3, 0x4f800000, v18
	v_rcp_f32_e32 v3, v3
	v_mul_f32_e32 v3, 0x5f7ffffc, v3
	v_mul_f32_e32 v18, 0x2f800000, v3
	v_trunc_f32_e32 v18, v18
	v_mac_f32_e32 v3, 0xcf800000, v18
	v_cvt_u32_f32_e32 v18, v18
	v_cvt_u32_f32_e32 v3, v3
	v_mul_lo_u32 v19, s4, v18
	v_mul_hi_u32 v21, s4, v3
	v_mul_lo_u32 v20, s5, v3
	v_add_u32_e32 v19, v21, v19
	v_mul_lo_u32 v22, s4, v3
	v_add_u32_e32 v19, v19, v20
	v_mul_hi_u32 v21, v3, v22
	v_mul_lo_u32 v23, v3, v19
	v_mul_hi_u32 v20, v3, v19
	v_add_co_u32_e32 v21, vcc, v21, v23
	v_addc_co_u32_e32 v20, vcc, 0, v20, vcc
	v_mul_hi_u32 v24, v18, v22
	v_mul_lo_u32 v22, v18, v22
	v_add_co_u32_e32 v21, vcc, v21, v22
	v_mul_hi_u32 v23, v18, v19
	v_addc_co_u32_e32 v20, vcc, v20, v24, vcc
	v_addc_co_u32_e32 v21, vcc, 0, v23, vcc
	v_mul_lo_u32 v19, v18, v19
	v_add_co_u32_e32 v19, vcc, v20, v19
	v_addc_co_u32_e32 v20, vcc, 0, v21, vcc
	v_add_co_u32_e32 v3, vcc, v3, v19
	v_addc_co_u32_e32 v18, vcc, v18, v20, vcc
	v_mul_lo_u32 v19, s4, v18
	v_mul_hi_u32 v20, s4, v3
	v_add_u32_e32 v19, v20, v19
	v_mul_lo_u32 v20, s5, v3
	v_add_u32_e32 v19, v19, v20
	v_mul_lo_u32 v21, s4, v3
	v_mul_hi_u32 v22, v18, v21
	v_mul_lo_u32 v23, v18, v21
	v_mul_lo_u32 v25, v3, v19
	v_mul_hi_u32 v21, v3, v21
	v_mul_hi_u32 v24, v3, v19
	v_add_co_u32_e32 v21, vcc, v21, v25
	v_addc_co_u32_e32 v24, vcc, 0, v24, vcc
	v_add_co_u32_e32 v21, vcc, v21, v23
	v_mul_hi_u32 v20, v18, v19
	v_addc_co_u32_e32 v21, vcc, v24, v22, vcc
	v_addc_co_u32_e32 v20, vcc, 0, v20, vcc
	v_mul_lo_u32 v19, v18, v19
	v_add_co_u32_e32 v19, vcc, v21, v19
	v_addc_co_u32_e32 v20, vcc, 0, v20, vcc
	v_add_co_u32_e32 v3, vcc, v3, v19
	v_addc_co_u32_e32 v20, vcc, v18, v20, vcc
	v_mad_u64_u32 v[18:19], s[4:5], v16, v20, 0
	v_mul_hi_u32 v21, v16, v3
	v_add_co_u32_e32 v22, vcc, v21, v18
	v_addc_co_u32_e32 v23, vcc, 0, v19, vcc
	v_mad_u64_u32 v[18:19], s[4:5], v17, v20, 0
	v_mad_u64_u32 v[20:21], s[4:5], v17, v3, 0
	v_add_co_u32_e32 v3, vcc, v22, v20
	v_addc_co_u32_e32 v3, vcc, v23, v21, vcc
	v_addc_co_u32_e32 v19, vcc, 0, v19, vcc
	v_add_co_u32_e32 v3, vcc, v3, v18
	v_addc_co_u32_e32 v20, vcc, 0, v19, vcc
	v_mul_lo_u32 v21, s55, v3
	v_mul_lo_u32 v22, s54, v20
	v_mad_u64_u32 v[18:19], s[4:5], s54, v3, 0
	v_add3_u32 v19, v19, v22, v21
	v_sub_u32_e32 v21, v17, v19
	v_mov_b32_e32 v22, s55
	v_sub_co_u32_e32 v18, vcc, v16, v18
	v_subb_co_u32_e64 v21, s[4:5], v21, v22, vcc
	v_subrev_co_u32_e64 v22, s[4:5], s54, v18
	v_subbrev_co_u32_e64 v21, s[4:5], 0, v21, s[4:5]
	v_cmp_le_u32_e64 s[4:5], s55, v21
	v_cndmask_b32_e64 v23, 0, -1, s[4:5]
	v_cmp_le_u32_e64 s[4:5], s54, v22
	v_cndmask_b32_e64 v22, 0, -1, s[4:5]
	v_cmp_eq_u32_e64 s[4:5], s55, v21
	v_cndmask_b32_e64 v21, v23, v22, s[4:5]
	v_add_co_u32_e64 v22, s[4:5], 2, v3
	v_addc_co_u32_e64 v23, s[4:5], 0, v20, s[4:5]
	v_add_co_u32_e64 v24, s[4:5], 1, v3
	v_addc_co_u32_e64 v25, s[4:5], 0, v20, s[4:5]
	v_subb_co_u32_e32 v19, vcc, v17, v19, vcc
	v_cmp_ne_u32_e64 s[4:5], 0, v21
	v_cmp_le_u32_e32 vcc, s55, v19
	v_cndmask_b32_e64 v21, v25, v23, s[4:5]
	v_cndmask_b32_e64 v23, 0, -1, vcc
	v_cmp_le_u32_e32 vcc, s54, v18
	v_cndmask_b32_e64 v18, 0, -1, vcc
	v_cmp_eq_u32_e32 vcc, s55, v19
	v_cndmask_b32_e32 v18, v23, v18, vcc
	v_cmp_ne_u32_e32 vcc, 0, v18
	v_cndmask_b32_e64 v18, v24, v22, s[4:5]
	v_cndmask_b32_e32 v19, v20, v21, vcc
	v_cndmask_b32_e32 v18, v3, v18, vcc
.LBB32_44:                              ;   in Loop: Header=BB32_42 Depth=2
	s_andn2_saveexec_b64 s[4:5], s[56:57]
	s_cbranch_execz .LBB32_41
; %bb.45:                               ;   in Loop: Header=BB32_42 Depth=2
	v_cvt_f32_u32_e32 v3, s54
	s_sub_i32 s56, 0, s54
	v_rcp_iflag_f32_e32 v3, v3
	v_mul_f32_e32 v3, 0x4f7ffffe, v3
	v_cvt_u32_f32_e32 v3, v3
	v_mul_lo_u32 v18, s56, v3
	v_mul_hi_u32 v18, v3, v18
	v_add_u32_e32 v3, v3, v18
	v_mul_hi_u32 v3, v16, v3
	v_mul_lo_u32 v18, v3, s54
	v_sub_u32_e32 v18, v16, v18
	v_add_u32_e32 v19, 1, v3
	v_subrev_u32_e32 v20, s54, v18
	v_cmp_le_u32_e32 vcc, s54, v18
	v_cndmask_b32_e32 v18, v18, v20, vcc
	v_cndmask_b32_e32 v3, v3, v19, vcc
	v_add_u32_e32 v19, 1, v3
	v_cmp_le_u32_e32 vcc, s54, v18
	v_cndmask_b32_e32 v18, v3, v19, vcc
	v_mov_b32_e32 v19, v2
	s_branch .LBB32_41
.LBB32_46:                              ;   in Loop: Header=BB32_3 Depth=1
	v_mad_u64_u32 v[16:17], s[6:7], s18, v22, v[16:17]
	v_mul_lo_u32 v3, s18, v23
	v_mul_lo_u32 v18, s19, v22
	v_add3_u32 v17, v18, v17, v3
.LBB32_47:                              ;   in Loop: Header=BB32_3 Depth=1
	s_or_b64 exec, exec, s[52:53]
	v_pk_mov_b32 v[18:19], 0, 0
	s_and_saveexec_b64 s[6:7], s[4:5]
	s_cbranch_execz .LBB32_50
; %bb.48:                               ;   in Loop: Header=BB32_3 Depth=1
	s_and_b64 vcc, exec, s[2:3]
	v_pk_mov_b32 v[18:19], 0, 0
	s_mov_b64 s[52:53], s[34:35]
	s_mov_b32 s58, s65
	s_cbranch_vccz .LBB32_59
.LBB32_49:                              ;   in Loop: Header=BB32_3 Depth=1
	v_mad_u64_u32 v[18:19], s[4:5], s20, v20, v[18:19]
	v_mul_lo_u32 v3, s20, v21
	v_mul_lo_u32 v20, s21, v20
	v_add3_u32 v19, v20, v19, v3
.LBB32_50:                              ;   in Loop: Header=BB32_3 Depth=1
	s_or_b64 exec, exec, s[6:7]
	v_or_b32_e32 v22, 3, v0
	v_mov_b32_e32 v23, v1
	v_cmp_lt_i32_e64 s[4:5], 3, v38
	v_pk_mov_b32 v[20:21], 0, 0
	s_and_saveexec_b64 s[6:7], s[4:5]
	s_cbranch_execz .LBB32_64
; %bb.51:                               ;   in Loop: Header=BB32_3 Depth=1
	s_and_b64 vcc, exec, s[0:1]
	v_pk_mov_b32 v[20:21], 0, 0
	s_mov_b64 s[52:53], s[30:31]
	s_mov_b32 s58, s64
	v_pk_mov_b32 v[24:25], v[22:23], v[22:23] op_sel:[0,1]
	v_pk_mov_b32 v[26:27], v[22:23], v[22:23] op_sel:[0,1]
	s_cbranch_vccnz .LBB32_63
.LBB32_52:                              ;   Parent Loop BB32_3 Depth=1
                                        ; =>  This Inner Loop Header: Depth=2
	s_load_dwordx2 s[54:55], s[52:53], 0x0
                                        ; implicit-def: $vgpr26_vgpr27
	s_waitcnt lgkmcnt(0)
	v_or_b32_e32 v3, s55, v25
	v_cmp_ne_u64_e32 vcc, 0, v[2:3]
	s_and_saveexec_b64 s[0:1], vcc
	s_xor_b64 s[56:57], exec, s[0:1]
	s_cbranch_execz .LBB32_54
; %bb.53:                               ;   in Loop: Header=BB32_52 Depth=2
	v_cvt_f32_u32_e32 v3, s54
	v_cvt_f32_u32_e32 v26, s55
	s_sub_u32 s0, 0, s54
	s_subb_u32 s1, 0, s55
	v_mac_f32_e32 v3, 0x4f800000, v26
	v_rcp_f32_e32 v3, v3
	v_mul_f32_e32 v3, 0x5f7ffffc, v3
	v_mul_f32_e32 v26, 0x2f800000, v3
	v_trunc_f32_e32 v26, v26
	v_mac_f32_e32 v3, 0xcf800000, v26
	v_cvt_u32_f32_e32 v26, v26
	v_cvt_u32_f32_e32 v3, v3
	v_mul_lo_u32 v27, s0, v26
	v_mul_hi_u32 v29, s0, v3
	v_mul_lo_u32 v28, s1, v3
	v_add_u32_e32 v27, v29, v27
	v_mul_lo_u32 v30, s0, v3
	v_add_u32_e32 v27, v27, v28
	v_mul_hi_u32 v29, v3, v30
	v_mul_lo_u32 v31, v3, v27
	v_mul_hi_u32 v28, v3, v27
	v_add_co_u32_e32 v29, vcc, v29, v31
	v_addc_co_u32_e32 v28, vcc, 0, v28, vcc
	v_mul_hi_u32 v32, v26, v30
	v_mul_lo_u32 v30, v26, v30
	v_add_co_u32_e32 v29, vcc, v29, v30
	v_mul_hi_u32 v31, v26, v27
	v_addc_co_u32_e32 v28, vcc, v28, v32, vcc
	v_addc_co_u32_e32 v29, vcc, 0, v31, vcc
	v_mul_lo_u32 v27, v26, v27
	v_add_co_u32_e32 v27, vcc, v28, v27
	v_addc_co_u32_e32 v28, vcc, 0, v29, vcc
	v_add_co_u32_e32 v3, vcc, v3, v27
	v_addc_co_u32_e32 v26, vcc, v26, v28, vcc
	v_mul_lo_u32 v27, s0, v26
	v_mul_hi_u32 v28, s0, v3
	v_add_u32_e32 v27, v28, v27
	v_mul_lo_u32 v28, s1, v3
	v_add_u32_e32 v27, v27, v28
	v_mul_lo_u32 v29, s0, v3
	v_mul_hi_u32 v30, v26, v29
	v_mul_lo_u32 v31, v26, v29
	v_mul_lo_u32 v33, v3, v27
	v_mul_hi_u32 v29, v3, v29
	v_mul_hi_u32 v32, v3, v27
	v_add_co_u32_e32 v29, vcc, v29, v33
	v_addc_co_u32_e32 v32, vcc, 0, v32, vcc
	v_add_co_u32_e32 v29, vcc, v29, v31
	v_mul_hi_u32 v28, v26, v27
	v_addc_co_u32_e32 v29, vcc, v32, v30, vcc
	v_addc_co_u32_e32 v28, vcc, 0, v28, vcc
	v_mul_lo_u32 v27, v26, v27
	v_add_co_u32_e32 v27, vcc, v29, v27
	v_addc_co_u32_e32 v28, vcc, 0, v28, vcc
	v_add_co_u32_e32 v3, vcc, v3, v27
	v_addc_co_u32_e32 v28, vcc, v26, v28, vcc
	v_mad_u64_u32 v[26:27], s[0:1], v24, v28, 0
	v_mul_hi_u32 v29, v24, v3
	v_add_co_u32_e32 v30, vcc, v29, v26
	v_addc_co_u32_e32 v31, vcc, 0, v27, vcc
	v_mad_u64_u32 v[26:27], s[0:1], v25, v28, 0
	v_mad_u64_u32 v[28:29], s[0:1], v25, v3, 0
	v_add_co_u32_e32 v3, vcc, v30, v28
	v_addc_co_u32_e32 v3, vcc, v31, v29, vcc
	v_addc_co_u32_e32 v27, vcc, 0, v27, vcc
	v_add_co_u32_e32 v3, vcc, v3, v26
	v_addc_co_u32_e32 v28, vcc, 0, v27, vcc
	v_mul_lo_u32 v29, s55, v3
	v_mul_lo_u32 v30, s54, v28
	v_mad_u64_u32 v[26:27], s[0:1], s54, v3, 0
	v_add3_u32 v27, v27, v30, v29
	v_sub_u32_e32 v29, v25, v27
	v_mov_b32_e32 v30, s55
	v_sub_co_u32_e32 v26, vcc, v24, v26
	v_subb_co_u32_e64 v29, s[0:1], v29, v30, vcc
	v_subrev_co_u32_e64 v30, s[0:1], s54, v26
	v_subbrev_co_u32_e64 v29, s[0:1], 0, v29, s[0:1]
	v_cmp_le_u32_e64 s[0:1], s55, v29
	v_cndmask_b32_e64 v31, 0, -1, s[0:1]
	v_cmp_le_u32_e64 s[0:1], s54, v30
	v_cndmask_b32_e64 v30, 0, -1, s[0:1]
	v_cmp_eq_u32_e64 s[0:1], s55, v29
	v_cndmask_b32_e64 v29, v31, v30, s[0:1]
	v_add_co_u32_e64 v30, s[0:1], 2, v3
	v_addc_co_u32_e64 v31, s[0:1], 0, v28, s[0:1]
	v_add_co_u32_e64 v32, s[0:1], 1, v3
	v_addc_co_u32_e64 v33, s[0:1], 0, v28, s[0:1]
	v_subb_co_u32_e32 v27, vcc, v25, v27, vcc
	v_cmp_ne_u32_e64 s[0:1], 0, v29
	v_cmp_le_u32_e32 vcc, s55, v27
	v_cndmask_b32_e64 v29, v33, v31, s[0:1]
	v_cndmask_b32_e64 v31, 0, -1, vcc
	v_cmp_le_u32_e32 vcc, s54, v26
	v_cndmask_b32_e64 v26, 0, -1, vcc
	v_cmp_eq_u32_e32 vcc, s55, v27
	v_cndmask_b32_e32 v26, v31, v26, vcc
	v_cmp_ne_u32_e32 vcc, 0, v26
	v_cndmask_b32_e64 v26, v32, v30, s[0:1]
	v_cndmask_b32_e32 v27, v28, v29, vcc
	v_cndmask_b32_e32 v26, v3, v26, vcc
.LBB32_54:                              ;   in Loop: Header=BB32_52 Depth=2
	s_andn2_saveexec_b64 s[0:1], s[56:57]
	s_cbranch_execz .LBB32_56
; %bb.55:                               ;   in Loop: Header=BB32_52 Depth=2
	v_cvt_f32_u32_e32 v3, s54
	s_sub_i32 s56, 0, s54
	v_rcp_iflag_f32_e32 v3, v3
	v_mul_f32_e32 v3, 0x4f7ffffe, v3
	v_cvt_u32_f32_e32 v3, v3
	v_mul_lo_u32 v26, s56, v3
	v_mul_hi_u32 v26, v3, v26
	v_add_u32_e32 v3, v3, v26
	v_mul_hi_u32 v3, v24, v3
	v_mul_lo_u32 v26, v3, s54
	v_sub_u32_e32 v26, v24, v26
	v_add_u32_e32 v27, 1, v3
	v_subrev_u32_e32 v28, s54, v26
	v_cmp_le_u32_e32 vcc, s54, v26
	v_cndmask_b32_e32 v26, v26, v28, vcc
	v_cndmask_b32_e32 v3, v3, v27, vcc
	v_add_u32_e32 v27, 1, v3
	v_cmp_le_u32_e32 vcc, s54, v26
	v_cndmask_b32_e32 v26, v3, v27, vcc
	v_mov_b32_e32 v27, v2
.LBB32_56:                              ;   in Loop: Header=BB32_52 Depth=2
	s_or_b64 exec, exec, s[0:1]
	v_mad_u64_u32 v[28:29], s[0:1], v26, s54, 0
	s_load_dwordx2 s[0:1], s[52:53], 0xc8
	v_mul_lo_u32 v3, v27, s54
	v_mul_lo_u32 v30, v26, s55
	v_add3_u32 v3, v29, v30, v3
	v_sub_co_u32_e32 v24, vcc, v24, v28
	s_add_i32 s58, s58, -1
	v_subb_co_u32_e32 v3, vcc, v25, v3, vcc
	s_add_u32 s52, s52, -8
	s_waitcnt lgkmcnt(0)
	v_mul_lo_u32 v3, s0, v3
	v_mul_lo_u32 v25, s1, v24
	v_mad_u64_u32 v[20:21], s[0:1], s0, v24, v[20:21]
	s_addc_u32 s53, s53, -1
	s_cmp_gt_u32 s58, 2
	v_add3_u32 v21, v25, v21, v3
	s_cbranch_scc0 .LBB32_63
; %bb.57:                               ;   in Loop: Header=BB32_52 Depth=2
	v_pk_mov_b32 v[24:25], v[26:27], v[26:27] op_sel:[0,1]
	s_branch .LBB32_52
.LBB32_58:                              ;   in Loop: Header=BB32_59 Depth=2
	s_or_b64 exec, exec, s[4:5]
	v_mad_u64_u32 v[24:25], s[4:5], v22, s54, 0
	s_load_dwordx2 s[4:5], s[52:53], 0xc8
	v_mul_lo_u32 v3, v23, s54
	v_mul_lo_u32 v26, v22, s55
	v_add3_u32 v3, v25, v26, v3
	v_sub_co_u32_e32 v20, vcc, v20, v24
	s_add_i32 s58, s58, -1
	v_subb_co_u32_e32 v3, vcc, v21, v3, vcc
	s_add_u32 s52, s52, -8
	s_waitcnt lgkmcnt(0)
	v_mul_lo_u32 v3, s4, v3
	v_mul_lo_u32 v21, s5, v20
	v_mad_u64_u32 v[18:19], s[4:5], s4, v20, v[18:19]
	s_addc_u32 s53, s53, -1
	s_cmp_gt_u32 s58, 2
	v_add3_u32 v19, v21, v19, v3
	v_pk_mov_b32 v[20:21], v[22:23], v[22:23] op_sel:[0,1]
	s_cbranch_scc0 .LBB32_49
.LBB32_59:                              ;   Parent Loop BB32_3 Depth=1
                                        ; =>  This Inner Loop Header: Depth=2
	s_load_dwordx2 s[54:55], s[52:53], 0x0
                                        ; implicit-def: $vgpr22_vgpr23
	s_waitcnt lgkmcnt(0)
	v_or_b32_e32 v3, s55, v21
	v_cmp_ne_u64_e32 vcc, 0, v[2:3]
	s_and_saveexec_b64 s[4:5], vcc
	s_xor_b64 s[56:57], exec, s[4:5]
	s_cbranch_execz .LBB32_61
; %bb.60:                               ;   in Loop: Header=BB32_59 Depth=2
	v_cvt_f32_u32_e32 v3, s54
	v_cvt_f32_u32_e32 v22, s55
	s_sub_u32 s4, 0, s54
	s_subb_u32 s5, 0, s55
	v_mac_f32_e32 v3, 0x4f800000, v22
	v_rcp_f32_e32 v3, v3
	v_mul_f32_e32 v3, 0x5f7ffffc, v3
	v_mul_f32_e32 v22, 0x2f800000, v3
	v_trunc_f32_e32 v22, v22
	v_mac_f32_e32 v3, 0xcf800000, v22
	v_cvt_u32_f32_e32 v22, v22
	v_cvt_u32_f32_e32 v3, v3
	v_mul_lo_u32 v23, s4, v22
	v_mul_hi_u32 v25, s4, v3
	v_mul_lo_u32 v24, s5, v3
	v_add_u32_e32 v23, v25, v23
	v_mul_lo_u32 v26, s4, v3
	v_add_u32_e32 v23, v23, v24
	v_mul_hi_u32 v25, v3, v26
	v_mul_lo_u32 v27, v3, v23
	v_mul_hi_u32 v24, v3, v23
	v_add_co_u32_e32 v25, vcc, v25, v27
	v_addc_co_u32_e32 v24, vcc, 0, v24, vcc
	v_mul_hi_u32 v28, v22, v26
	v_mul_lo_u32 v26, v22, v26
	v_add_co_u32_e32 v25, vcc, v25, v26
	v_mul_hi_u32 v27, v22, v23
	v_addc_co_u32_e32 v24, vcc, v24, v28, vcc
	v_addc_co_u32_e32 v25, vcc, 0, v27, vcc
	v_mul_lo_u32 v23, v22, v23
	v_add_co_u32_e32 v23, vcc, v24, v23
	v_addc_co_u32_e32 v24, vcc, 0, v25, vcc
	v_add_co_u32_e32 v3, vcc, v3, v23
	v_addc_co_u32_e32 v22, vcc, v22, v24, vcc
	v_mul_lo_u32 v23, s4, v22
	v_mul_hi_u32 v24, s4, v3
	v_add_u32_e32 v23, v24, v23
	v_mul_lo_u32 v24, s5, v3
	v_add_u32_e32 v23, v23, v24
	v_mul_lo_u32 v25, s4, v3
	v_mul_hi_u32 v26, v22, v25
	v_mul_lo_u32 v27, v22, v25
	v_mul_lo_u32 v29, v3, v23
	v_mul_hi_u32 v25, v3, v25
	v_mul_hi_u32 v28, v3, v23
	v_add_co_u32_e32 v25, vcc, v25, v29
	v_addc_co_u32_e32 v28, vcc, 0, v28, vcc
	v_add_co_u32_e32 v25, vcc, v25, v27
	v_mul_hi_u32 v24, v22, v23
	v_addc_co_u32_e32 v25, vcc, v28, v26, vcc
	v_addc_co_u32_e32 v24, vcc, 0, v24, vcc
	v_mul_lo_u32 v23, v22, v23
	v_add_co_u32_e32 v23, vcc, v25, v23
	v_addc_co_u32_e32 v24, vcc, 0, v24, vcc
	v_add_co_u32_e32 v3, vcc, v3, v23
	v_addc_co_u32_e32 v24, vcc, v22, v24, vcc
	v_mad_u64_u32 v[22:23], s[4:5], v20, v24, 0
	v_mul_hi_u32 v25, v20, v3
	v_add_co_u32_e32 v26, vcc, v25, v22
	v_addc_co_u32_e32 v27, vcc, 0, v23, vcc
	v_mad_u64_u32 v[22:23], s[4:5], v21, v24, 0
	v_mad_u64_u32 v[24:25], s[4:5], v21, v3, 0
	v_add_co_u32_e32 v3, vcc, v26, v24
	v_addc_co_u32_e32 v3, vcc, v27, v25, vcc
	v_addc_co_u32_e32 v23, vcc, 0, v23, vcc
	v_add_co_u32_e32 v3, vcc, v3, v22
	v_addc_co_u32_e32 v24, vcc, 0, v23, vcc
	v_mul_lo_u32 v25, s55, v3
	v_mul_lo_u32 v26, s54, v24
	v_mad_u64_u32 v[22:23], s[4:5], s54, v3, 0
	v_add3_u32 v23, v23, v26, v25
	v_sub_u32_e32 v25, v21, v23
	v_mov_b32_e32 v26, s55
	v_sub_co_u32_e32 v22, vcc, v20, v22
	v_subb_co_u32_e64 v25, s[4:5], v25, v26, vcc
	v_subrev_co_u32_e64 v26, s[4:5], s54, v22
	v_subbrev_co_u32_e64 v25, s[4:5], 0, v25, s[4:5]
	v_cmp_le_u32_e64 s[4:5], s55, v25
	v_cndmask_b32_e64 v27, 0, -1, s[4:5]
	v_cmp_le_u32_e64 s[4:5], s54, v26
	v_cndmask_b32_e64 v26, 0, -1, s[4:5]
	v_cmp_eq_u32_e64 s[4:5], s55, v25
	v_cndmask_b32_e64 v25, v27, v26, s[4:5]
	v_add_co_u32_e64 v26, s[4:5], 2, v3
	v_addc_co_u32_e64 v27, s[4:5], 0, v24, s[4:5]
	v_add_co_u32_e64 v28, s[4:5], 1, v3
	v_addc_co_u32_e64 v29, s[4:5], 0, v24, s[4:5]
	v_subb_co_u32_e32 v23, vcc, v21, v23, vcc
	v_cmp_ne_u32_e64 s[4:5], 0, v25
	v_cmp_le_u32_e32 vcc, s55, v23
	v_cndmask_b32_e64 v25, v29, v27, s[4:5]
	v_cndmask_b32_e64 v27, 0, -1, vcc
	v_cmp_le_u32_e32 vcc, s54, v22
	v_cndmask_b32_e64 v22, 0, -1, vcc
	v_cmp_eq_u32_e32 vcc, s55, v23
	v_cndmask_b32_e32 v22, v27, v22, vcc
	v_cmp_ne_u32_e32 vcc, 0, v22
	v_cndmask_b32_e64 v22, v28, v26, s[4:5]
	v_cndmask_b32_e32 v23, v24, v25, vcc
	v_cndmask_b32_e32 v22, v3, v22, vcc
.LBB32_61:                              ;   in Loop: Header=BB32_59 Depth=2
	s_andn2_saveexec_b64 s[4:5], s[56:57]
	s_cbranch_execz .LBB32_58
; %bb.62:                               ;   in Loop: Header=BB32_59 Depth=2
	v_cvt_f32_u32_e32 v3, s54
	s_sub_i32 s56, 0, s54
	v_rcp_iflag_f32_e32 v3, v3
	v_mul_f32_e32 v3, 0x4f7ffffe, v3
	v_cvt_u32_f32_e32 v3, v3
	v_mul_lo_u32 v22, s56, v3
	v_mul_hi_u32 v22, v3, v22
	v_add_u32_e32 v3, v3, v22
	v_mul_hi_u32 v3, v20, v3
	v_mul_lo_u32 v22, v3, s54
	v_sub_u32_e32 v22, v20, v22
	v_add_u32_e32 v23, 1, v3
	v_subrev_u32_e32 v24, s54, v22
	v_cmp_le_u32_e32 vcc, s54, v22
	v_cndmask_b32_e32 v22, v22, v24, vcc
	v_cndmask_b32_e32 v3, v3, v23, vcc
	v_add_u32_e32 v23, 1, v3
	v_cmp_le_u32_e32 vcc, s54, v22
	v_cndmask_b32_e32 v22, v3, v23, vcc
	v_mov_b32_e32 v23, v2
	s_branch .LBB32_58
.LBB32_63:                              ;   in Loop: Header=BB32_3 Depth=1
	v_mad_u64_u32 v[20:21], s[0:1], s18, v26, v[20:21]
	v_mul_lo_u32 v3, s18, v27
	v_mul_lo_u32 v24, s19, v26
	v_add3_u32 v21, v24, v21, v3
.LBB32_64:                              ;   in Loop: Header=BB32_3 Depth=1
	s_or_b64 exec, exec, s[6:7]
	v_pk_mov_b32 v[24:25], 0, 0
	s_and_saveexec_b64 s[6:7], s[4:5]
	s_cbranch_execz .LBB32_67
; %bb.65:                               ;   in Loop: Header=BB32_3 Depth=1
	s_and_b64 vcc, exec, s[2:3]
	v_pk_mov_b32 v[24:25], 0, 0
	s_mov_b64 s[2:3], s[34:35]
	s_mov_b32 s54, s65
	s_cbranch_vccz .LBB32_97
.LBB32_66:                              ;   in Loop: Header=BB32_3 Depth=1
	v_mad_u64_u32 v[24:25], s[0:1], s20, v22, v[24:25]
	v_mul_lo_u32 v3, s20, v23
	v_mul_lo_u32 v22, s21, v22
	v_add3_u32 v25, v22, v25, v3
.LBB32_67:                              ;   in Loop: Header=BB32_3 Depth=1
	s_or_b64 exec, exec, s[6:7]
	v_lshlrev_b64 v[22:23], 2, v[24:25]
	v_mov_b32_e32 v3, s17
	v_add_co_u32_e32 v22, vcc, s16, v22
	v_addc_co_u32_e32 v23, vcc, v3, v23, vcc
	global_load_dword v39, v[22:23], off
	s_andn2_b64 vcc, exec, s[26:27]
	v_pk_mov_b32 v[22:23], s[12:13], s[12:13] op_sel:[0,1]
	v_pk_mov_b32 v[24:25], s[10:11], s[10:11] op_sel:[0,1]
	s_cbranch_vccnz .LBB32_69
; %bb.68:                               ;   in Loop: Header=BB32_3 Depth=1
	v_pk_mov_b32 v[22:23], s[12:13], s[12:13] op_sel:[0,1]
	flat_load_dwordx2 v[22:23], v[22:23]
	v_pk_mov_b32 v[24:25], s[10:11], s[10:11] op_sel:[0,1]
	flat_load_dwordx2 v[24:25], v[24:25]
	v_mov_b32_e32 v3, s15
	s_waitcnt vmcnt(0) lgkmcnt(0)
	v_add_co_u32_e32 v22, vcc, s14, v22
	v_addc_co_u32_e32 v23, vcc, v23, v3, vcc
.LBB32_69:                              ;   in Loop: Header=BB32_3 Depth=1
	v_alignbit_b32 v3, v23, v22, 2
	v_lshrrev_b32_e32 v34, 2, v23
	v_xor_b32_e32 v26, v6, v24
	v_and_b32_e32 v40, 3, v22
	v_mad_u64_u32 v[22:23], s[0:1], v3, s66, 0
	v_xor_b32_e32 v26, v26, v34
	v_xor_b32_e32 v23, v23, v25
	v_add_u32_e32 v44, 0xbb67ae85, v25
	v_mad_u64_u32 v[26:27], s[0:1], v26, s66, 0
	v_mad_u64_u32 v[28:29], s[0:1], v23, s33, 0
	v_xor_b32_e32 v27, v44, v27
	v_add_u32_e32 v43, 0x9e3779b9, v24
	v_xor_b32_e32 v23, v4, v29
	v_xor_b32_e32 v27, v27, v22
	v_xor_b32_e32 v23, v23, v43
	v_add_u32_e32 v45, 0x3c6ef372, v24
	v_mad_u64_u32 v[30:31], s[0:1], v27, s33, 0
	v_add_u32_e32 v46, 0x76cf5d0a, v25
	v_mad_u64_u32 v[22:23], s[0:1], v23, s66, 0
	v_xor_b32_e32 v27, v45, v31
	v_xor_b32_e32 v27, v27, v28
	v_xor_b32_e32 v23, v46, v23
	v_xor_b32_e32 v23, v23, v26
	v_add_u32_e32 v48, 0x32370b8f, v25
	v_mad_u64_u32 v[26:27], s[0:1], v27, s66, 0
	v_add_u32_e32 v47, 0xdaa66d2b, v24
	v_mad_u64_u32 v[28:29], s[0:1], v23, s33, 0
	v_xor_b32_e32 v27, v48, v27
	;; [unrolled: 8-line block ×5, first 2 shown]
	v_xor_b32_e32 v27, v27, v28
	v_xor_b32_e32 v23, v54, v23
	;; [unrolled: 1-line block ×3, first 2 shown]
	v_add_u32_e32 v56, 0x1fd5c5a3, v25
	v_mad_u64_u32 v[26:27], s[0:1], v27, s66, 0
	v_xor_b32_e32 v27, v56, v27
	v_xor_b32_e32 v22, v27, v22
	v_add_u32_e32 v55, 0x5384540f, v24
	v_mad_u64_u32 v[32:33], s[0:1], v23, s33, 0
	v_add_co_u32_e32 v41, vcc, s67, v24
	v_mad_u64_u32 v[28:29], s[0:1], v22, s33, 0
	v_xor_b32_e32 v23, v55, v33
	v_xor_b32_e32 v22, v41, v29
	;; [unrolled: 1-line block ×4, first 2 shown]
	v_mad_u64_u32 v[30:31], s[0:1], v23, s66, 0
	v_mad_u64_u32 v[22:23], s[0:1], v22, s66, 0
	v_add_co_u32_e32 v3, vcc, 1, v3
	v_xor_b32_e32 v23, v23, v30
	v_cndmask_b32_e64 v30, 0, 1, vcc
	v_addc_co_u32_e32 v36, vcc, 0, v34, vcc
	v_cmp_eq_u32_e32 vcc, 0, v36
	v_cndmask_b32_e32 v30, 0, v30, vcc
	v_add_u32_e32 v34, v30, v7
	v_cmp_eq_u32_e32 vcc, 0, v34
	v_mad_u64_u32 v[32:33], s[0:1], v3, s66, 0
	v_mad_u64_u32 v[34:35], s[0:1], v34, s33, 0
	v_add_u32_e32 v29, 0x8ff34781, v24
	v_cndmask_b32_e32 v30, 0, v30, vcc
	v_xor_b32_e32 v3, v35, v24
	v_xor_b32_e32 v24, v33, v25
	v_xor_b32_e32 v30, v30, v24
	v_xor_b32_e32 v3, v36, v3
	v_mad_u64_u32 v[36:37], s[0:1], v30, s33, 0
	v_add_u32_e32 v27, 0xdb3d7428, v25
	v_add_u32_e32 v42, 0x96a522ad, v25
	v_mad_u64_u32 v[24:25], s[0:1], v3, s66, 0
	v_xor_b32_e32 v3, v43, v37
	v_xor_b32_e32 v3, v3, v34
	v_xor_b32_e32 v25, v44, v25
	v_xor_b32_e32 v25, v25, v32
	v_mad_u64_u32 v[32:33], s[0:1], v3, s66, 0
	v_mad_u64_u32 v[34:35], s[0:1], v25, s33, 0
	v_xor_b32_e32 v25, v46, v33
	v_xor_b32_e32 v3, v45, v35
	v_xor_b32_e32 v30, v25, v24
	v_xor_b32_e32 v3, v3, v36
	v_mad_u64_u32 v[36:37], s[0:1], v30, s33, 0
	v_mad_u64_u32 v[24:25], s[0:1], v3, s66, 0
	v_xor_b32_e32 v3, v47, v37
	v_xor_b32_e32 v3, v3, v34
	v_xor_b32_e32 v25, v48, v25
	v_xor_b32_e32 v25, v25, v32
	v_mad_u64_u32 v[32:33], s[0:1], v3, s66, 0
	v_mad_u64_u32 v[34:35], s[0:1], v25, s33, 0
	v_xor_b32_e32 v25, v50, v33
	v_xor_b32_e32 v3, v49, v35
	v_xor_b32_e32 v30, v25, v24
	v_xor_b32_e32 v3, v3, v36
	v_mad_u64_u32 v[36:37], s[0:1], v30, s33, 0
	v_mad_u64_u32 v[24:25], s[0:1], v3, s66, 0
	v_xor_b32_e32 v3, v51, v37
	v_xor_b32_e32 v3, v3, v34
	v_xor_b32_e32 v25, v52, v25
	v_xor_b32_e32 v25, v25, v32
	v_mad_u64_u32 v[34:35], s[0:1], v3, s66, 0
	v_mad_u64_u32 v[44:45], s[0:1], v25, s33, 0
	v_xor_b32_e32 v25, v54, v35
	v_xor_b32_e32 v3, v53, v45
	v_xor_b32_e32 v30, v25, v24
	v_xor_b32_e32 v3, v3, v36
	v_mad_u64_u32 v[32:33], s[0:1], v30, s33, 0
	v_mad_u64_u32 v[24:25], s[0:1], v3, s66, 0
	v_xor_b32_e32 v3, v55, v33
	v_xor_b32_e32 v3, v3, v44
	v_xor_b32_e32 v25, v56, v25
	v_xor_b32_e32 v25, v25, v34
	v_mad_u64_u32 v[34:35], s[0:1], v3, s66, 0
	v_xor_b32_e32 v3, v27, v35
	v_xor_b32_e32 v3, v3, v24
	v_mad_u64_u32 v[36:37], s[0:1], v25, s33, 0
	v_mad_u64_u32 v[24:25], s[0:1], v3, s33, 0
	v_xor_b32_e32 v3, v25, v36
	v_xor_b32_e32 v23, v42, v23
	;; [unrolled: 1-line block ×3, first 2 shown]
	v_cmp_lt_i32_e32 vcc, 1, v40
                                        ; implicit-def: $vgpr25
	s_and_saveexec_b64 s[0:1], vcc
	s_xor_b64 s[0:1], exec, s[0:1]
	s_cbranch_execz .LBB32_75
; %bb.70:                               ;   in Loop: Header=BB32_3 Depth=1
	v_cmp_lt_i32_e32 vcc, 2, v40
                                        ; implicit-def: $vgpr25
	s_and_saveexec_b64 s[2:3], vcc
	s_xor_b64 s[2:3], exec, s[2:3]
; %bb.71:                               ;   in Loop: Header=BB32_3 Depth=1
	v_xor_b32_e32 v23, v41, v37
	v_xor_b32_e32 v23, v23, v32
	v_mul_hi_u32 v23, v23, s66
	v_xor_b32_e32 v23, v23, v34
	v_xor_b32_e32 v25, v42, v23
                                        ; implicit-def: $vgpr23
; %bb.72:                               ;   in Loop: Header=BB32_3 Depth=1
	s_andn2_saveexec_b64 s[2:3], s[2:3]
; %bb.73:                               ;   in Loop: Header=BB32_3 Depth=1
	v_mov_b32_e32 v25, v24
	v_mov_b32_e32 v24, v3
	;; [unrolled: 1-line block ×4, first 2 shown]
; %bb.74:                               ;   in Loop: Header=BB32_3 Depth=1
	s_or_b64 exec, exec, s[2:3]
                                        ; implicit-def: $vgpr26_vgpr27
                                        ; implicit-def: $vgpr28_vgpr29
                                        ; implicit-def: $vgpr40
                                        ; implicit-def: $vgpr23
                                        ; implicit-def: $vgpr30_vgpr31
                                        ; implicit-def: $vgpr27
                                        ; implicit-def: $vgpr29
.LBB32_75:                              ;   in Loop: Header=BB32_3 Depth=1
	s_andn2_saveexec_b64 s[0:1], s[0:1]
	s_cbranch_execz .LBB32_79
; %bb.76:                               ;   in Loop: Header=BB32_3 Depth=1
	v_xor_b32_e32 v24, v27, v31
	v_xor_b32_e32 v24, v24, v26
	v_mad_u64_u32 v[26:27], s[2:3], v24, s33, 0
	v_xor_b32_e32 v24, v27, v28
	v_xor_b32_e32 v27, v29, v24
	v_cmp_eq_u32_e32 vcc, 1, v40
	v_mov_b32_e32 v25, v22
	v_mov_b32_e32 v24, v23
	;; [unrolled: 1-line block ×3, first 2 shown]
	s_and_saveexec_b64 s[2:3], vcc
; %bb.77:                               ;   in Loop: Header=BB32_3 Depth=1
	v_mov_b32_e32 v25, v3
	v_mov_b32_e32 v24, v22
	;; [unrolled: 1-line block ×4, first 2 shown]
; %bb.78:                               ;   in Loop: Header=BB32_3 Depth=1
	s_or_b64 exec, exec, s[2:3]
	v_mov_b32_e32 v22, v27
	v_mov_b32_e32 v3, v28
.LBB32_79:                              ;   in Loop: Header=BB32_3 Depth=1
	s_or_b64 exec, exec, s[0:1]
	v_min_i32_e32 v23, 4, v38
	v_cmp_lt_i32_e32 vcc, 2, v23
	s_mov_b64 s[2:3], 0
	s_mov_b64 s[58:59], 0
	;; [unrolled: 1-line block ×3, first 2 shown]
                                        ; implicit-def: $sgpr6_sgpr7
                                        ; implicit-def: $sgpr52_sgpr53
                                        ; implicit-def: $sgpr54_sgpr55
	s_and_saveexec_b64 s[0:1], vcc
	s_xor_b64 s[56:57], exec, s[0:1]
	s_cbranch_execz .LBB32_91
; %bb.80:                               ;   in Loop: Header=BB32_3 Depth=1
	v_cmp_lt_i32_e32 vcc, 3, v23
	s_mov_b64 s[0:1], -1
	s_mov_b64 s[60:61], 0
                                        ; implicit-def: $sgpr4_sgpr5
                                        ; implicit-def: $sgpr6_sgpr7
	s_and_saveexec_b64 s[52:53], vcc
	s_cbranch_execz .LBB32_86
; %bb.81:                               ;   in Loop: Header=BB32_3 Depth=1
	v_cmp_eq_u32_e32 vcc, 4, v23
	s_mov_b64 s[0:1], 0
	s_mov_b64 s[60:61], -1
                                        ; implicit-def: $sgpr4_sgpr5
                                        ; implicit-def: $sgpr6_sgpr7
	s_and_saveexec_b64 s[54:55], vcc
	s_cbranch_execz .LBB32_85
; %bb.82:                               ;   in Loop: Header=BB32_3 Depth=1
	s_waitcnt vmcnt(0)
	v_cmp_le_f32_e32 vcc, 0, v39
	v_cmp_ge_f32_e64 s[0:1], 1.0, v39
	s_and_b64 s[60:61], vcc, s[0:1]
	s_mov_b64 s[4:5], 0
	s_mov_b64 s[0:1], 0
	s_and_saveexec_b64 s[6:7], s[60:61]
	s_cbranch_execz .LBB32_84
; %bb.83:                               ;   in Loop: Header=BB32_3 Depth=1
	v_cvt_f32_u32_e32 v25, v25
	v_mov_b32_e32 v26, 0x2f800000
	v_mov_b32_e32 v27, s25
	v_add_co_u32_e32 v20, vcc, s24, v20
	v_fmac_f32_e32 v26, 0x2f800000, v25
	v_addc_co_u32_e32 v21, vcc, v27, v21, vcc
	v_cmp_le_f32_e32 vcc, v26, v39
	s_mov_b64 s[0:1], exec
	v_cndmask_b32_e64 v25, 0, 1, vcc
	global_store_byte v[20:21], v25, off
.LBB32_84:                              ;   in Loop: Header=BB32_3 Depth=1
	s_or_b64 exec, exec, s[6:7]
	s_mov_b64 s[6:7], -1
	s_xor_b64 s[60:61], exec, -1
	s_and_b64 s[0:1], s[0:1], exec
.LBB32_85:                              ;   in Loop: Header=BB32_3 Depth=1
	s_or_b64 exec, exec, s[54:55]
	s_and_b64 s[60:61], s[60:61], exec
	s_orn2_b64 s[0:1], s[0:1], exec
.LBB32_86:                              ;   in Loop: Header=BB32_3 Depth=1
	s_or_b64 exec, exec, s[52:53]
	s_mov_b64 s[54:55], s[4:5]
	s_and_saveexec_b64 s[52:53], s[0:1]
	s_cbranch_execz .LBB32_90
; %bb.87:                               ;   in Loop: Header=BB32_3 Depth=1
	v_lshlrev_b64 v[18:19], 2, v[18:19]
	v_mov_b32_e32 v20, s17
	v_add_co_u32_e32 v18, vcc, s16, v18
	v_addc_co_u32_e32 v19, vcc, v20, v19, vcc
	global_load_dword v18, v[18:19], off
	s_waitcnt vmcnt(0)
	v_cmp_le_f32_e32 vcc, 0, v18
	v_cmp_ge_f32_e64 s[0:1], 1.0, v18
	s_and_b64 s[54:55], vcc, s[0:1]
	s_mov_b64 s[0:1], 0
	s_and_saveexec_b64 s[58:59], s[54:55]
	s_xor_b64 s[54:55], exec, s[58:59]
	s_cbranch_execz .LBB32_89
; %bb.88:                               ;   in Loop: Header=BB32_3 Depth=1
	v_cvt_f32_u32_e32 v19, v24
	v_mov_b32_e32 v20, 0x2f800000
	v_mov_b32_e32 v21, s25
	v_add_co_u32_e32 v16, vcc, s24, v16
	v_fmac_f32_e32 v20, 0x2f800000, v19
	v_addc_co_u32_e32 v17, vcc, v21, v17, vcc
	v_cmp_le_f32_e32 vcc, v20, v18
	v_cndmask_b32_e64 v18, 0, 1, vcc
	s_mov_b64 s[0:1], exec
	global_store_byte v[16:17], v18, off
.LBB32_89:                              ;   in Loop: Header=BB32_3 Depth=1
	s_or_b64 exec, exec, s[54:55]
	s_andn2_b64 s[54:55], s[4:5], exec
	s_or_b64 s[4:5], s[4:5], exec
	s_andn2_b64 s[6:7], s[6:7], exec
	s_and_b64 s[58:59], s[0:1], exec
.LBB32_90:                              ;   in Loop: Header=BB32_3 Depth=1
	s_or_b64 exec, exec, s[52:53]
	s_and_b64 s[54:55], s[54:55], exec
	s_and_b64 s[52:53], s[4:5], exec
	;; [unrolled: 1-line block ×5, first 2 shown]
.LBB32_91:                              ;   in Loop: Header=BB32_3 Depth=1
	s_andn2_saveexec_b64 s[0:1], s[56:57]
; %bb.92:                               ;   in Loop: Header=BB32_3 Depth=1
	v_cmp_lt_i32_e32 vcc, 1, v23
	s_andn2_b64 s[56:57], s[58:59], exec
	s_and_b64 s[58:59], vcc, exec
	s_mov_b64 s[2:3], exec
	s_andn2_b64 s[54:55], s[54:55], exec
	s_andn2_b64 s[52:53], s[52:53], exec
	;; [unrolled: 1-line block ×3, first 2 shown]
	s_or_b64 s[58:59], s[56:57], s[58:59]
; %bb.93:                               ;   in Loop: Header=BB32_3 Depth=1
	s_or_b64 exec, exec, s[0:1]
	s_mov_b64 s[0:1], 0
	s_mov_b64 s[56:57], s[54:55]
	s_and_saveexec_b64 s[60:61], s[58:59]
	s_cbranch_execnz .LBB32_101
; %bb.94:                               ;   in Loop: Header=BB32_3 Depth=1
	s_or_b64 exec, exec, s[60:61]
	s_and_saveexec_b64 s[58:59], s[2:3]
	s_cbranch_execnz .LBB32_104
.LBB32_95:                              ;   in Loop: Header=BB32_3 Depth=1
	s_or_b64 exec, exec, s[58:59]
	s_and_saveexec_b64 s[2:3], s[0:1]
	s_cbranch_execnz .LBB32_105
	s_branch .LBB32_108
.LBB32_96:                              ;   in Loop: Header=BB32_97 Depth=2
	s_or_b64 exec, exec, s[0:1]
	v_mad_u64_u32 v[28:29], s[0:1], v26, s4, 0
	s_load_dwordx2 s[0:1], s[2:3], 0xc8
	v_mul_lo_u32 v3, v27, s4
	v_mul_lo_u32 v30, v26, s5
	v_add3_u32 v3, v29, v30, v3
	v_sub_co_u32_e32 v22, vcc, v22, v28
	s_add_i32 s54, s54, -1
	v_subb_co_u32_e32 v3, vcc, v23, v3, vcc
	s_add_u32 s2, s2, -8
	s_waitcnt lgkmcnt(0)
	v_mul_lo_u32 v3, s0, v3
	v_mul_lo_u32 v23, s1, v22
	v_mad_u64_u32 v[24:25], s[0:1], s0, v22, v[24:25]
	s_addc_u32 s3, s3, -1
	s_cmp_gt_u32 s54, 2
	v_add3_u32 v25, v23, v25, v3
	v_pk_mov_b32 v[22:23], v[26:27], v[26:27] op_sel:[0,1]
	s_cbranch_scc0 .LBB32_66
.LBB32_97:                              ;   Parent Loop BB32_3 Depth=1
                                        ; =>  This Inner Loop Header: Depth=2
	s_load_dwordx2 s[4:5], s[2:3], 0x0
                                        ; implicit-def: $vgpr26_vgpr27
	s_waitcnt lgkmcnt(0)
	v_or_b32_e32 v3, s5, v23
	v_cmp_ne_u64_e32 vcc, 0, v[2:3]
	s_and_saveexec_b64 s[0:1], vcc
	s_xor_b64 s[52:53], exec, s[0:1]
	s_cbranch_execz .LBB32_99
; %bb.98:                               ;   in Loop: Header=BB32_97 Depth=2
	v_cvt_f32_u32_e32 v3, s4
	v_cvt_f32_u32_e32 v26, s5
	s_sub_u32 s0, 0, s4
	s_subb_u32 s1, 0, s5
	v_mac_f32_e32 v3, 0x4f800000, v26
	v_rcp_f32_e32 v3, v3
	v_mul_f32_e32 v3, 0x5f7ffffc, v3
	v_mul_f32_e32 v26, 0x2f800000, v3
	v_trunc_f32_e32 v26, v26
	v_mac_f32_e32 v3, 0xcf800000, v26
	v_cvt_u32_f32_e32 v26, v26
	v_cvt_u32_f32_e32 v3, v3
	v_mul_lo_u32 v27, s0, v26
	v_mul_hi_u32 v29, s0, v3
	v_mul_lo_u32 v28, s1, v3
	v_add_u32_e32 v27, v29, v27
	v_mul_lo_u32 v30, s0, v3
	v_add_u32_e32 v27, v27, v28
	v_mul_hi_u32 v29, v3, v30
	v_mul_lo_u32 v31, v3, v27
	v_mul_hi_u32 v28, v3, v27
	v_add_co_u32_e32 v29, vcc, v29, v31
	v_addc_co_u32_e32 v28, vcc, 0, v28, vcc
	v_mul_hi_u32 v32, v26, v30
	v_mul_lo_u32 v30, v26, v30
	v_add_co_u32_e32 v29, vcc, v29, v30
	v_mul_hi_u32 v31, v26, v27
	v_addc_co_u32_e32 v28, vcc, v28, v32, vcc
	v_addc_co_u32_e32 v29, vcc, 0, v31, vcc
	v_mul_lo_u32 v27, v26, v27
	v_add_co_u32_e32 v27, vcc, v28, v27
	v_addc_co_u32_e32 v28, vcc, 0, v29, vcc
	v_add_co_u32_e32 v3, vcc, v3, v27
	v_addc_co_u32_e32 v26, vcc, v26, v28, vcc
	v_mul_lo_u32 v27, s0, v26
	v_mul_hi_u32 v28, s0, v3
	v_add_u32_e32 v27, v28, v27
	v_mul_lo_u32 v28, s1, v3
	v_add_u32_e32 v27, v27, v28
	v_mul_lo_u32 v29, s0, v3
	v_mul_hi_u32 v30, v26, v29
	v_mul_lo_u32 v31, v26, v29
	v_mul_lo_u32 v33, v3, v27
	v_mul_hi_u32 v29, v3, v29
	v_mul_hi_u32 v32, v3, v27
	v_add_co_u32_e32 v29, vcc, v29, v33
	v_addc_co_u32_e32 v32, vcc, 0, v32, vcc
	v_add_co_u32_e32 v29, vcc, v29, v31
	v_mul_hi_u32 v28, v26, v27
	v_addc_co_u32_e32 v29, vcc, v32, v30, vcc
	v_addc_co_u32_e32 v28, vcc, 0, v28, vcc
	v_mul_lo_u32 v27, v26, v27
	v_add_co_u32_e32 v27, vcc, v29, v27
	v_addc_co_u32_e32 v28, vcc, 0, v28, vcc
	v_add_co_u32_e32 v3, vcc, v3, v27
	v_addc_co_u32_e32 v28, vcc, v26, v28, vcc
	v_mad_u64_u32 v[26:27], s[0:1], v22, v28, 0
	v_mul_hi_u32 v29, v22, v3
	v_add_co_u32_e32 v30, vcc, v29, v26
	v_addc_co_u32_e32 v31, vcc, 0, v27, vcc
	v_mad_u64_u32 v[26:27], s[0:1], v23, v28, 0
	v_mad_u64_u32 v[28:29], s[0:1], v23, v3, 0
	v_add_co_u32_e32 v3, vcc, v30, v28
	v_addc_co_u32_e32 v3, vcc, v31, v29, vcc
	v_addc_co_u32_e32 v27, vcc, 0, v27, vcc
	v_add_co_u32_e32 v3, vcc, v3, v26
	v_addc_co_u32_e32 v28, vcc, 0, v27, vcc
	v_mul_lo_u32 v29, s5, v3
	v_mul_lo_u32 v30, s4, v28
	v_mad_u64_u32 v[26:27], s[0:1], s4, v3, 0
	v_add3_u32 v27, v27, v30, v29
	v_sub_u32_e32 v29, v23, v27
	v_mov_b32_e32 v30, s5
	v_sub_co_u32_e32 v26, vcc, v22, v26
	v_subb_co_u32_e64 v29, s[0:1], v29, v30, vcc
	v_subrev_co_u32_e64 v30, s[0:1], s4, v26
	v_subbrev_co_u32_e64 v29, s[0:1], 0, v29, s[0:1]
	v_cmp_le_u32_e64 s[0:1], s5, v29
	v_cndmask_b32_e64 v31, 0, -1, s[0:1]
	v_cmp_le_u32_e64 s[0:1], s4, v30
	v_cndmask_b32_e64 v30, 0, -1, s[0:1]
	v_cmp_eq_u32_e64 s[0:1], s5, v29
	v_cndmask_b32_e64 v29, v31, v30, s[0:1]
	v_add_co_u32_e64 v30, s[0:1], 2, v3
	v_addc_co_u32_e64 v31, s[0:1], 0, v28, s[0:1]
	v_add_co_u32_e64 v32, s[0:1], 1, v3
	v_addc_co_u32_e64 v33, s[0:1], 0, v28, s[0:1]
	v_subb_co_u32_e32 v27, vcc, v23, v27, vcc
	v_cmp_ne_u32_e64 s[0:1], 0, v29
	v_cmp_le_u32_e32 vcc, s5, v27
	v_cndmask_b32_e64 v29, v33, v31, s[0:1]
	v_cndmask_b32_e64 v31, 0, -1, vcc
	v_cmp_le_u32_e32 vcc, s4, v26
	v_cndmask_b32_e64 v26, 0, -1, vcc
	v_cmp_eq_u32_e32 vcc, s5, v27
	v_cndmask_b32_e32 v26, v31, v26, vcc
	v_cmp_ne_u32_e32 vcc, 0, v26
	v_cndmask_b32_e64 v26, v32, v30, s[0:1]
	v_cndmask_b32_e32 v27, v28, v29, vcc
	v_cndmask_b32_e32 v26, v3, v26, vcc
.LBB32_99:                              ;   in Loop: Header=BB32_97 Depth=2
	s_andn2_saveexec_b64 s[0:1], s[52:53]
	s_cbranch_execz .LBB32_96
; %bb.100:                              ;   in Loop: Header=BB32_97 Depth=2
	v_cvt_f32_u32_e32 v3, s4
	s_sub_i32 s52, 0, s4
	v_rcp_iflag_f32_e32 v3, v3
	v_mul_f32_e32 v3, 0x4f7ffffe, v3
	v_cvt_u32_f32_e32 v3, v3
	v_mul_lo_u32 v26, s52, v3
	v_mul_hi_u32 v26, v3, v26
	v_add_u32_e32 v3, v3, v26
	v_mul_hi_u32 v3, v22, v3
	v_mul_lo_u32 v26, v3, s4
	v_sub_u32_e32 v26, v22, v26
	v_add_u32_e32 v27, 1, v3
	v_subrev_u32_e32 v28, s4, v26
	v_cmp_le_u32_e32 vcc, s4, v26
	v_cndmask_b32_e32 v26, v26, v28, vcc
	v_cndmask_b32_e32 v3, v3, v27, vcc
	v_add_u32_e32 v27, 1, v3
	v_cmp_le_u32_e32 vcc, s4, v26
	v_cndmask_b32_e32 v26, v3, v27, vcc
	v_mov_b32_e32 v27, v2
	s_branch .LBB32_96
.LBB32_101:                             ;   in Loop: Header=BB32_3 Depth=1
	v_lshlrev_b64 v[14:15], 2, v[14:15]
	v_mov_b32_e32 v16, s17
	v_add_co_u32_e32 v14, vcc, s16, v14
	v_addc_co_u32_e32 v15, vcc, v16, v15, vcc
	global_load_dword v14, v[14:15], off
	s_waitcnt vmcnt(0)
	v_cmp_le_f32_e32 vcc, 0, v14
	v_cmp_ge_f32_e64 s[0:1], 1.0, v14
	s_and_b64 s[56:57], vcc, s[0:1]
	s_mov_b64 s[0:1], 0
	s_and_saveexec_b64 s[58:59], s[56:57]
	s_xor_b64 s[56:57], exec, s[58:59]
	s_cbranch_execz .LBB32_103
; %bb.102:                              ;   in Loop: Header=BB32_3 Depth=1
	v_cvt_f32_u32_e32 v3, v3
	v_mov_b32_e32 v15, 0x2f800000
	v_mov_b32_e32 v16, s25
	v_add_co_u32_e32 v12, vcc, s24, v12
	v_fmac_f32_e32 v15, 0x2f800000, v3
	v_addc_co_u32_e32 v13, vcc, v16, v13, vcc
	v_cmp_le_f32_e32 vcc, v15, v14
	v_cndmask_b32_e64 v3, 0, 1, vcc
	s_mov_b64 s[0:1], exec
	global_store_byte v[12:13], v3, off
.LBB32_103:                             ;   in Loop: Header=BB32_3 Depth=1
	s_or_b64 exec, exec, s[56:57]
	s_andn2_b64 s[56:57], s[54:55], exec
	s_or_b64 s[54:55], s[54:55], exec
	s_andn2_b64 s[52:53], s[52:53], exec
	s_andn2_b64 s[6:7], s[6:7], exec
	s_and_b64 s[0:1], s[0:1], exec
	s_andn2_b64 s[2:3], s[2:3], exec
	s_or_b64 exec, exec, s[60:61]
	s_and_saveexec_b64 s[58:59], s[2:3]
	s_cbranch_execz .LBB32_95
.LBB32_104:                             ;   in Loop: Header=BB32_3 Depth=1
	v_cmp_eq_u32_e32 vcc, 1, v23
	s_andn2_b64 s[0:1], s[0:1], exec
	s_and_b64 s[2:3], vcc, exec
	s_andn2_b64 s[56:57], s[56:57], exec
	s_andn2_b64 s[54:55], s[54:55], exec
	;; [unrolled: 1-line block ×4, first 2 shown]
	s_or_b64 s[4:5], s[4:5], exec
	s_or_b64 s[0:1], s[0:1], s[2:3]
	s_or_b64 exec, exec, s[58:59]
	s_and_saveexec_b64 s[2:3], s[0:1]
	s_cbranch_execz .LBB32_108
.LBB32_105:                             ;   in Loop: Header=BB32_3 Depth=1
	v_lshlrev_b64 v[10:11], 2, v[10:11]
	v_mov_b32_e32 v3, s17
	v_add_co_u32_e32 v10, vcc, s16, v10
	v_addc_co_u32_e32 v11, vcc, v3, v11, vcc
	global_load_dword v3, v[10:11], off
	s_waitcnt vmcnt(0)
	v_cmp_le_f32_e32 vcc, 0, v3
	v_cmp_ge_f32_e64 s[0:1], 1.0, v3
	s_and_b64 s[60:61], vcc, s[0:1]
	s_mov_b64 s[0:1], 0
	s_and_saveexec_b64 s[58:59], s[60:61]
	s_cbranch_execz .LBB32_107
; %bb.106:                              ;   in Loop: Header=BB32_3 Depth=1
	v_cvt_f32_u32_e32 v10, v22
	v_mov_b32_e32 v11, 0x2f800000
	v_mov_b32_e32 v12, s25
	v_add_co_u32_e32 v8, vcc, s24, v8
	v_fmac_f32_e32 v11, 0x2f800000, v10
	v_addc_co_u32_e32 v9, vcc, v12, v9, vcc
	v_cmp_le_f32_e32 vcc, v11, v3
	s_mov_b64 s[0:1], exec
	v_cndmask_b32_e64 v3, 0, 1, vcc
	global_store_byte v[8:9], v3, off
.LBB32_107:                             ;   in Loop: Header=BB32_3 Depth=1
	s_or_b64 exec, exec, s[58:59]
	s_andn2_b64 s[4:5], s[4:5], exec
	s_and_b64 s[0:1], s[0:1], exec
	s_or_b64 s[56:57], s[56:57], exec
	s_andn2_b64 s[54:55], s[54:55], exec
	s_andn2_b64 s[52:53], s[52:53], exec
	;; [unrolled: 1-line block ×3, first 2 shown]
	s_or_b64 s[4:5], s[4:5], s[0:1]
.LBB32_108:                             ;   in Loop: Header=BB32_3 Depth=1
	s_or_b64 exec, exec, s[2:3]
	s_andn2_b64 s[2:3], s[50:51], exec
	s_and_b64 s[50:51], s[56:57], exec
	s_or_b64 s[50:51], s[2:3], s[50:51]
	s_andn2_b64 s[2:3], s[48:49], exec
	s_and_b64 s[48:49], s[54:55], exec
	s_or_b64 s[48:49], s[2:3], s[48:49]
	;; [unrolled: 3-line block ×3, first 2 shown]
	s_andn2_b64 s[2:3], s[44:45], exec
	s_and_b64 s[6:7], s[6:7], exec
	s_mov_b64 s[0:1], -1
	s_or_b64 s[44:45], s[2:3], s[6:7]
	s_and_saveexec_b64 s[2:3], s[4:5]
	s_cbranch_execz .LBB32_2
; %bb.109:                              ;   in Loop: Header=BB32_3 Depth=1
	v_mov_b32_e32 v3, s63
	v_add_co_u32_e32 v0, vcc, s62, v0
	v_addc_co_u32_e32 v1, vcc, v1, v3, vcc
	v_cmp_le_u64_e32 vcc, s[8:9], v[0:1]
	s_andn2_b64 s[50:51], s[50:51], exec
	s_andn2_b64 s[48:49], s[48:49], exec
	;; [unrolled: 1-line block ×4, first 2 shown]
	s_orn2_b64 s[0:1], vcc, exec
	s_branch .LBB32_2
.LBB32_110:
	s_or_b64 exec, exec, s[36:37]
	s_xor_b64 s[6:7], s[42:43], -1
	s_xor_b64 s[8:9], s[40:41], -1
	;; [unrolled: 1-line block ×3, first 2 shown]
	s_mov_b64 s[2:3], 0
	s_and_saveexec_b64 s[4:5], s[0:1]
	s_xor_b64 s[0:1], exec, s[4:5]
	s_cbranch_execnz .LBB32_115
; %bb.111:
	s_andn2_saveexec_b64 s[0:1], s[0:1]
	s_cbranch_execnz .LBB32_123
.LBB32_112:
	s_or_b64 exec, exec, s[0:1]
	s_and_b64 exec, exec, s[2:3]
.LBB32_113:
	; divergent unreachable
.LBB32_114:
	s_endpgm
.LBB32_115:
	s_mov_b64 s[4:5], 0
	s_and_saveexec_b64 s[2:3], s[8:9]
	s_xor_b64 s[2:3], exec, s[2:3]
	s_cbranch_execz .LBB32_121
; %bb.116:
	s_and_saveexec_b64 s[8:9], s[6:7]
	s_xor_b64 s[6:7], exec, s[8:9]
	s_cbranch_execz .LBB32_119
; %bb.117:
	s_and_saveexec_b64 s[8:9], s[28:29]
	s_xor_b64 s[8:9], exec, s[8:9]
	s_cbranch_execnz .LBB32_126
.LBB32_118:
	s_or_b64 exec, exec, s[8:9]
	s_and_b64 s[4:5], s[4:5], exec
.LBB32_119:
	s_andn2_saveexec_b64 s[6:7], s[6:7]
	s_cbranch_execnz .LBB32_125
.LBB32_120:
	s_or_b64 exec, exec, s[6:7]
	s_and_b64 s[4:5], s[4:5], exec
.LBB32_121:
	s_andn2_saveexec_b64 s[2:3], s[2:3]
	s_cbranch_execnz .LBB32_124
.LBB32_122:
	s_or_b64 exec, exec, s[2:3]
	s_and_b64 s[2:3], s[4:5], exec
	s_andn2_saveexec_b64 s[0:1], s[0:1]
	s_cbranch_execz .LBB32_112
.LBB32_123:
	s_or_b64 s[2:3], s[2:3], exec
	s_trap 2
	s_or_b64 exec, exec, s[0:1]
	s_and_b64 exec, exec, s[2:3]
	s_cbranch_execnz .LBB32_113
	s_branch .LBB32_114
.LBB32_124:
	s_or_b64 s[4:5], s[4:5], exec
	s_trap 2
	s_branch .LBB32_122
.LBB32_125:
	s_trap 2
	s_or_b64 s[4:5], s[4:5], exec
	s_branch .LBB32_120
.LBB32_126:
	s_mov_b64 s[4:5], exec
	s_trap 2
	s_branch .LBB32_118
	.section	.rodata,"a",@progbits
	.p2align	6, 0x0
	.amdhsa_kernel _ZN2at4cuda12_GLOBAL__N_121kernelPointwiseApply2IZNS_6native9templates4cuda28bernoulli_tensor_cuda_kernelIafEEvRKNS_10TensorBaseES9_NS_15PhiloxCudaStateEEUliRaSB_SB_SB_RKfSD_SD_SD_E_aSC_mLin1ELin1ELi4ELi512ELi2EEEvNS0_6detail10TensorInfoIT0_T2_EENSG_IT1_SI_EESI_T_
		.amdhsa_group_segment_fixed_size 0
		.amdhsa_private_segment_fixed_size 0
		.amdhsa_kernarg_size 1128
		.amdhsa_user_sgpr_count 6
		.amdhsa_user_sgpr_private_segment_buffer 1
		.amdhsa_user_sgpr_dispatch_ptr 0
		.amdhsa_user_sgpr_queue_ptr 0
		.amdhsa_user_sgpr_kernarg_segment_ptr 1
		.amdhsa_user_sgpr_dispatch_id 0
		.amdhsa_user_sgpr_flat_scratch_init 0
		.amdhsa_user_sgpr_kernarg_preload_length 0
		.amdhsa_user_sgpr_kernarg_preload_offset 0
		.amdhsa_user_sgpr_private_segment_size 0
		.amdhsa_uses_dynamic_stack 0
		.amdhsa_system_sgpr_private_segment_wavefront_offset 0
		.amdhsa_system_sgpr_workgroup_id_x 1
		.amdhsa_system_sgpr_workgroup_id_y 0
		.amdhsa_system_sgpr_workgroup_id_z 0
		.amdhsa_system_sgpr_workgroup_info 0
		.amdhsa_system_vgpr_workitem_id 0
		.amdhsa_next_free_vgpr 57
		.amdhsa_next_free_sgpr 68
		.amdhsa_accum_offset 60
		.amdhsa_reserve_vcc 1
		.amdhsa_reserve_flat_scratch 0
		.amdhsa_float_round_mode_32 0
		.amdhsa_float_round_mode_16_64 0
		.amdhsa_float_denorm_mode_32 3
		.amdhsa_float_denorm_mode_16_64 3
		.amdhsa_dx10_clamp 1
		.amdhsa_ieee_mode 1
		.amdhsa_fp16_overflow 0
		.amdhsa_tg_split 0
		.amdhsa_exception_fp_ieee_invalid_op 0
		.amdhsa_exception_fp_denorm_src 0
		.amdhsa_exception_fp_ieee_div_zero 0
		.amdhsa_exception_fp_ieee_overflow 0
		.amdhsa_exception_fp_ieee_underflow 0
		.amdhsa_exception_fp_ieee_inexact 0
		.amdhsa_exception_int_div_zero 0
	.end_amdhsa_kernel
	.section	.text._ZN2at4cuda12_GLOBAL__N_121kernelPointwiseApply2IZNS_6native9templates4cuda28bernoulli_tensor_cuda_kernelIafEEvRKNS_10TensorBaseES9_NS_15PhiloxCudaStateEEUliRaSB_SB_SB_RKfSD_SD_SD_E_aSC_mLin1ELin1ELi4ELi512ELi2EEEvNS0_6detail10TensorInfoIT0_T2_EENSG_IT1_SI_EESI_T_,"axG",@progbits,_ZN2at4cuda12_GLOBAL__N_121kernelPointwiseApply2IZNS_6native9templates4cuda28bernoulli_tensor_cuda_kernelIafEEvRKNS_10TensorBaseES9_NS_15PhiloxCudaStateEEUliRaSB_SB_SB_RKfSD_SD_SD_E_aSC_mLin1ELin1ELi4ELi512ELi2EEEvNS0_6detail10TensorInfoIT0_T2_EENSG_IT1_SI_EESI_T_,comdat
.Lfunc_end32:
	.size	_ZN2at4cuda12_GLOBAL__N_121kernelPointwiseApply2IZNS_6native9templates4cuda28bernoulli_tensor_cuda_kernelIafEEvRKNS_10TensorBaseES9_NS_15PhiloxCudaStateEEUliRaSB_SB_SB_RKfSD_SD_SD_E_aSC_mLin1ELin1ELi4ELi512ELi2EEEvNS0_6detail10TensorInfoIT0_T2_EENSG_IT1_SI_EESI_T_, .Lfunc_end32-_ZN2at4cuda12_GLOBAL__N_121kernelPointwiseApply2IZNS_6native9templates4cuda28bernoulli_tensor_cuda_kernelIafEEvRKNS_10TensorBaseES9_NS_15PhiloxCudaStateEEUliRaSB_SB_SB_RKfSD_SD_SD_E_aSC_mLin1ELin1ELi4ELi512ELi2EEEvNS0_6detail10TensorInfoIT0_T2_EENSG_IT1_SI_EESI_T_
                                        ; -- End function
	.section	.AMDGPU.csdata,"",@progbits
; Kernel info:
; codeLenInByte = 10240
; NumSgprs: 72
; NumVgprs: 57
; NumAgprs: 0
; TotalNumVgprs: 57
; ScratchSize: 0
; MemoryBound: 0
; FloatMode: 240
; IeeeMode: 1
; LDSByteSize: 0 bytes/workgroup (compile time only)
; SGPRBlocks: 8
; VGPRBlocks: 7
; NumSGPRsForWavesPerEU: 72
; NumVGPRsForWavesPerEU: 57
; AccumOffset: 60
; Occupancy: 8
; WaveLimiterHint : 1
; COMPUTE_PGM_RSRC2:SCRATCH_EN: 0
; COMPUTE_PGM_RSRC2:USER_SGPR: 6
; COMPUTE_PGM_RSRC2:TRAP_HANDLER: 0
; COMPUTE_PGM_RSRC2:TGID_X_EN: 1
; COMPUTE_PGM_RSRC2:TGID_Y_EN: 0
; COMPUTE_PGM_RSRC2:TGID_Z_EN: 0
; COMPUTE_PGM_RSRC2:TIDIG_COMP_CNT: 0
; COMPUTE_PGM_RSRC3_GFX90A:ACCUM_OFFSET: 14
; COMPUTE_PGM_RSRC3_GFX90A:TG_SPLIT: 0
	.section	.text._ZN2at4cuda12_GLOBAL__N_121kernelPointwiseApply2IZNS_6native9templates4cuda28bernoulli_tensor_cuda_kernelIifEEvRKNS_10TensorBaseES9_NS_15PhiloxCudaStateEEUliRiSB_SB_SB_RKfSD_SD_SD_E_iSC_jLi1ELi1ELi4ELi512ELi2EEEvNS0_6detail10TensorInfoIT0_T2_EENSG_IT1_SI_EESI_T_,"axG",@progbits,_ZN2at4cuda12_GLOBAL__N_121kernelPointwiseApply2IZNS_6native9templates4cuda28bernoulli_tensor_cuda_kernelIifEEvRKNS_10TensorBaseES9_NS_15PhiloxCudaStateEEUliRiSB_SB_SB_RKfSD_SD_SD_E_iSC_jLi1ELi1ELi4ELi512ELi2EEEvNS0_6detail10TensorInfoIT0_T2_EENSG_IT1_SI_EESI_T_,comdat
	.globl	_ZN2at4cuda12_GLOBAL__N_121kernelPointwiseApply2IZNS_6native9templates4cuda28bernoulli_tensor_cuda_kernelIifEEvRKNS_10TensorBaseES9_NS_15PhiloxCudaStateEEUliRiSB_SB_SB_RKfSD_SD_SD_E_iSC_jLi1ELi1ELi4ELi512ELi2EEEvNS0_6detail10TensorInfoIT0_T2_EENSG_IT1_SI_EESI_T_ ; -- Begin function _ZN2at4cuda12_GLOBAL__N_121kernelPointwiseApply2IZNS_6native9templates4cuda28bernoulli_tensor_cuda_kernelIifEEvRKNS_10TensorBaseES9_NS_15PhiloxCudaStateEEUliRiSB_SB_SB_RKfSD_SD_SD_E_iSC_jLi1ELi1ELi4ELi512ELi2EEEvNS0_6detail10TensorInfoIT0_T2_EENSG_IT1_SI_EESI_T_
	.p2align	8
	.type	_ZN2at4cuda12_GLOBAL__N_121kernelPointwiseApply2IZNS_6native9templates4cuda28bernoulli_tensor_cuda_kernelIifEEvRKNS_10TensorBaseES9_NS_15PhiloxCudaStateEEUliRiSB_SB_SB_RKfSD_SD_SD_E_iSC_jLi1ELi1ELi4ELi512ELi2EEEvNS0_6detail10TensorInfoIT0_T2_EENSG_IT1_SI_EESI_T_,@function
_ZN2at4cuda12_GLOBAL__N_121kernelPointwiseApply2IZNS_6native9templates4cuda28bernoulli_tensor_cuda_kernelIifEEvRKNS_10TensorBaseES9_NS_15PhiloxCudaStateEEUliRiSB_SB_SB_RKfSD_SD_SD_E_iSC_jLi1ELi1ELi4ELi512ELi2EEEvNS0_6detail10TensorInfoIT0_T2_EENSG_IT1_SI_EESI_T_: ; @_ZN2at4cuda12_GLOBAL__N_121kernelPointwiseApply2IZNS_6native9templates4cuda28bernoulli_tensor_cuda_kernelIifEEvRKNS_10TensorBaseES9_NS_15PhiloxCudaStateEEUliRiSB_SB_SB_RKfSD_SD_SD_E_iSC_jLi1ELi1ELi4ELi512ELi2EEEvNS0_6detail10TensorInfoIT0_T2_EENSG_IT1_SI_EESI_T_
; %bb.0:
	s_load_dword s2, s[4:5], 0x1e4
	s_load_dword s33, s[4:5], 0x1b0
	s_add_u32 s0, s4, 0x1d8
	s_addc_u32 s1, s5, 0
	s_waitcnt lgkmcnt(0)
	s_and_b32 s2, s2, 0xffff
	s_mul_i32 s6, s6, s2
	v_add_u32_e32 v5, s6, v0
	v_lshlrev_b32_e32 v22, 2, v5
	v_cmp_gt_u32_e32 vcc, s33, v22
	s_and_saveexec_b64 s[6:7], vcc
	s_cbranch_execz .LBB33_43
; %bb.1:
	s_load_dword s3, s[0:1], 0x0
	s_load_dword s6, s[4:5], 0x1d0
	s_load_dwordx2 s[16:17], s[4:5], 0x0
	s_load_dword s7, s[4:5], 0x6c
	s_load_dwordx2 s[18:19], s[4:5], 0xd8
	;; [unrolled: 2-line block ×3, first 2 shown]
	s_load_dwordx4 s[12:15], s[4:5], 0x1b8
	s_mov_b32 s54, 0xcd9e8d57
	s_waitcnt lgkmcnt(0)
	v_mul_lo_u32 v2, s7, v22
	s_bitcmp1_b32 s6, 0
	v_mad_u64_u32 v[0:1], s[0:1], v5, s54, 0
	v_add_u32_e32 v23, s7, v2
	v_add_u32_e32 v2, 2, v22
	s_mul_i32 s2, s3, s2
	s_cselect_b64 s[0:1], -1, 0
	v_mul_lo_u32 v24, s7, v2
	v_mul_lo_u32 v7, s7, v5
	v_mul_lo_u32 v28, s8, v2
	v_mul_lo_u32 v2, s8, v5
	s_lshl_b32 s56, s2, 2
	s_mul_i32 s3, s2, s7
	v_add_u32_e32 v6, 3, v22
	v_lshlrev_b32_e32 v26, 2, v7
	v_mul_lo_u32 v7, s8, v22
	s_mul_i32 s2, s2, s8
	v_lshlrev_b32_e32 v30, 2, v2
	v_cndmask_b32_e64 v2, 0, 1, s[0:1]
	s_mov_b32 s55, 0
	v_mov_b32_e32 v3, 0
	v_mov_b32_e32 v4, v1
	v_sub_u32_e32 v1, s33, v22
	s_lshl_b32 s57, s3, 2
	v_mul_lo_u32 v25, s7, v6
	v_add_u32_e32 v27, s8, v7
	s_lshl_b32 s58, s2, 2
	v_mul_lo_u32 v29, s8, v6
	s_mov_b64 s[24:25], 0
	v_mov_b32_e32 v31, s19
	v_cmp_ne_u32_e64 s[0:1], 1, v2
	s_mov_b32 s19, 0xd2511f53
	s_mov_b32 s59, 0xf1bbcdc8
	;; [unrolled: 1-line block ×3, first 2 shown]
                                        ; implicit-def: $sgpr26_sgpr27
                                        ; implicit-def: $sgpr28_sgpr29
                                        ; implicit-def: $sgpr30_sgpr31
                                        ; implicit-def: $sgpr22_sgpr23
                                        ; implicit-def: $sgpr34_sgpr35
                                        ; implicit-def: $sgpr36_sgpr37
                                        ; implicit-def: $sgpr38_sgpr39
                                        ; implicit-def: $sgpr40_sgpr41
	s_branch .LBB33_3
.LBB33_2:                               ;   in Loop: Header=BB33_3 Depth=1
	s_or_b64 exec, exec, s[4:5]
	s_and_b64 s[2:3], exec, s[2:3]
	s_or_b64 s[24:25], s[2:3], s[24:25]
	s_andn2_b64 s[2:3], s[22:23], exec
	s_and_b64 s[4:5], s[40:41], exec
	s_or_b64 s[22:23], s[2:3], s[4:5]
	s_andn2_b64 s[2:3], s[30:31], exec
	s_and_b64 s[4:5], s[38:39], exec
	;; [unrolled: 3-line block ×4, first 2 shown]
	s_or_b64 s[26:27], s[2:3], s[4:5]
	s_andn2_b64 exec, exec, s[24:25]
	s_cbranch_execz .LBB33_39
.LBB33_3:                               ; =>This Inner Loop Header: Depth=1
	v_add_u32_e32 v2, s55, v30
	v_cmp_lt_i32_e64 s[2:3], 0, v1
	v_cndmask_b32_e64 v2, 0, v2, s[2:3]
	v_add_u32_e32 v8, s55, v27
	v_lshlrev_b64 v[6:7], 2, v[2:3]
	v_cmp_lt_i32_e64 s[4:5], 1, v1
	v_add_co_u32_e32 v6, vcc, s18, v6
	v_cndmask_b32_e64 v2, 0, v8, s[4:5]
	v_add_u32_e32 v10, s55, v28
	v_addc_co_u32_e32 v7, vcc, v31, v7, vcc
	v_lshlrev_b64 v[8:9], 2, v[2:3]
	v_cmp_lt_i32_e64 s[6:7], 2, v1
	v_add_co_u32_e32 v8, vcc, s18, v8
	v_cndmask_b32_e64 v2, 0, v10, s[6:7]
	v_add_u32_e32 v12, s55, v29
	v_addc_co_u32_e32 v9, vcc, v31, v9, vcc
	v_lshlrev_b64 v[10:11], 2, v[2:3]
	v_cmp_lt_i32_e64 s[8:9], 3, v1
	v_add_co_u32_e32 v10, vcc, s18, v10
	v_cndmask_b32_e64 v2, 0, v12, s[8:9]
	v_addc_co_u32_e32 v11, vcc, v31, v11, vcc
	v_lshlrev_b64 v[12:13], 2, v[2:3]
	v_add_co_u32_e32 v12, vcc, s18, v12
	v_addc_co_u32_e32 v13, vcc, v31, v13, vcc
	global_load_dword v32, v[6:7], off
	global_load_dword v33, v[8:9], off
	;; [unrolled: 1-line block ×4, first 2 shown]
	s_and_b64 vcc, exec, s[0:1]
	v_pk_mov_b32 v[6:7], s[14:15], s[14:15] op_sel:[0,1]
	v_pk_mov_b32 v[8:9], s[12:13], s[12:13] op_sel:[0,1]
	s_cbranch_vccnz .LBB33_5
; %bb.4:                                ;   in Loop: Header=BB33_3 Depth=1
	v_pk_mov_b32 v[6:7], s[14:15], s[14:15] op_sel:[0,1]
	flat_load_dwordx2 v[6:7], v[6:7]
	v_pk_mov_b32 v[8:9], s[12:13], s[12:13] op_sel:[0,1]
	flat_load_dwordx2 v[8:9], v[8:9]
	v_mov_b32_e32 v2, s21
	s_waitcnt vmcnt(0) lgkmcnt(0)
	v_add_co_u32_e32 v6, vcc, s20, v6
	v_addc_co_u32_e32 v7, vcc, v7, v2, vcc
.LBB33_5:                               ;   in Loop: Header=BB33_3 Depth=1
	v_alignbit_b32 v18, v7, v6, 2
	v_lshrrev_b32_e32 v19, 2, v7
	v_xor_b32_e32 v10, v4, v8
	v_and_b32_e32 v2, 3, v6
	v_mad_u64_u32 v[6:7], s[10:11], v18, s19, 0
	v_xor_b32_e32 v10, v10, v19
	v_xor_b32_e32 v7, v7, v9
	v_add_u32_e32 v40, 0xbb67ae85, v9
	v_mad_u64_u32 v[10:11], s[10:11], v10, s19, 0
	v_mad_u64_u32 v[12:13], s[10:11], v7, s54, 0
	v_xor_b32_e32 v11, v40, v11
	v_add_u32_e32 v39, 0x9e3779b9, v8
	v_xor_b32_e32 v7, v0, v13
	v_xor_b32_e32 v11, v11, v6
	v_xor_b32_e32 v7, v7, v39
	v_add_u32_e32 v41, 0x3c6ef372, v8
	v_mad_u64_u32 v[14:15], s[10:11], v11, s54, 0
	v_add_u32_e32 v42, 0x76cf5d0a, v9
	v_mad_u64_u32 v[6:7], s[10:11], v7, s19, 0
	v_xor_b32_e32 v11, v41, v15
	v_xor_b32_e32 v11, v11, v12
	v_xor_b32_e32 v7, v42, v7
	v_xor_b32_e32 v7, v7, v10
	v_add_u32_e32 v44, 0x32370b8f, v9
	v_mad_u64_u32 v[10:11], s[10:11], v11, s19, 0
	v_add_u32_e32 v43, 0xdaa66d2b, v8
	v_mad_u64_u32 v[12:13], s[10:11], v7, s54, 0
	v_xor_b32_e32 v11, v44, v11
	;; [unrolled: 8-line block ×5, first 2 shown]
	v_xor_b32_e32 v11, v11, v12
	v_xor_b32_e32 v7, v50, v7
	;; [unrolled: 1-line block ×3, first 2 shown]
	v_add_u32_e32 v52, 0x1fd5c5a3, v9
	v_mad_u64_u32 v[10:11], s[10:11], v11, s19, 0
	v_xor_b32_e32 v11, v52, v11
	v_xor_b32_e32 v6, v11, v6
	v_add_u32_e32 v51, 0x5384540f, v8
	v_mad_u64_u32 v[16:17], s[10:11], v7, s54, 0
	v_add_co_u32_e32 v37, vcc, s59, v8
	v_mad_u64_u32 v[12:13], s[10:11], v6, s54, 0
	v_xor_b32_e32 v7, v51, v17
	v_xor_b32_e32 v6, v37, v13
	;; [unrolled: 1-line block ×4, first 2 shown]
	v_mad_u64_u32 v[14:15], s[10:11], v7, s19, 0
	v_mad_u64_u32 v[6:7], s[10:11], v6, s19, 0
	v_add_u32_e32 v38, 0x96a522ad, v9
	v_xor_b32_e32 v7, v7, v14
	v_xor_b32_e32 v36, v38, v7
	v_add_co_u32_e32 v7, vcc, 1, v18
	v_cndmask_b32_e64 v14, 0, 1, vcc
	v_addc_co_u32_e32 v20, vcc, 0, v19, vcc
	v_cmp_eq_u32_e32 vcc, 0, v20
	v_cndmask_b32_e32 v14, 0, v14, vcc
	v_add_u32_e32 v18, v14, v5
	v_cmp_eq_u32_e32 vcc, 0, v18
	v_mad_u64_u32 v[16:17], s[10:11], v7, s19, 0
	v_mad_u64_u32 v[18:19], s[10:11], v18, s54, 0
	v_add_u32_e32 v13, 0x8ff34781, v8
	v_cndmask_b32_e32 v14, 0, v14, vcc
	v_xor_b32_e32 v7, v19, v8
	v_xor_b32_e32 v8, v17, v9
	;; [unrolled: 1-line block ×4, first 2 shown]
	v_mad_u64_u32 v[20:21], s[10:11], v14, s54, 0
	v_add_u32_e32 v11, 0xdb3d7428, v9
	v_mad_u64_u32 v[8:9], s[10:11], v7, s19, 0
	v_xor_b32_e32 v7, v39, v21
	v_xor_b32_e32 v7, v7, v18
	v_xor_b32_e32 v9, v40, v9
	v_xor_b32_e32 v9, v9, v16
	v_mad_u64_u32 v[16:17], s[10:11], v7, s19, 0
	v_mad_u64_u32 v[18:19], s[10:11], v9, s54, 0
	v_xor_b32_e32 v9, v42, v17
	v_xor_b32_e32 v7, v41, v19
	v_xor_b32_e32 v14, v9, v8
	v_xor_b32_e32 v7, v7, v20
	v_mad_u64_u32 v[20:21], s[10:11], v14, s54, 0
	;; [unrolled: 6-line block ×7, first 2 shown]
	v_xor_b32_e32 v7, v11, v19
	v_xor_b32_e32 v7, v7, v8
	v_mad_u64_u32 v[20:21], s[10:11], v9, s54, 0
	v_mad_u64_u32 v[8:9], s[10:11], v7, s54, 0
	v_xor_b32_e32 v7, v9, v20
	v_xor_b32_e32 v7, v13, v7
	v_cmp_lt_i32_e32 vcc, 1, v2
                                        ; implicit-def: $vgpr17
	s_and_saveexec_b64 s[10:11], vcc
	s_xor_b64 s[10:11], exec, s[10:11]
	s_cbranch_execz .LBB33_11
; %bb.6:                                ;   in Loop: Header=BB33_3 Depth=1
	v_cmp_lt_i32_e32 vcc, 2, v2
                                        ; implicit-def: $vgpr17
	s_and_saveexec_b64 s[42:43], vcc
	s_xor_b64 s[42:43], exec, s[42:43]
; %bb.7:                                ;   in Loop: Header=BB33_3 Depth=1
	v_xor_b32_e32 v2, v37, v21
	v_xor_b32_e32 v2, v2, v16
	v_mul_hi_u32 v2, v2, s19
	v_xor_b32_e32 v2, v2, v18
	v_xor_b32_e32 v17, v38, v2
                                        ; implicit-def: $vgpr36
; %bb.8:                                ;   in Loop: Header=BB33_3 Depth=1
	s_andn2_saveexec_b64 s[42:43], s[42:43]
; %bb.9:                                ;   in Loop: Header=BB33_3 Depth=1
	v_mov_b32_e32 v17, v8
	v_mov_b32_e32 v8, v7
	;; [unrolled: 1-line block ×4, first 2 shown]
; %bb.10:                               ;   in Loop: Header=BB33_3 Depth=1
	s_or_b64 exec, exec, s[42:43]
                                        ; implicit-def: $vgpr10_vgpr11
                                        ; implicit-def: $vgpr12_vgpr13
                                        ; implicit-def: $vgpr2
                                        ; implicit-def: $vgpr36
                                        ; implicit-def: $vgpr14_vgpr15
                                        ; implicit-def: $vgpr11
                                        ; implicit-def: $vgpr13
.LBB33_11:                              ;   in Loop: Header=BB33_3 Depth=1
	s_andn2_saveexec_b64 s[10:11], s[10:11]
	s_cbranch_execz .LBB33_15
; %bb.12:                               ;   in Loop: Header=BB33_3 Depth=1
	v_xor_b32_e32 v8, v11, v15
	v_xor_b32_e32 v8, v8, v10
	v_mad_u64_u32 v[10:11], s[42:43], v8, s54, 0
	v_xor_b32_e32 v8, v11, v12
	v_xor_b32_e32 v9, v13, v8
	v_cmp_eq_u32_e32 vcc, 1, v2
	v_mov_b32_e32 v17, v6
	v_mov_b32_e32 v8, v36
	v_mov_b32_e32 v2, v10
	s_and_saveexec_b64 s[42:43], vcc
; %bb.13:                               ;   in Loop: Header=BB33_3 Depth=1
	v_mov_b32_e32 v17, v7
	v_mov_b32_e32 v8, v6
	;; [unrolled: 1-line block ×4, first 2 shown]
; %bb.14:                               ;   in Loop: Header=BB33_3 Depth=1
	s_or_b64 exec, exec, s[42:43]
	v_mov_b32_e32 v6, v9
	v_mov_b32_e32 v7, v2
.LBB33_15:                              ;   in Loop: Header=BB33_3 Depth=1
	s_or_b64 exec, exec, s[10:11]
	v_min_i32_e32 v9, 4, v1
	v_cmp_lt_i32_e32 vcc, 2, v9
	s_mov_b64 s[42:43], 0
	s_mov_b64 s[50:51], 0
                                        ; implicit-def: $sgpr10_sgpr11
                                        ; implicit-def: $sgpr44_sgpr45
                                        ; implicit-def: $sgpr46_sgpr47
	s_and_saveexec_b64 s[48:49], vcc
	s_xor_b64 s[48:49], exec, s[48:49]
	s_cbranch_execz .LBB33_25
; %bb.16:                               ;   in Loop: Header=BB33_3 Depth=1
	v_cmp_lt_i32_e32 vcc, 3, v9
	s_mov_b64 s[46:47], -1
                                        ; implicit-def: $sgpr10_sgpr11
                                        ; implicit-def: $sgpr50_sgpr51
	s_and_saveexec_b64 s[44:45], vcc
	s_cbranch_execz .LBB33_20
; %bb.17:                               ;   in Loop: Header=BB33_3 Depth=1
	s_waitcnt vmcnt(0)
	v_cmp_le_f32_e32 vcc, 0, v35
	v_cmp_ge_f32_e64 s[10:11], 1.0, v35
	s_and_b64 s[52:53], vcc, s[10:11]
	s_mov_b64 s[10:11], 0
	s_mov_b64 s[46:47], 0
	s_and_saveexec_b64 s[50:51], s[52:53]
	s_cbranch_execz .LBB33_19
; %bb.18:                               ;   in Loop: Header=BB33_3 Depth=1
	v_cvt_f32_u32_e32 v2, v17
	v_mov_b32_e32 v12, 0x2f800000
	v_add_u32_e32 v10, s60, v25
	s_mov_b64 s[46:47], exec
	v_fmac_f32_e32 v12, 0x2f800000, v2
	v_cndmask_b32_e64 v2, 0, v10, s[8:9]
	v_lshlrev_b64 v[10:11], 2, v[2:3]
	v_mov_b32_e32 v2, s17
	v_add_co_u32_e32 v10, vcc, s16, v10
	v_addc_co_u32_e32 v11, vcc, v2, v11, vcc
	v_cmp_le_f32_e32 vcc, v12, v35
	v_cndmask_b32_e64 v2, 0, 1, vcc
	global_store_dword v[10:11], v2, off
.LBB33_19:                              ;   in Loop: Header=BB33_3 Depth=1
	s_or_b64 exec, exec, s[50:51]
	s_mov_b64 s[50:51], -1
	s_orn2_b64 s[46:47], s[46:47], exec
.LBB33_20:                              ;   in Loop: Header=BB33_3 Depth=1
	s_or_b64 exec, exec, s[44:45]
	s_mov_b64 s[8:9], 0
	s_mov_b64 s[52:53], s[10:11]
	s_and_saveexec_b64 s[44:45], s[46:47]
	s_cbranch_execz .LBB33_24
; %bb.21:                               ;   in Loop: Header=BB33_3 Depth=1
	s_waitcnt vmcnt(1)
	v_cmp_le_f32_e32 vcc, 0, v34
	v_cmp_ge_f32_e64 s[8:9], 1.0, v34
	s_and_b64 s[46:47], vcc, s[8:9]
	s_mov_b64 s[8:9], 0
	s_and_saveexec_b64 s[52:53], s[46:47]
	s_xor_b64 s[46:47], exec, s[52:53]
	s_cbranch_execz .LBB33_23
; %bb.22:                               ;   in Loop: Header=BB33_3 Depth=1
	v_cvt_f32_u32_e32 v2, v8
	v_mov_b32_e32 v8, 0x2f800000
	v_add_u32_e32 v10, s60, v24
	s_mov_b64 s[8:9], exec
	v_fmac_f32_e32 v8, 0x2f800000, v2
	v_cndmask_b32_e64 v2, 0, v10, s[6:7]
	v_lshlrev_b64 v[10:11], 2, v[2:3]
	v_mov_b32_e32 v2, s17
	v_add_co_u32_e32 v10, vcc, s16, v10
	v_addc_co_u32_e32 v11, vcc, v2, v11, vcc
	v_cmp_le_f32_e32 vcc, v8, v34
	v_cndmask_b32_e64 v2, 0, 1, vcc
	global_store_dword v[10:11], v2, off
.LBB33_23:                              ;   in Loop: Header=BB33_3 Depth=1
	s_or_b64 exec, exec, s[46:47]
	s_andn2_b64 s[52:53], s[10:11], exec
	s_or_b64 s[10:11], s[10:11], exec
	s_andn2_b64 s[50:51], s[50:51], exec
	s_and_b64 s[8:9], s[8:9], exec
.LBB33_24:                              ;   in Loop: Header=BB33_3 Depth=1
	s_or_b64 exec, exec, s[44:45]
	s_and_b64 s[46:47], s[52:53], exec
	s_and_b64 s[44:45], s[10:11], exec
	;; [unrolled: 1-line block ×4, first 2 shown]
.LBB33_25:                              ;   in Loop: Header=BB33_3 Depth=1
	s_andn2_saveexec_b64 s[6:7], s[48:49]
; %bb.26:                               ;   in Loop: Header=BB33_3 Depth=1
	v_cmp_lt_i32_e32 vcc, 1, v9
	s_andn2_b64 s[8:9], s[50:51], exec
	s_and_b64 s[48:49], vcc, exec
	s_mov_b64 s[42:43], exec
	s_andn2_b64 s[46:47], s[46:47], exec
	s_andn2_b64 s[44:45], s[44:45], exec
	;; [unrolled: 1-line block ×3, first 2 shown]
	s_or_b64 s[50:51], s[8:9], s[48:49]
; %bb.27:                               ;   in Loop: Header=BB33_3 Depth=1
	s_or_b64 exec, exec, s[6:7]
	s_mov_b64 s[8:9], 0
	s_mov_b64 s[48:49], 0
	;; [unrolled: 1-line block ×3, first 2 shown]
	s_and_saveexec_b64 s[52:53], s[50:51]
	s_cbranch_execnz .LBB33_30
; %bb.28:                               ;   in Loop: Header=BB33_3 Depth=1
	s_or_b64 exec, exec, s[52:53]
	s_and_saveexec_b64 s[4:5], s[42:43]
	s_cbranch_execnz .LBB33_33
.LBB33_29:                              ;   in Loop: Header=BB33_3 Depth=1
	s_or_b64 exec, exec, s[4:5]
	s_and_saveexec_b64 s[42:43], s[48:49]
	s_cbranch_execnz .LBB33_34
	s_branch .LBB33_37
.LBB33_30:                              ;   in Loop: Header=BB33_3 Depth=1
	s_waitcnt vmcnt(2)
	v_cmp_le_f32_e32 vcc, 0, v33
	v_cmp_ge_f32_e64 s[6:7], 1.0, v33
	s_and_b64 s[6:7], vcc, s[6:7]
	s_and_saveexec_b64 s[50:51], s[6:7]
	s_xor_b64 s[6:7], exec, s[50:51]
	s_cbranch_execz .LBB33_32
; %bb.31:                               ;   in Loop: Header=BB33_3 Depth=1
	v_cvt_f32_u32_e32 v2, v7
	v_mov_b32_e32 v7, 0x2f800000
	v_add_u32_e32 v8, s60, v23
	s_mov_b64 s[48:49], exec
	v_fmac_f32_e32 v7, 0x2f800000, v2
	v_cndmask_b32_e64 v2, 0, v8, s[4:5]
	v_lshlrev_b64 v[10:11], 2, v[2:3]
	v_mov_b32_e32 v2, s17
	v_add_co_u32_e32 v10, vcc, s16, v10
	v_addc_co_u32_e32 v11, vcc, v2, v11, vcc
	v_cmp_le_f32_e32 vcc, v7, v33
	v_cndmask_b32_e64 v2, 0, 1, vcc
	global_store_dword v[10:11], v2, off
.LBB33_32:                              ;   in Loop: Header=BB33_3 Depth=1
	s_or_b64 exec, exec, s[6:7]
	s_andn2_b64 s[6:7], s[46:47], exec
	s_or_b64 s[46:47], s[46:47], exec
	s_andn2_b64 s[44:45], s[44:45], exec
	s_andn2_b64 s[10:11], s[10:11], exec
	s_and_b64 s[48:49], s[48:49], exec
	s_andn2_b64 s[42:43], s[42:43], exec
	s_or_b64 exec, exec, s[52:53]
	s_and_saveexec_b64 s[4:5], s[42:43]
	s_cbranch_execz .LBB33_29
.LBB33_33:                              ;   in Loop: Header=BB33_3 Depth=1
	v_cmp_eq_u32_e32 vcc, 1, v9
	s_andn2_b64 s[42:43], s[48:49], exec
	s_and_b64 s[48:49], vcc, exec
	s_mov_b64 s[8:9], exec
	s_andn2_b64 s[6:7], s[6:7], exec
	s_andn2_b64 s[46:47], s[46:47], exec
	;; [unrolled: 1-line block ×4, first 2 shown]
	s_or_b64 s[48:49], s[42:43], s[48:49]
	s_or_b64 exec, exec, s[4:5]
	s_and_saveexec_b64 s[42:43], s[48:49]
	s_cbranch_execz .LBB33_37
.LBB33_34:                              ;   in Loop: Header=BB33_3 Depth=1
	s_waitcnt vmcnt(3)
	v_cmp_le_f32_e32 vcc, 0, v32
	v_cmp_ge_f32_e64 s[4:5], 1.0, v32
	s_and_b64 s[50:51], vcc, s[4:5]
	s_mov_b64 s[4:5], 0
	s_and_saveexec_b64 s[48:49], s[50:51]
	s_cbranch_execz .LBB33_36
; %bb.35:                               ;   in Loop: Header=BB33_3 Depth=1
	v_cvt_f32_u32_e32 v2, v6
	v_mov_b32_e32 v8, 0x2f800000
	v_add_u32_e32 v6, s60, v26
	s_mov_b64 s[4:5], exec
	v_fmac_f32_e32 v8, 0x2f800000, v2
	v_cndmask_b32_e64 v2, 0, v6, s[2:3]
	v_lshlrev_b64 v[6:7], 2, v[2:3]
	v_mov_b32_e32 v2, s17
	v_add_co_u32_e32 v6, vcc, s16, v6
	v_addc_co_u32_e32 v7, vcc, v2, v7, vcc
	v_cmp_le_f32_e32 vcc, v8, v32
	v_cndmask_b32_e64 v2, 0, 1, vcc
	global_store_dword v[6:7], v2, off
.LBB33_36:                              ;   in Loop: Header=BB33_3 Depth=1
	s_or_b64 exec, exec, s[48:49]
	s_andn2_b64 s[2:3], s[8:9], exec
	s_and_b64 s[4:5], s[4:5], exec
	s_or_b64 s[6:7], s[6:7], exec
	s_andn2_b64 s[46:47], s[46:47], exec
	s_andn2_b64 s[44:45], s[44:45], exec
	;; [unrolled: 1-line block ×3, first 2 shown]
	s_or_b64 s[8:9], s[2:3], s[4:5]
.LBB33_37:                              ;   in Loop: Header=BB33_3 Depth=1
	s_or_b64 exec, exec, s[42:43]
	s_andn2_b64 s[4:5], s[40:41], exec
	s_and_b64 s[6:7], s[6:7], exec
	s_or_b64 s[40:41], s[4:5], s[6:7]
	s_andn2_b64 s[4:5], s[38:39], exec
	s_and_b64 s[6:7], s[46:47], exec
	s_or_b64 s[38:39], s[4:5], s[6:7]
	;; [unrolled: 3-line block ×3, first 2 shown]
	s_andn2_b64 s[4:5], s[34:35], exec
	s_and_b64 s[6:7], s[10:11], exec
	s_mov_b64 s[2:3], -1
	s_or_b64 s[34:35], s[4:5], s[6:7]
	s_and_saveexec_b64 s[4:5], s[8:9]
	s_cbranch_execz .LBB33_2
; %bb.38:                               ;   in Loop: Header=BB33_3 Depth=1
	v_add_u32_e32 v22, s56, v22
	v_cmp_le_u32_e32 vcc, s33, v22
	v_subrev_u32_e32 v1, s56, v1
	s_add_i32 s60, s60, s57
	s_add_i32 s55, s55, s58
	s_andn2_b64 s[40:41], s[40:41], exec
	s_andn2_b64 s[38:39], s[38:39], exec
	;; [unrolled: 1-line block ×4, first 2 shown]
	s_orn2_b64 s[2:3], vcc, exec
	s_branch .LBB33_2
.LBB33_39:
	s_or_b64 exec, exec, s[24:25]
	s_xor_b64 s[6:7], s[30:31], -1
	s_xor_b64 s[8:9], s[28:29], -1
	;; [unrolled: 1-line block ×3, first 2 shown]
	s_mov_b64 s[2:3], 0
	s_and_saveexec_b64 s[4:5], s[0:1]
	s_xor_b64 s[0:1], exec, s[4:5]
	s_cbranch_execnz .LBB33_44
; %bb.40:
	s_andn2_saveexec_b64 s[0:1], s[0:1]
	s_cbranch_execnz .LBB33_52
.LBB33_41:
	s_or_b64 exec, exec, s[0:1]
	s_and_b64 exec, exec, s[2:3]
.LBB33_42:
	; divergent unreachable
.LBB33_43:
	s_endpgm
.LBB33_44:
	s_mov_b64 s[4:5], 0
	s_and_saveexec_b64 s[2:3], s[8:9]
	s_xor_b64 s[2:3], exec, s[2:3]
	s_cbranch_execz .LBB33_50
; %bb.45:
	s_and_saveexec_b64 s[8:9], s[6:7]
	s_xor_b64 s[6:7], exec, s[8:9]
	s_cbranch_execz .LBB33_48
; %bb.46:
	s_and_saveexec_b64 s[8:9], s[22:23]
	s_xor_b64 s[8:9], exec, s[8:9]
	s_cbranch_execnz .LBB33_55
.LBB33_47:
	s_or_b64 exec, exec, s[8:9]
	s_and_b64 s[4:5], s[4:5], exec
.LBB33_48:
	s_andn2_saveexec_b64 s[6:7], s[6:7]
	s_cbranch_execnz .LBB33_54
.LBB33_49:
	s_or_b64 exec, exec, s[6:7]
	s_and_b64 s[4:5], s[4:5], exec
.LBB33_50:
	s_andn2_saveexec_b64 s[2:3], s[2:3]
	s_cbranch_execnz .LBB33_53
.LBB33_51:
	s_or_b64 exec, exec, s[2:3]
	s_and_b64 s[2:3], s[4:5], exec
	s_andn2_saveexec_b64 s[0:1], s[0:1]
	s_cbranch_execz .LBB33_41
.LBB33_52:
	s_or_b64 s[2:3], s[2:3], exec
	s_trap 2
	s_or_b64 exec, exec, s[0:1]
	s_and_b64 exec, exec, s[2:3]
	s_cbranch_execnz .LBB33_42
	s_branch .LBB33_43
.LBB33_53:
	s_or_b64 s[4:5], s[4:5], exec
	s_trap 2
	s_branch .LBB33_51
.LBB33_54:
	s_trap 2
	s_or_b64 s[4:5], s[4:5], exec
	s_branch .LBB33_49
.LBB33_55:
	s_mov_b64 s[4:5], exec
	s_trap 2
	s_branch .LBB33_47
	.section	.rodata,"a",@progbits
	.p2align	6, 0x0
	.amdhsa_kernel _ZN2at4cuda12_GLOBAL__N_121kernelPointwiseApply2IZNS_6native9templates4cuda28bernoulli_tensor_cuda_kernelIifEEvRKNS_10TensorBaseES9_NS_15PhiloxCudaStateEEUliRiSB_SB_SB_RKfSD_SD_SD_E_iSC_jLi1ELi1ELi4ELi512ELi2EEEvNS0_6detail10TensorInfoIT0_T2_EENSG_IT1_SI_EESI_T_
		.amdhsa_group_segment_fixed_size 0
		.amdhsa_private_segment_fixed_size 0
		.amdhsa_kernarg_size 728
		.amdhsa_user_sgpr_count 6
		.amdhsa_user_sgpr_private_segment_buffer 1
		.amdhsa_user_sgpr_dispatch_ptr 0
		.amdhsa_user_sgpr_queue_ptr 0
		.amdhsa_user_sgpr_kernarg_segment_ptr 1
		.amdhsa_user_sgpr_dispatch_id 0
		.amdhsa_user_sgpr_flat_scratch_init 0
		.amdhsa_user_sgpr_kernarg_preload_length 0
		.amdhsa_user_sgpr_kernarg_preload_offset 0
		.amdhsa_user_sgpr_private_segment_size 0
		.amdhsa_uses_dynamic_stack 0
		.amdhsa_system_sgpr_private_segment_wavefront_offset 0
		.amdhsa_system_sgpr_workgroup_id_x 1
		.amdhsa_system_sgpr_workgroup_id_y 0
		.amdhsa_system_sgpr_workgroup_id_z 0
		.amdhsa_system_sgpr_workgroup_info 0
		.amdhsa_system_vgpr_workitem_id 0
		.amdhsa_next_free_vgpr 53
		.amdhsa_next_free_sgpr 61
		.amdhsa_accum_offset 56
		.amdhsa_reserve_vcc 1
		.amdhsa_reserve_flat_scratch 0
		.amdhsa_float_round_mode_32 0
		.amdhsa_float_round_mode_16_64 0
		.amdhsa_float_denorm_mode_32 3
		.amdhsa_float_denorm_mode_16_64 3
		.amdhsa_dx10_clamp 1
		.amdhsa_ieee_mode 1
		.amdhsa_fp16_overflow 0
		.amdhsa_tg_split 0
		.amdhsa_exception_fp_ieee_invalid_op 0
		.amdhsa_exception_fp_denorm_src 0
		.amdhsa_exception_fp_ieee_div_zero 0
		.amdhsa_exception_fp_ieee_overflow 0
		.amdhsa_exception_fp_ieee_underflow 0
		.amdhsa_exception_fp_ieee_inexact 0
		.amdhsa_exception_int_div_zero 0
	.end_amdhsa_kernel
	.section	.text._ZN2at4cuda12_GLOBAL__N_121kernelPointwiseApply2IZNS_6native9templates4cuda28bernoulli_tensor_cuda_kernelIifEEvRKNS_10TensorBaseES9_NS_15PhiloxCudaStateEEUliRiSB_SB_SB_RKfSD_SD_SD_E_iSC_jLi1ELi1ELi4ELi512ELi2EEEvNS0_6detail10TensorInfoIT0_T2_EENSG_IT1_SI_EESI_T_,"axG",@progbits,_ZN2at4cuda12_GLOBAL__N_121kernelPointwiseApply2IZNS_6native9templates4cuda28bernoulli_tensor_cuda_kernelIifEEvRKNS_10TensorBaseES9_NS_15PhiloxCudaStateEEUliRiSB_SB_SB_RKfSD_SD_SD_E_iSC_jLi1ELi1ELi4ELi512ELi2EEEvNS0_6detail10TensorInfoIT0_T2_EENSG_IT1_SI_EESI_T_,comdat
.Lfunc_end33:
	.size	_ZN2at4cuda12_GLOBAL__N_121kernelPointwiseApply2IZNS_6native9templates4cuda28bernoulli_tensor_cuda_kernelIifEEvRKNS_10TensorBaseES9_NS_15PhiloxCudaStateEEUliRiSB_SB_SB_RKfSD_SD_SD_E_iSC_jLi1ELi1ELi4ELi512ELi2EEEvNS0_6detail10TensorInfoIT0_T2_EENSG_IT1_SI_EESI_T_, .Lfunc_end33-_ZN2at4cuda12_GLOBAL__N_121kernelPointwiseApply2IZNS_6native9templates4cuda28bernoulli_tensor_cuda_kernelIifEEvRKNS_10TensorBaseES9_NS_15PhiloxCudaStateEEUliRiSB_SB_SB_RKfSD_SD_SD_E_iSC_jLi1ELi1ELi4ELi512ELi2EEEvNS0_6detail10TensorInfoIT0_T2_EENSG_IT1_SI_EESI_T_
                                        ; -- End function
	.section	.AMDGPU.csdata,"",@progbits
; Kernel info:
; codeLenInByte = 2652
; NumSgprs: 65
; NumVgprs: 53
; NumAgprs: 0
; TotalNumVgprs: 53
; ScratchSize: 0
; MemoryBound: 0
; FloatMode: 240
; IeeeMode: 1
; LDSByteSize: 0 bytes/workgroup (compile time only)
; SGPRBlocks: 8
; VGPRBlocks: 6
; NumSGPRsForWavesPerEU: 65
; NumVGPRsForWavesPerEU: 53
; AccumOffset: 56
; Occupancy: 8
; WaveLimiterHint : 1
; COMPUTE_PGM_RSRC2:SCRATCH_EN: 0
; COMPUTE_PGM_RSRC2:USER_SGPR: 6
; COMPUTE_PGM_RSRC2:TRAP_HANDLER: 0
; COMPUTE_PGM_RSRC2:TGID_X_EN: 1
; COMPUTE_PGM_RSRC2:TGID_Y_EN: 0
; COMPUTE_PGM_RSRC2:TGID_Z_EN: 0
; COMPUTE_PGM_RSRC2:TIDIG_COMP_CNT: 0
; COMPUTE_PGM_RSRC3_GFX90A:ACCUM_OFFSET: 13
; COMPUTE_PGM_RSRC3_GFX90A:TG_SPLIT: 0
	.section	.text._ZN2at4cuda12_GLOBAL__N_121kernelPointwiseApply2IZNS_6native9templates4cuda28bernoulli_tensor_cuda_kernelIifEEvRKNS_10TensorBaseES9_NS_15PhiloxCudaStateEEUliRiSB_SB_SB_RKfSD_SD_SD_E_iSC_jLi1ELi2ELi4ELi512ELi2EEEvNS0_6detail10TensorInfoIT0_T2_EENSG_IT1_SI_EESI_T_,"axG",@progbits,_ZN2at4cuda12_GLOBAL__N_121kernelPointwiseApply2IZNS_6native9templates4cuda28bernoulli_tensor_cuda_kernelIifEEvRKNS_10TensorBaseES9_NS_15PhiloxCudaStateEEUliRiSB_SB_SB_RKfSD_SD_SD_E_iSC_jLi1ELi2ELi4ELi512ELi2EEEvNS0_6detail10TensorInfoIT0_T2_EENSG_IT1_SI_EESI_T_,comdat
	.globl	_ZN2at4cuda12_GLOBAL__N_121kernelPointwiseApply2IZNS_6native9templates4cuda28bernoulli_tensor_cuda_kernelIifEEvRKNS_10TensorBaseES9_NS_15PhiloxCudaStateEEUliRiSB_SB_SB_RKfSD_SD_SD_E_iSC_jLi1ELi2ELi4ELi512ELi2EEEvNS0_6detail10TensorInfoIT0_T2_EENSG_IT1_SI_EESI_T_ ; -- Begin function _ZN2at4cuda12_GLOBAL__N_121kernelPointwiseApply2IZNS_6native9templates4cuda28bernoulli_tensor_cuda_kernelIifEEvRKNS_10TensorBaseES9_NS_15PhiloxCudaStateEEUliRiSB_SB_SB_RKfSD_SD_SD_E_iSC_jLi1ELi2ELi4ELi512ELi2EEEvNS0_6detail10TensorInfoIT0_T2_EENSG_IT1_SI_EESI_T_
	.p2align	8
	.type	_ZN2at4cuda12_GLOBAL__N_121kernelPointwiseApply2IZNS_6native9templates4cuda28bernoulli_tensor_cuda_kernelIifEEvRKNS_10TensorBaseES9_NS_15PhiloxCudaStateEEUliRiSB_SB_SB_RKfSD_SD_SD_E_iSC_jLi1ELi2ELi4ELi512ELi2EEEvNS0_6detail10TensorInfoIT0_T2_EENSG_IT1_SI_EESI_T_,@function
_ZN2at4cuda12_GLOBAL__N_121kernelPointwiseApply2IZNS_6native9templates4cuda28bernoulli_tensor_cuda_kernelIifEEvRKNS_10TensorBaseES9_NS_15PhiloxCudaStateEEUliRiSB_SB_SB_RKfSD_SD_SD_E_iSC_jLi1ELi2ELi4ELi512ELi2EEEvNS0_6detail10TensorInfoIT0_T2_EENSG_IT1_SI_EESI_T_: ; @_ZN2at4cuda12_GLOBAL__N_121kernelPointwiseApply2IZNS_6native9templates4cuda28bernoulli_tensor_cuda_kernelIifEEvRKNS_10TensorBaseES9_NS_15PhiloxCudaStateEEUliRiSB_SB_SB_RKfSD_SD_SD_E_iSC_jLi1ELi2ELi4ELi512ELi2EEEvNS0_6detail10TensorInfoIT0_T2_EENSG_IT1_SI_EESI_T_
; %bb.0:
	s_load_dword s2, s[4:5], 0x1e4
	s_load_dword s33, s[4:5], 0x1b0
	s_add_u32 s0, s4, 0x1d8
	s_addc_u32 s1, s5, 0
	s_waitcnt lgkmcnt(0)
	s_and_b32 s2, s2, 0xffff
	s_mul_i32 s6, s6, s2
	v_add_u32_e32 v1, s6, v0
	v_lshlrev_b32_e32 v0, 2, v1
	v_cmp_gt_u32_e32 vcc, s33, v0
	s_and_saveexec_b64 s[6:7], vcc
	s_cbranch_execz .LBB34_51
; %bb.1:
	s_load_dwordx2 s[12:13], s[4:5], 0x0
	s_load_dword s3, s[4:5], 0x6c
	s_load_dwordx2 s[14:15], s[4:5], 0xd8
	s_load_dword s56, s[4:5], 0xe4
	s_load_dword s6, s[0:1], 0x0
	s_load_dwordx2 s[16:17], s[4:5], 0x1c8
	s_load_dword s7, s[4:5], 0x1d0
	s_load_dwordx2 s[18:19], s[4:5], 0x144
	s_load_dwordx4 s[8:11], s[4:5], 0x1b8
	s_waitcnt lgkmcnt(0)
	v_cvt_f32_u32_e32 v2, s56
	s_mov_b32 s57, 0xcd9e8d57
	s_bitcmp1_b32 s7, 0
	s_cselect_b64 s[22:23], -1, 0
	v_rcp_iflag_f32_e32 v4, v2
	v_mad_u64_u32 v[2:3], s[0:1], v1, s57, 0
	s_sub_i32 s60, 0, s56
	v_mul_f32_e32 v4, 0x4f7ffffe, v4
	v_cvt_u32_f32_e32 v4, v4
	v_mov_b32_e32 v6, v3
	s_mul_i32 s6, s6, s2
	s_lshl_b32 s59, s6, 2
	v_mul_lo_u32 v3, s60, v4
	v_mul_hi_u32 v3, v4, v3
	v_add_u32_e32 v3, v4, v3
	v_add_u32_e32 v4, 2, v0
	v_mul_lo_u32 v26, v0, s3
	v_mul_lo_u32 v28, s3, v4
	v_add_u32_e32 v4, 3, v0
	s_mov_b32 s58, 0
	v_mov_b32_e32 v5, 0
	v_sub_u32_e32 v7, s33, v0
	v_add_u32_e32 v27, s3, v26
	s_mul_i32 s61, s59, s3
	v_mul_lo_u32 v29, s3, v4
	s_mov_b64 s[24:25], 0
	s_mov_b32 s62, 0xd2511f53
	s_mov_b32 s63, 0xf1bbcdc8
                                        ; implicit-def: $sgpr26_sgpr27
                                        ; implicit-def: $sgpr28_sgpr29
                                        ; implicit-def: $sgpr30_sgpr31
                                        ; implicit-def: $sgpr20_sgpr21
                                        ; implicit-def: $sgpr34_sgpr35
                                        ; implicit-def: $sgpr36_sgpr37
                                        ; implicit-def: $sgpr38_sgpr39
                                        ; implicit-def: $sgpr40_sgpr41
	s_branch .LBB34_3
.LBB34_2:                               ;   in Loop: Header=BB34_3 Depth=1
	s_or_b64 exec, exec, s[2:3]
	s_and_b64 s[0:1], exec, s[0:1]
	s_or_b64 s[24:25], s[0:1], s[24:25]
	s_andn2_b64 s[0:1], s[20:21], exec
	s_and_b64 s[2:3], s[40:41], exec
	s_or_b64 s[20:21], s[0:1], s[2:3]
	s_andn2_b64 s[0:1], s[30:31], exec
	s_and_b64 s[2:3], s[38:39], exec
	;; [unrolled: 3-line block ×4, first 2 shown]
	s_or_b64 s[26:27], s[0:1], s[2:3]
	s_andn2_b64 exec, exec, s[24:25]
	s_cbranch_execz .LBB34_47
.LBB34_3:                               ; =>This Inner Loop Header: Depth=1
	v_pk_mov_b32 v[8:9], 0, 0
	v_cmp_lt_i32_e64 s[0:1], 0, v7
	v_pk_mov_b32 v[12:13], v[8:9], v[8:9] op_sel:[0,1]
	s_and_saveexec_b64 s[2:3], s[0:1]
	s_cbranch_execz .LBB34_5
; %bb.4:                                ;   in Loop: Header=BB34_3 Depth=1
	s_waitcnt vmcnt(0)
	v_mul_hi_u32 v4, v3, v0
	v_not_b32_e32 v12, v4
	v_mad_u64_u32 v[10:11], s[4:5], s60, v4, v[0:1]
	v_add_u32_e32 v11, 1, v4
	v_cmp_le_u32_e32 vcc, s56, v10
	v_mad_u64_u32 v[12:13], s[4:5], s56, v12, v[0:1]
	v_cndmask_b32_e32 v4, v4, v11, vcc
	v_cndmask_b32_e32 v10, v10, v12, vcc
	v_add_u32_e32 v11, 1, v4
	v_cmp_le_u32_e32 vcc, s56, v10
	v_cndmask_b32_e32 v12, v4, v11, vcc
	v_mad_u64_u32 v[10:11], s[4:5], s60, v12, v[0:1]
	v_mul_lo_u32 v4, v10, s19
	v_mad_u64_u32 v[12:13], s[4:5], v12, s18, v[4:5]
	v_mov_b32_e32 v13, v5
.LBB34_5:                               ;   in Loop: Header=BB34_3 Depth=1
	s_or_b64 exec, exec, s[2:3]
	v_cmp_lt_i32_e64 s[2:3], 1, v7
	s_and_saveexec_b64 s[4:5], s[2:3]
	s_cbranch_execz .LBB34_7
; %bb.6:                                ;   in Loop: Header=BB34_3 Depth=1
	s_waitcnt vmcnt(0)
	v_add_u32_e32 v4, 1, v0
	v_mul_hi_u32 v8, v4, v3
	v_mul_lo_u32 v9, v8, s56
	v_sub_u32_e32 v9, v4, v9
	v_add_u32_e32 v10, 1, v8
	v_cmp_le_u32_e32 vcc, s56, v9
	v_cndmask_b32_e32 v8, v8, v10, vcc
	v_subrev_u32_e32 v10, s56, v9
	v_cndmask_b32_e32 v9, v9, v10, vcc
	v_add_u32_e32 v10, 1, v8
	v_cmp_le_u32_e32 vcc, s56, v9
	v_cndmask_b32_e32 v8, v8, v10, vcc
	v_mul_lo_u32 v9, v8, s56
	v_sub_u32_e32 v4, v4, v9
	v_mul_lo_u32 v4, v4, s19
	v_mad_u64_u32 v[8:9], s[6:7], v8, s18, v[4:5]
	v_mov_b32_e32 v9, v5
.LBB34_7:                               ;   in Loop: Header=BB34_3 Depth=1
	s_or_b64 exec, exec, s[4:5]
	v_pk_mov_b32 v[10:11], 0, 0
	v_cmp_lt_i32_e64 s[4:5], 2, v7
	v_pk_mov_b32 v[14:15], v[10:11], v[10:11] op_sel:[0,1]
	s_and_saveexec_b64 s[6:7], s[4:5]
	s_cbranch_execz .LBB34_9
; %bb.8:                                ;   in Loop: Header=BB34_3 Depth=1
	s_waitcnt vmcnt(0)
	v_add_u32_e32 v4, 2, v0
	v_mul_hi_u32 v14, v4, v3
	v_mul_lo_u32 v15, v14, s56
	v_sub_u32_e32 v15, v4, v15
	v_add_u32_e32 v16, 1, v14
	v_cmp_le_u32_e32 vcc, s56, v15
	v_cndmask_b32_e32 v14, v14, v16, vcc
	v_subrev_u32_e32 v16, s56, v15
	v_cndmask_b32_e32 v15, v15, v16, vcc
	v_add_u32_e32 v16, 1, v14
	v_cmp_le_u32_e32 vcc, s56, v15
	v_cndmask_b32_e32 v14, v14, v16, vcc
	v_mul_lo_u32 v15, v14, s56
	v_sub_u32_e32 v4, v4, v15
	v_mul_lo_u32 v4, v4, s19
	v_mad_u64_u32 v[14:15], s[42:43], v14, s18, v[4:5]
	v_mov_b32_e32 v15, v5
.LBB34_9:                               ;   in Loop: Header=BB34_3 Depth=1
	s_or_b64 exec, exec, s[6:7]
	v_cmp_lt_i32_e32 vcc, 3, v7
	v_pk_mov_b32 v[16:17], v[10:11], v[10:11] op_sel:[0,1]
	s_and_saveexec_b64 s[6:7], vcc
	s_cbranch_execz .LBB34_11
; %bb.10:                               ;   in Loop: Header=BB34_3 Depth=1
	v_add_u32_e32 v10, 3, v0
	v_mul_hi_u32 v11, v10, v3
	v_mul_lo_u32 v16, v11, s56
	v_sub_u32_e32 v16, v10, v16
	v_add_u32_e32 v17, 1, v11
	v_cmp_le_u32_e32 vcc, s56, v16
	v_cndmask_b32_e32 v11, v11, v17, vcc
	v_subrev_u32_e32 v17, s56, v16
	v_cndmask_b32_e32 v16, v16, v17, vcc
	v_add_u32_e32 v17, 1, v11
	v_cmp_le_u32_e32 vcc, s56, v16
	v_cndmask_b32_e32 v11, v11, v17, vcc
	v_mul_lo_u32 v16, v11, s56
	v_sub_u32_e32 v10, v10, v16
	v_mul_lo_u32 v10, v10, s19
	s_waitcnt vmcnt(0)
	v_add_u32_e32 v4, s58, v29
	v_mad_u64_u32 v[16:17], s[42:43], v11, s18, v[10:11]
	v_mov_b32_e32 v17, v5
	v_pk_mov_b32 v[10:11], v[4:5], v[4:5] op_sel:[0,1]
.LBB34_11:                              ;   in Loop: Header=BB34_3 Depth=1
	s_or_b64 exec, exec, s[6:7]
	v_lshlrev_b64 v[12:13], 2, v[12:13]
	s_waitcnt vmcnt(0)
	v_mov_b32_e32 v4, s15
	v_add_co_u32_e32 v12, vcc, s14, v12
	v_addc_co_u32_e32 v13, vcc, v4, v13, vcc
	v_lshlrev_b64 v[8:9], 2, v[8:9]
	v_add_co_u32_e32 v8, vcc, s14, v8
	v_addc_co_u32_e32 v9, vcc, v4, v9, vcc
	v_lshlrev_b64 v[14:15], 2, v[14:15]
	;; [unrolled: 3-line block ×3, first 2 shown]
	v_add_co_u32_e32 v16, vcc, s14, v16
	v_addc_co_u32_e32 v17, vcc, v4, v17, vcc
	global_load_dword v30, v[12:13], off
	global_load_dword v31, v[8:9], off
	;; [unrolled: 1-line block ×4, first 2 shown]
	s_andn2_b64 vcc, exec, s[22:23]
	v_pk_mov_b32 v[8:9], s[10:11], s[10:11] op_sel:[0,1]
	v_pk_mov_b32 v[12:13], s[8:9], s[8:9] op_sel:[0,1]
	s_cbranch_vccnz .LBB34_13
; %bb.12:                               ;   in Loop: Header=BB34_3 Depth=1
	v_pk_mov_b32 v[8:9], s[10:11], s[10:11] op_sel:[0,1]
	flat_load_dwordx2 v[8:9], v[8:9]
	v_pk_mov_b32 v[12:13], s[8:9], s[8:9] op_sel:[0,1]
	flat_load_dwordx2 v[12:13], v[12:13]
	v_mov_b32_e32 v14, s17
	s_waitcnt vmcnt(0) lgkmcnt(0)
	v_add_co_u32_e32 v8, vcc, s16, v8
	v_addc_co_u32_e32 v9, vcc, v9, v14, vcc
.LBB34_13:                              ;   in Loop: Header=BB34_3 Depth=1
	v_alignbit_b32 v22, v9, v8, 2
	v_lshrrev_b32_e32 v23, 2, v9
	v_xor_b32_e32 v14, v6, v12
	v_and_b32_e32 v33, 3, v8
	v_mad_u64_u32 v[8:9], s[6:7], v22, s62, 0
	v_xor_b32_e32 v14, v14, v23
	v_xor_b32_e32 v9, v9, v13
	v_add_u32_e32 v38, 0xbb67ae85, v13
	v_mad_u64_u32 v[14:15], s[6:7], v14, s62, 0
	v_mad_u64_u32 v[16:17], s[6:7], v9, s57, 0
	v_xor_b32_e32 v15, v38, v15
	v_add_u32_e32 v37, 0x9e3779b9, v12
	v_xor_b32_e32 v9, v2, v17
	v_xor_b32_e32 v15, v15, v8
	v_xor_b32_e32 v9, v9, v37
	v_add_u32_e32 v39, 0x3c6ef372, v12
	v_mad_u64_u32 v[18:19], s[6:7], v15, s57, 0
	v_add_u32_e32 v40, 0x76cf5d0a, v13
	v_mad_u64_u32 v[8:9], s[6:7], v9, s62, 0
	v_xor_b32_e32 v15, v39, v19
	v_xor_b32_e32 v15, v15, v16
	v_xor_b32_e32 v9, v40, v9
	v_xor_b32_e32 v9, v9, v14
	v_add_u32_e32 v42, 0x32370b8f, v13
	v_mad_u64_u32 v[14:15], s[6:7], v15, s62, 0
	v_add_u32_e32 v41, 0xdaa66d2b, v12
	v_mad_u64_u32 v[16:17], s[6:7], v9, s57, 0
	v_xor_b32_e32 v15, v42, v15
	;; [unrolled: 8-line block ×5, first 2 shown]
	v_xor_b32_e32 v15, v15, v16
	v_xor_b32_e32 v9, v48, v9
	;; [unrolled: 1-line block ×3, first 2 shown]
	v_add_u32_e32 v50, 0x1fd5c5a3, v13
	v_mad_u64_u32 v[14:15], s[6:7], v15, s62, 0
	v_xor_b32_e32 v15, v50, v15
	v_xor_b32_e32 v8, v15, v8
	v_add_u32_e32 v49, 0x5384540f, v12
	v_mad_u64_u32 v[20:21], s[6:7], v9, s57, 0
	v_add_co_u32_e32 v35, vcc, s63, v12
	v_mad_u64_u32 v[16:17], s[6:7], v8, s57, 0
	v_xor_b32_e32 v9, v49, v21
	v_xor_b32_e32 v8, v35, v17
	;; [unrolled: 1-line block ×4, first 2 shown]
	v_mad_u64_u32 v[18:19], s[6:7], v9, s62, 0
	v_mad_u64_u32 v[8:9], s[6:7], v8, s62, 0
	v_add_u32_e32 v36, 0x96a522ad, v13
	v_xor_b32_e32 v9, v9, v18
	v_xor_b32_e32 v34, v36, v9
	v_add_co_u32_e32 v9, vcc, 1, v22
	v_cndmask_b32_e64 v18, 0, 1, vcc
	v_addc_co_u32_e32 v24, vcc, 0, v23, vcc
	v_cmp_eq_u32_e32 vcc, 0, v24
	v_cndmask_b32_e32 v18, 0, v18, vcc
	v_add_u32_e32 v22, v18, v1
	v_cmp_eq_u32_e32 vcc, 0, v22
	v_mad_u64_u32 v[20:21], s[6:7], v9, s62, 0
	v_mad_u64_u32 v[22:23], s[6:7], v22, s57, 0
	v_add_u32_e32 v17, 0x8ff34781, v12
	v_cndmask_b32_e32 v18, 0, v18, vcc
	v_xor_b32_e32 v9, v23, v12
	v_xor_b32_e32 v12, v21, v13
	;; [unrolled: 1-line block ×4, first 2 shown]
	v_mad_u64_u32 v[24:25], s[6:7], v18, s57, 0
	v_add_u32_e32 v15, 0xdb3d7428, v13
	v_mad_u64_u32 v[12:13], s[6:7], v9, s62, 0
	v_xor_b32_e32 v9, v37, v25
	v_xor_b32_e32 v9, v9, v22
	v_xor_b32_e32 v13, v38, v13
	v_xor_b32_e32 v13, v13, v20
	v_mad_u64_u32 v[20:21], s[6:7], v9, s62, 0
	v_mad_u64_u32 v[22:23], s[6:7], v13, s57, 0
	v_xor_b32_e32 v13, v40, v21
	v_xor_b32_e32 v9, v39, v23
	v_xor_b32_e32 v18, v13, v12
	v_xor_b32_e32 v9, v9, v24
	v_mad_u64_u32 v[24:25], s[6:7], v18, s57, 0
	;; [unrolled: 6-line block ×7, first 2 shown]
	v_xor_b32_e32 v9, v15, v23
	v_xor_b32_e32 v9, v9, v12
	v_mad_u64_u32 v[24:25], s[6:7], v13, s57, 0
	v_mad_u64_u32 v[12:13], s[6:7], v9, s57, 0
	v_xor_b32_e32 v9, v13, v24
	v_xor_b32_e32 v9, v17, v9
	v_cmp_lt_i32_e32 vcc, 1, v33
                                        ; implicit-def: $vgpr21
	s_and_saveexec_b64 s[6:7], vcc
	s_xor_b64 s[6:7], exec, s[6:7]
	s_cbranch_execz .LBB34_19
; %bb.14:                               ;   in Loop: Header=BB34_3 Depth=1
	v_cmp_lt_i32_e32 vcc, 2, v33
                                        ; implicit-def: $vgpr21
	s_and_saveexec_b64 s[42:43], vcc
	s_xor_b64 s[42:43], exec, s[42:43]
; %bb.15:                               ;   in Loop: Header=BB34_3 Depth=1
	v_xor_b32_e32 v13, v35, v25
	v_xor_b32_e32 v13, v13, v20
	v_mul_hi_u32 v13, v13, s62
	v_xor_b32_e32 v13, v13, v22
	v_xor_b32_e32 v21, v36, v13
                                        ; implicit-def: $vgpr34
; %bb.16:                               ;   in Loop: Header=BB34_3 Depth=1
	s_andn2_saveexec_b64 s[42:43], s[42:43]
; %bb.17:                               ;   in Loop: Header=BB34_3 Depth=1
	v_mov_b32_e32 v21, v12
	v_mov_b32_e32 v12, v9
	v_mov_b32_e32 v9, v8
	v_mov_b32_e32 v8, v34
; %bb.18:                               ;   in Loop: Header=BB34_3 Depth=1
	s_or_b64 exec, exec, s[42:43]
                                        ; implicit-def: $vgpr14_vgpr15
                                        ; implicit-def: $vgpr16_vgpr17
                                        ; implicit-def: $vgpr33
                                        ; implicit-def: $vgpr34
                                        ; implicit-def: $vgpr18_vgpr19
                                        ; implicit-def: $vgpr15
                                        ; implicit-def: $vgpr17
.LBB34_19:                              ;   in Loop: Header=BB34_3 Depth=1
	s_andn2_saveexec_b64 s[6:7], s[6:7]
	s_cbranch_execz .LBB34_23
; %bb.20:                               ;   in Loop: Header=BB34_3 Depth=1
	v_xor_b32_e32 v12, v15, v19
	v_xor_b32_e32 v12, v12, v14
	v_mad_u64_u32 v[14:15], s[42:43], v12, s57, 0
	v_xor_b32_e32 v12, v15, v16
	v_xor_b32_e32 v13, v17, v12
	v_cmp_eq_u32_e32 vcc, 1, v33
	v_mov_b32_e32 v21, v8
	v_mov_b32_e32 v12, v34
	;; [unrolled: 1-line block ×3, first 2 shown]
	s_and_saveexec_b64 s[42:43], vcc
; %bb.21:                               ;   in Loop: Header=BB34_3 Depth=1
	v_mov_b32_e32 v21, v9
	v_mov_b32_e32 v12, v8
	v_mov_b32_e32 v15, v34
	v_mov_b32_e32 v13, v14
; %bb.22:                               ;   in Loop: Header=BB34_3 Depth=1
	s_or_b64 exec, exec, s[42:43]
	v_mov_b32_e32 v8, v13
	v_mov_b32_e32 v9, v15
.LBB34_23:                              ;   in Loop: Header=BB34_3 Depth=1
	s_or_b64 exec, exec, s[6:7]
	v_min_i32_e32 v13, 4, v7
	v_cmp_lt_i32_e32 vcc, 2, v13
	s_mov_b64 s[42:43], 0
	s_mov_b64 s[52:53], 0
                                        ; implicit-def: $sgpr6_sgpr7
                                        ; implicit-def: $sgpr44_sgpr45
                                        ; implicit-def: $sgpr46_sgpr47
	s_and_saveexec_b64 s[48:49], vcc
	s_xor_b64 s[48:49], exec, s[48:49]
	s_cbranch_execz .LBB34_33
; %bb.24:                               ;   in Loop: Header=BB34_3 Depth=1
	v_cmp_lt_i32_e32 vcc, 3, v13
	s_mov_b64 s[6:7], -1
                                        ; implicit-def: $sgpr44_sgpr45
                                        ; implicit-def: $sgpr50_sgpr51
	s_and_saveexec_b64 s[46:47], vcc
	s_cbranch_execz .LBB34_28
; %bb.25:                               ;   in Loop: Header=BB34_3 Depth=1
	s_waitcnt vmcnt(0)
	v_cmp_le_f32_e32 vcc, 0, v4
	v_cmp_ge_f32_e64 s[6:7], 1.0, v4
	s_and_b64 s[52:53], vcc, s[6:7]
	s_mov_b64 s[44:45], 0
	s_mov_b64 s[6:7], 0
	s_and_saveexec_b64 s[50:51], s[52:53]
	s_cbranch_execz .LBB34_27
; %bb.26:                               ;   in Loop: Header=BB34_3 Depth=1
	v_cvt_f32_u32_e32 v14, v21
	v_mov_b32_e32 v15, 0x2f800000
	v_lshlrev_b64 v[10:11], 2, v[10:11]
	v_add_co_u32_e32 v10, vcc, s12, v10
	v_fmac_f32_e32 v15, 0x2f800000, v14
	v_mov_b32_e32 v14, s13
	v_addc_co_u32_e32 v11, vcc, v14, v11, vcc
	v_cmp_le_f32_e32 vcc, v15, v4
	s_mov_b64 s[6:7], exec
	v_cndmask_b32_e64 v4, 0, 1, vcc
	global_store_dword v[10:11], v4, off
.LBB34_27:                              ;   in Loop: Header=BB34_3 Depth=1
	s_or_b64 exec, exec, s[50:51]
	s_mov_b64 s[50:51], -1
	s_orn2_b64 s[6:7], s[6:7], exec
.LBB34_28:                              ;   in Loop: Header=BB34_3 Depth=1
	s_or_b64 exec, exec, s[46:47]
	s_mov_b64 s[52:53], 0
	s_mov_b64 s[54:55], s[44:45]
	s_and_saveexec_b64 s[46:47], s[6:7]
	s_cbranch_execz .LBB34_32
; %bb.29:                               ;   in Loop: Header=BB34_3 Depth=1
	s_waitcnt vmcnt(1)
	v_cmp_le_f32_e32 vcc, 0, v32
	v_cmp_ge_f32_e64 s[6:7], 1.0, v32
	s_and_b64 s[52:53], vcc, s[6:7]
	s_mov_b64 s[6:7], 0
	s_and_saveexec_b64 s[54:55], s[52:53]
	s_xor_b64 s[52:53], exec, s[54:55]
	s_cbranch_execz .LBB34_31
; %bb.30:                               ;   in Loop: Header=BB34_3 Depth=1
	s_waitcnt vmcnt(0)
	v_cvt_f32_u32_e32 v4, v12
	v_mov_b32_e32 v12, 0x2f800000
	v_add_u32_e32 v10, s58, v28
	s_mov_b64 s[6:7], exec
	v_fmac_f32_e32 v12, 0x2f800000, v4
	v_cndmask_b32_e64 v4, 0, v10, s[4:5]
	v_lshlrev_b64 v[10:11], 2, v[4:5]
	v_mov_b32_e32 v4, s13
	v_add_co_u32_e32 v10, vcc, s12, v10
	v_addc_co_u32_e32 v11, vcc, v4, v11, vcc
	v_cmp_le_f32_e32 vcc, v12, v32
	v_cndmask_b32_e64 v4, 0, 1, vcc
	global_store_dword v[10:11], v4, off
.LBB34_31:                              ;   in Loop: Header=BB34_3 Depth=1
	s_or_b64 exec, exec, s[52:53]
	s_andn2_b64 s[54:55], s[44:45], exec
	s_or_b64 s[44:45], s[44:45], exec
	s_andn2_b64 s[50:51], s[50:51], exec
	s_and_b64 s[52:53], s[6:7], exec
.LBB34_32:                              ;   in Loop: Header=BB34_3 Depth=1
	s_or_b64 exec, exec, s[46:47]
	s_and_b64 s[46:47], s[54:55], exec
	s_and_b64 s[44:45], s[44:45], exec
	;; [unrolled: 1-line block ×4, first 2 shown]
.LBB34_33:                              ;   in Loop: Header=BB34_3 Depth=1
	s_andn2_saveexec_b64 s[4:5], s[48:49]
; %bb.34:                               ;   in Loop: Header=BB34_3 Depth=1
	v_cmp_lt_i32_e32 vcc, 1, v13
	s_andn2_b64 s[48:49], s[52:53], exec
	s_and_b64 s[50:51], vcc, exec
	s_mov_b64 s[42:43], exec
	s_andn2_b64 s[46:47], s[46:47], exec
	s_andn2_b64 s[44:45], s[44:45], exec
	;; [unrolled: 1-line block ×3, first 2 shown]
	s_or_b64 s[52:53], s[48:49], s[50:51]
; %bb.35:                               ;   in Loop: Header=BB34_3 Depth=1
	s_or_b64 exec, exec, s[4:5]
	s_mov_b64 s[48:49], 0
	s_mov_b64 s[50:51], 0
	;; [unrolled: 1-line block ×3, first 2 shown]
	s_and_saveexec_b64 s[54:55], s[52:53]
	s_cbranch_execnz .LBB34_38
; %bb.36:                               ;   in Loop: Header=BB34_3 Depth=1
	s_or_b64 exec, exec, s[54:55]
	s_and_saveexec_b64 s[2:3], s[42:43]
	s_cbranch_execnz .LBB34_41
.LBB34_37:                              ;   in Loop: Header=BB34_3 Depth=1
	s_or_b64 exec, exec, s[2:3]
	s_and_saveexec_b64 s[42:43], s[50:51]
	s_cbranch_execnz .LBB34_42
	s_branch .LBB34_45
.LBB34_38:                              ;   in Loop: Header=BB34_3 Depth=1
	s_waitcnt vmcnt(2)
	v_cmp_le_f32_e32 vcc, 0, v31
	v_cmp_ge_f32_e64 s[4:5], 1.0, v31
	s_and_b64 s[4:5], vcc, s[4:5]
	s_and_saveexec_b64 s[52:53], s[4:5]
	s_xor_b64 s[4:5], exec, s[52:53]
	s_cbranch_execz .LBB34_40
; %bb.39:                               ;   in Loop: Header=BB34_3 Depth=1
	s_waitcnt vmcnt(0)
	v_cvt_f32_u32_e32 v4, v9
	v_mov_b32_e32 v9, 0x2f800000
	v_add_u32_e32 v10, s58, v27
	s_mov_b64 s[50:51], exec
	v_fmac_f32_e32 v9, 0x2f800000, v4
	v_cndmask_b32_e64 v4, 0, v10, s[2:3]
	v_lshlrev_b64 v[10:11], 2, v[4:5]
	v_mov_b32_e32 v4, s13
	v_add_co_u32_e32 v10, vcc, s12, v10
	v_addc_co_u32_e32 v11, vcc, v4, v11, vcc
	v_cmp_le_f32_e32 vcc, v9, v31
	v_cndmask_b32_e64 v4, 0, 1, vcc
	global_store_dword v[10:11], v4, off
.LBB34_40:                              ;   in Loop: Header=BB34_3 Depth=1
	s_or_b64 exec, exec, s[4:5]
	s_andn2_b64 s[4:5], s[46:47], exec
	s_or_b64 s[46:47], s[46:47], exec
	s_andn2_b64 s[44:45], s[44:45], exec
	s_andn2_b64 s[6:7], s[6:7], exec
	s_and_b64 s[50:51], s[50:51], exec
	s_andn2_b64 s[42:43], s[42:43], exec
	s_or_b64 exec, exec, s[54:55]
	s_and_saveexec_b64 s[2:3], s[42:43]
	s_cbranch_execz .LBB34_37
.LBB34_41:                              ;   in Loop: Header=BB34_3 Depth=1
	v_cmp_eq_u32_e32 vcc, 1, v13
	s_andn2_b64 s[42:43], s[50:51], exec
	s_and_b64 s[50:51], vcc, exec
	s_mov_b64 s[48:49], exec
	s_andn2_b64 s[4:5], s[4:5], exec
	s_andn2_b64 s[46:47], s[46:47], exec
	;; [unrolled: 1-line block ×4, first 2 shown]
	s_or_b64 s[50:51], s[42:43], s[50:51]
	s_or_b64 exec, exec, s[2:3]
	s_and_saveexec_b64 s[42:43], s[50:51]
	s_cbranch_execz .LBB34_45
.LBB34_42:                              ;   in Loop: Header=BB34_3 Depth=1
	s_waitcnt vmcnt(3)
	v_cmp_le_f32_e32 vcc, 0, v30
	v_cmp_ge_f32_e64 s[2:3], 1.0, v30
	s_and_b64 s[52:53], vcc, s[2:3]
	s_mov_b64 s[2:3], 0
	s_and_saveexec_b64 s[50:51], s[52:53]
	s_cbranch_execz .LBB34_44
; %bb.43:                               ;   in Loop: Header=BB34_3 Depth=1
	s_waitcnt vmcnt(0)
	v_cvt_f32_u32_e32 v4, v8
	v_mov_b32_e32 v10, 0x2f800000
	v_add_u32_e32 v8, s58, v26
	s_mov_b64 s[2:3], exec
	v_fmac_f32_e32 v10, 0x2f800000, v4
	v_cndmask_b32_e64 v4, 0, v8, s[0:1]
	v_lshlrev_b64 v[8:9], 2, v[4:5]
	v_mov_b32_e32 v4, s13
	v_add_co_u32_e32 v8, vcc, s12, v8
	v_addc_co_u32_e32 v9, vcc, v4, v9, vcc
	v_cmp_le_f32_e32 vcc, v10, v30
	v_cndmask_b32_e64 v4, 0, 1, vcc
	global_store_dword v[8:9], v4, off
.LBB34_44:                              ;   in Loop: Header=BB34_3 Depth=1
	s_or_b64 exec, exec, s[50:51]
	s_andn2_b64 s[0:1], s[48:49], exec
	s_and_b64 s[2:3], s[2:3], exec
	s_or_b64 s[4:5], s[4:5], exec
	s_andn2_b64 s[46:47], s[46:47], exec
	s_andn2_b64 s[44:45], s[44:45], exec
	;; [unrolled: 1-line block ×3, first 2 shown]
	s_or_b64 s[48:49], s[0:1], s[2:3]
.LBB34_45:                              ;   in Loop: Header=BB34_3 Depth=1
	s_or_b64 exec, exec, s[42:43]
	s_andn2_b64 s[2:3], s[40:41], exec
	s_and_b64 s[4:5], s[4:5], exec
	s_or_b64 s[40:41], s[2:3], s[4:5]
	s_andn2_b64 s[2:3], s[38:39], exec
	s_and_b64 s[4:5], s[46:47], exec
	s_or_b64 s[38:39], s[2:3], s[4:5]
	;; [unrolled: 3-line block ×3, first 2 shown]
	s_andn2_b64 s[2:3], s[34:35], exec
	s_and_b64 s[4:5], s[6:7], exec
	s_mov_b64 s[0:1], -1
	s_or_b64 s[34:35], s[2:3], s[4:5]
	s_and_saveexec_b64 s[2:3], s[48:49]
	s_cbranch_execz .LBB34_2
; %bb.46:                               ;   in Loop: Header=BB34_3 Depth=1
	v_add_u32_e32 v0, s59, v0
	v_cmp_le_u32_e32 vcc, s33, v0
	v_subrev_u32_e32 v7, s59, v7
	s_add_i32 s58, s58, s61
	s_andn2_b64 s[40:41], s[40:41], exec
	s_andn2_b64 s[38:39], s[38:39], exec
	;; [unrolled: 1-line block ×4, first 2 shown]
	s_orn2_b64 s[0:1], vcc, exec
	s_branch .LBB34_2
.LBB34_47:
	s_or_b64 exec, exec, s[24:25]
	s_xor_b64 s[6:7], s[30:31], -1
	s_xor_b64 s[8:9], s[28:29], -1
	;; [unrolled: 1-line block ×3, first 2 shown]
	s_mov_b64 s[2:3], 0
	s_and_saveexec_b64 s[4:5], s[0:1]
	s_xor_b64 s[0:1], exec, s[4:5]
	s_cbranch_execnz .LBB34_52
; %bb.48:
	s_andn2_saveexec_b64 s[0:1], s[0:1]
	s_cbranch_execnz .LBB34_60
.LBB34_49:
	s_or_b64 exec, exec, s[0:1]
	s_and_b64 exec, exec, s[2:3]
.LBB34_50:
	; divergent unreachable
.LBB34_51:
	s_endpgm
.LBB34_52:
	s_mov_b64 s[4:5], 0
	s_and_saveexec_b64 s[2:3], s[8:9]
	s_xor_b64 s[2:3], exec, s[2:3]
	s_cbranch_execz .LBB34_58
; %bb.53:
	s_and_saveexec_b64 s[8:9], s[6:7]
	s_xor_b64 s[6:7], exec, s[8:9]
	s_cbranch_execz .LBB34_56
; %bb.54:
	s_and_saveexec_b64 s[8:9], s[20:21]
	s_xor_b64 s[8:9], exec, s[8:9]
	s_cbranch_execnz .LBB34_63
.LBB34_55:
	s_or_b64 exec, exec, s[8:9]
	s_and_b64 s[4:5], s[4:5], exec
.LBB34_56:
	s_andn2_saveexec_b64 s[6:7], s[6:7]
	s_cbranch_execnz .LBB34_62
.LBB34_57:
	s_or_b64 exec, exec, s[6:7]
	s_and_b64 s[4:5], s[4:5], exec
.LBB34_58:
	s_andn2_saveexec_b64 s[2:3], s[2:3]
	s_cbranch_execnz .LBB34_61
.LBB34_59:
	s_or_b64 exec, exec, s[2:3]
	s_and_b64 s[2:3], s[4:5], exec
	s_andn2_saveexec_b64 s[0:1], s[0:1]
	s_cbranch_execz .LBB34_49
.LBB34_60:
	s_or_b64 s[2:3], s[2:3], exec
	s_trap 2
	s_or_b64 exec, exec, s[0:1]
	s_and_b64 exec, exec, s[2:3]
	s_cbranch_execnz .LBB34_50
	s_branch .LBB34_51
.LBB34_61:
	s_or_b64 s[4:5], s[4:5], exec
	s_trap 2
	s_branch .LBB34_59
.LBB34_62:
	s_trap 2
	s_or_b64 s[4:5], s[4:5], exec
	s_branch .LBB34_57
.LBB34_63:
	s_mov_b64 s[4:5], exec
	s_trap 2
	s_branch .LBB34_55
	.section	.rodata,"a",@progbits
	.p2align	6, 0x0
	.amdhsa_kernel _ZN2at4cuda12_GLOBAL__N_121kernelPointwiseApply2IZNS_6native9templates4cuda28bernoulli_tensor_cuda_kernelIifEEvRKNS_10TensorBaseES9_NS_15PhiloxCudaStateEEUliRiSB_SB_SB_RKfSD_SD_SD_E_iSC_jLi1ELi2ELi4ELi512ELi2EEEvNS0_6detail10TensorInfoIT0_T2_EENSG_IT1_SI_EESI_T_
		.amdhsa_group_segment_fixed_size 0
		.amdhsa_private_segment_fixed_size 0
		.amdhsa_kernarg_size 728
		.amdhsa_user_sgpr_count 6
		.amdhsa_user_sgpr_private_segment_buffer 1
		.amdhsa_user_sgpr_dispatch_ptr 0
		.amdhsa_user_sgpr_queue_ptr 0
		.amdhsa_user_sgpr_kernarg_segment_ptr 1
		.amdhsa_user_sgpr_dispatch_id 0
		.amdhsa_user_sgpr_flat_scratch_init 0
		.amdhsa_user_sgpr_kernarg_preload_length 0
		.amdhsa_user_sgpr_kernarg_preload_offset 0
		.amdhsa_user_sgpr_private_segment_size 0
		.amdhsa_uses_dynamic_stack 0
		.amdhsa_system_sgpr_private_segment_wavefront_offset 0
		.amdhsa_system_sgpr_workgroup_id_x 1
		.amdhsa_system_sgpr_workgroup_id_y 0
		.amdhsa_system_sgpr_workgroup_id_z 0
		.amdhsa_system_sgpr_workgroup_info 0
		.amdhsa_system_vgpr_workitem_id 0
		.amdhsa_next_free_vgpr 51
		.amdhsa_next_free_sgpr 64
		.amdhsa_accum_offset 52
		.amdhsa_reserve_vcc 1
		.amdhsa_reserve_flat_scratch 0
		.amdhsa_float_round_mode_32 0
		.amdhsa_float_round_mode_16_64 0
		.amdhsa_float_denorm_mode_32 3
		.amdhsa_float_denorm_mode_16_64 3
		.amdhsa_dx10_clamp 1
		.amdhsa_ieee_mode 1
		.amdhsa_fp16_overflow 0
		.amdhsa_tg_split 0
		.amdhsa_exception_fp_ieee_invalid_op 0
		.amdhsa_exception_fp_denorm_src 0
		.amdhsa_exception_fp_ieee_div_zero 0
		.amdhsa_exception_fp_ieee_overflow 0
		.amdhsa_exception_fp_ieee_underflow 0
		.amdhsa_exception_fp_ieee_inexact 0
		.amdhsa_exception_int_div_zero 0
	.end_amdhsa_kernel
	.section	.text._ZN2at4cuda12_GLOBAL__N_121kernelPointwiseApply2IZNS_6native9templates4cuda28bernoulli_tensor_cuda_kernelIifEEvRKNS_10TensorBaseES9_NS_15PhiloxCudaStateEEUliRiSB_SB_SB_RKfSD_SD_SD_E_iSC_jLi1ELi2ELi4ELi512ELi2EEEvNS0_6detail10TensorInfoIT0_T2_EENSG_IT1_SI_EESI_T_,"axG",@progbits,_ZN2at4cuda12_GLOBAL__N_121kernelPointwiseApply2IZNS_6native9templates4cuda28bernoulli_tensor_cuda_kernelIifEEvRKNS_10TensorBaseES9_NS_15PhiloxCudaStateEEUliRiSB_SB_SB_RKfSD_SD_SD_E_iSC_jLi1ELi2ELi4ELi512ELi2EEEvNS0_6detail10TensorInfoIT0_T2_EENSG_IT1_SI_EESI_T_,comdat
.Lfunc_end34:
	.size	_ZN2at4cuda12_GLOBAL__N_121kernelPointwiseApply2IZNS_6native9templates4cuda28bernoulli_tensor_cuda_kernelIifEEvRKNS_10TensorBaseES9_NS_15PhiloxCudaStateEEUliRiSB_SB_SB_RKfSD_SD_SD_E_iSC_jLi1ELi2ELi4ELi512ELi2EEEvNS0_6detail10TensorInfoIT0_T2_EENSG_IT1_SI_EESI_T_, .Lfunc_end34-_ZN2at4cuda12_GLOBAL__N_121kernelPointwiseApply2IZNS_6native9templates4cuda28bernoulli_tensor_cuda_kernelIifEEvRKNS_10TensorBaseES9_NS_15PhiloxCudaStateEEUliRiSB_SB_SB_RKfSD_SD_SD_E_iSC_jLi1ELi2ELi4ELi512ELi2EEEvNS0_6detail10TensorInfoIT0_T2_EENSG_IT1_SI_EESI_T_
                                        ; -- End function
	.section	.AMDGPU.csdata,"",@progbits
; Kernel info:
; codeLenInByte = 3032
; NumSgprs: 68
; NumVgprs: 51
; NumAgprs: 0
; TotalNumVgprs: 51
; ScratchSize: 0
; MemoryBound: 0
; FloatMode: 240
; IeeeMode: 1
; LDSByteSize: 0 bytes/workgroup (compile time only)
; SGPRBlocks: 8
; VGPRBlocks: 6
; NumSGPRsForWavesPerEU: 68
; NumVGPRsForWavesPerEU: 51
; AccumOffset: 52
; Occupancy: 8
; WaveLimiterHint : 1
; COMPUTE_PGM_RSRC2:SCRATCH_EN: 0
; COMPUTE_PGM_RSRC2:USER_SGPR: 6
; COMPUTE_PGM_RSRC2:TRAP_HANDLER: 0
; COMPUTE_PGM_RSRC2:TGID_X_EN: 1
; COMPUTE_PGM_RSRC2:TGID_Y_EN: 0
; COMPUTE_PGM_RSRC2:TGID_Z_EN: 0
; COMPUTE_PGM_RSRC2:TIDIG_COMP_CNT: 0
; COMPUTE_PGM_RSRC3_GFX90A:ACCUM_OFFSET: 12
; COMPUTE_PGM_RSRC3_GFX90A:TG_SPLIT: 0
	.section	.text._ZN2at4cuda12_GLOBAL__N_121kernelPointwiseApply2IZNS_6native9templates4cuda28bernoulli_tensor_cuda_kernelIifEEvRKNS_10TensorBaseES9_NS_15PhiloxCudaStateEEUliRiSB_SB_SB_RKfSD_SD_SD_E_iSC_jLi1ELin1ELi4ELi512ELi2EEEvNS0_6detail10TensorInfoIT0_T2_EENSG_IT1_SI_EESI_T_,"axG",@progbits,_ZN2at4cuda12_GLOBAL__N_121kernelPointwiseApply2IZNS_6native9templates4cuda28bernoulli_tensor_cuda_kernelIifEEvRKNS_10TensorBaseES9_NS_15PhiloxCudaStateEEUliRiSB_SB_SB_RKfSD_SD_SD_E_iSC_jLi1ELin1ELi4ELi512ELi2EEEvNS0_6detail10TensorInfoIT0_T2_EENSG_IT1_SI_EESI_T_,comdat
	.globl	_ZN2at4cuda12_GLOBAL__N_121kernelPointwiseApply2IZNS_6native9templates4cuda28bernoulli_tensor_cuda_kernelIifEEvRKNS_10TensorBaseES9_NS_15PhiloxCudaStateEEUliRiSB_SB_SB_RKfSD_SD_SD_E_iSC_jLi1ELin1ELi4ELi512ELi2EEEvNS0_6detail10TensorInfoIT0_T2_EENSG_IT1_SI_EESI_T_ ; -- Begin function _ZN2at4cuda12_GLOBAL__N_121kernelPointwiseApply2IZNS_6native9templates4cuda28bernoulli_tensor_cuda_kernelIifEEvRKNS_10TensorBaseES9_NS_15PhiloxCudaStateEEUliRiSB_SB_SB_RKfSD_SD_SD_E_iSC_jLi1ELin1ELi4ELi512ELi2EEEvNS0_6detail10TensorInfoIT0_T2_EENSG_IT1_SI_EESI_T_
	.p2align	8
	.type	_ZN2at4cuda12_GLOBAL__N_121kernelPointwiseApply2IZNS_6native9templates4cuda28bernoulli_tensor_cuda_kernelIifEEvRKNS_10TensorBaseES9_NS_15PhiloxCudaStateEEUliRiSB_SB_SB_RKfSD_SD_SD_E_iSC_jLi1ELin1ELi4ELi512ELi2EEEvNS0_6detail10TensorInfoIT0_T2_EENSG_IT1_SI_EESI_T_,@function
_ZN2at4cuda12_GLOBAL__N_121kernelPointwiseApply2IZNS_6native9templates4cuda28bernoulli_tensor_cuda_kernelIifEEvRKNS_10TensorBaseES9_NS_15PhiloxCudaStateEEUliRiSB_SB_SB_RKfSD_SD_SD_E_iSC_jLi1ELin1ELi4ELi512ELi2EEEvNS0_6detail10TensorInfoIT0_T2_EENSG_IT1_SI_EESI_T_: ; @_ZN2at4cuda12_GLOBAL__N_121kernelPointwiseApply2IZNS_6native9templates4cuda28bernoulli_tensor_cuda_kernelIifEEvRKNS_10TensorBaseES9_NS_15PhiloxCudaStateEEUliRiSB_SB_SB_RKfSD_SD_SD_E_iSC_jLi1ELin1ELi4ELi512ELi2EEEvNS0_6detail10TensorInfoIT0_T2_EENSG_IT1_SI_EESI_T_
; %bb.0:
	s_load_dword s2, s[4:5], 0x1e4
	s_load_dword s33, s[4:5], 0x1b0
	s_add_u32 s0, s4, 0x1d8
	s_addc_u32 s1, s5, 0
	s_waitcnt lgkmcnt(0)
	s_and_b32 s2, s2, 0xffff
	s_mul_i32 s6, s6, s2
	v_add_u32_e32 v5, s6, v0
	v_lshlrev_b32_e32 v24, 2, v5
	v_cmp_gt_u32_e32 vcc, s33, v24
	s_and_saveexec_b64 s[6:7], vcc
	s_cbranch_execz .LBB35_65
; %bb.1:
	s_load_dword s3, s[0:1], 0x0
	s_load_dwordx4 s[12:15], s[4:5], 0x1b8
	s_load_dword s8, s[4:5], 0x1a8
	s_load_dwordx2 s[10:11], s[4:5], 0x0
	s_load_dword s60, s[4:5], 0x6c
	s_waitcnt lgkmcnt(0)
	s_mul_i32 s9, s3, s2
	s_load_dwordx2 s[16:17], s[4:5], 0x1c8
	s_load_dword s2, s[4:5], 0x1d0
	s_add_u32 s6, s4, 0xd8
	s_addc_u32 s7, s5, 0
	s_cmp_gt_i32 s8, 1
	s_mov_b32 s62, 0xcd9e8d57
	s_cselect_b64 s[0:1], -1, 0
	s_waitcnt lgkmcnt(0)
	s_bitcmp1_b32 s2, 0
	v_mad_u64_u32 v[0:1], s[2:3], v5, s62, 0
	s_cselect_b64 s[22:23], -1, 0
	s_add_i32 s2, s8, -1
	s_mov_b32 s3, 0
	s_load_dword s61, s[4:5], 0x144
	s_load_dwordx2 s[18:19], s[4:5], 0xd8
	s_lshl_b32 s63, s9, 2
	s_add_i32 s64, s8, 1
	s_lshl_b64 s[2:3], s[2:3], 2
	s_add_u32 s2, s2, s6
	s_addc_u32 s3, s3, s7
	v_mov_b32_e32 v4, v1
	s_add_u32 s24, s2, 8
	v_cndmask_b32_e64 v1, 0, 1, s[0:1]
	v_mov_b32_e32 v3, 0
	s_addc_u32 s25, s3, 0
	s_mov_b64 s[26:27], 0
	s_mov_b32 s65, 0xd2511f53
	v_cmp_ne_u32_e64 s[0:1], 1, v1
	s_mov_b32 s66, 0xf1bbcdc8
                                        ; implicit-def: $sgpr28_sgpr29
                                        ; implicit-def: $sgpr30_sgpr31
                                        ; implicit-def: $sgpr34_sgpr35
                                        ; implicit-def: $sgpr20_sgpr21
                                        ; implicit-def: $sgpr36_sgpr37
                                        ; implicit-def: $sgpr38_sgpr39
                                        ; implicit-def: $sgpr40_sgpr41
                                        ; implicit-def: $sgpr42_sgpr43
	s_branch .LBB35_3
.LBB35_2:                               ;   in Loop: Header=BB35_3 Depth=1
	s_or_b64 exec, exec, s[4:5]
	s_and_b64 s[2:3], exec, s[2:3]
	s_or_b64 s[26:27], s[2:3], s[26:27]
	s_andn2_b64 s[2:3], s[20:21], exec
	s_and_b64 s[4:5], s[42:43], exec
	s_or_b64 s[20:21], s[2:3], s[4:5]
	s_andn2_b64 s[2:3], s[34:35], exec
	s_and_b64 s[4:5], s[40:41], exec
	s_or_b64 s[34:35], s[2:3], s[4:5]
	s_andn2_b64 s[2:3], s[30:31], exec
	s_and_b64 s[4:5], s[38:39], exec
	s_or_b64 s[30:31], s[2:3], s[4:5]
	s_andn2_b64 s[2:3], s[28:29], exec
	s_and_b64 s[4:5], s[36:37], exec
	s_or_b64 s[28:29], s[2:3], s[4:5]
	s_andn2_b64 exec, exec, s[26:27]
	s_cbranch_execz .LBB35_61
.LBB35_3:                               ; =>This Loop Header: Depth=1
                                        ;     Child Loop BB35_6 Depth 2
                                        ;     Child Loop BB35_11 Depth 2
	;; [unrolled: 1-line block ×4, first 2 shown]
	v_sub_u32_e32 v25, s33, v24
	v_cmp_lt_i32_e64 s[2:3], 0, v25
	s_waitcnt vmcnt(0)
	v_mov_b32_e32 v2, 0
	s_and_saveexec_b64 s[4:5], s[2:3]
	s_cbranch_execz .LBB35_8
; %bb.4:                                ;   in Loop: Header=BB35_3 Depth=1
	s_and_b64 vcc, exec, s[0:1]
	v_mov_b32_e32 v6, 0
	v_mov_b32_e32 v1, v24
	s_cbranch_vccnz .LBB35_7
; %bb.5:                                ;   in Loop: Header=BB35_3 Depth=1
	v_mov_b32_e32 v6, 0
	s_mov_b64 s[6:7], s[24:25]
	s_mov_b32 s8, s64
	v_mov_b32_e32 v1, v24
.LBB35_6:                               ;   Parent Loop BB35_3 Depth=1
                                        ; =>  This Inner Loop Header: Depth=2
	s_load_dword s9, s[6:7], 0x0
	s_load_dword s44, s[6:7], 0x64
	v_mov_b32_e32 v2, v1
	s_add_i32 s8, s8, -1
	s_waitcnt lgkmcnt(0)
	v_cvt_f32_u32_e32 v1, s9
	s_sub_i32 s45, 0, s9
	s_add_u32 s6, s6, -4
	s_addc_u32 s7, s7, -1
	v_rcp_iflag_f32_e32 v1, v1
	s_cmp_gt_u32 s8, 2
	v_mul_f32_e32 v1, 0x4f7ffffe, v1
	v_cvt_u32_f32_e32 v1, v1
	v_mul_lo_u32 v7, s45, v1
	v_mul_hi_u32 v7, v1, v7
	v_add_u32_e32 v1, v1, v7
	v_mul_hi_u32 v1, v2, v1
	v_mul_lo_u32 v7, v1, s9
	v_sub_u32_e32 v7, v2, v7
	v_add_u32_e32 v8, 1, v1
	v_cmp_le_u32_e32 vcc, s9, v7
	v_cndmask_b32_e32 v1, v1, v8, vcc
	v_subrev_u32_e32 v8, s9, v7
	v_cndmask_b32_e32 v7, v7, v8, vcc
	v_add_u32_e32 v8, 1, v1
	v_cmp_le_u32_e32 vcc, s9, v7
	v_cndmask_b32_e32 v1, v1, v8, vcc
	v_mul_lo_u32 v7, v1, s9
	v_sub_u32_e32 v2, v2, v7
	v_mad_u64_u32 v[6:7], s[44:45], s44, v2, v[6:7]
	s_cbranch_scc1 .LBB35_6
.LBB35_7:                               ;   in Loop: Header=BB35_3 Depth=1
	s_waitcnt lgkmcnt(0)
	v_mad_u64_u32 v[6:7], s[6:7], s61, v1, v[6:7]
	v_mov_b32_e32 v2, v6
.LBB35_8:                               ;   in Loop: Header=BB35_3 Depth=1
	s_or_b64 exec, exec, s[4:5]
	v_cmp_lt_i32_e64 s[4:5], 1, v25
	v_pk_mov_b32 v[6:7], 0, 0
	s_and_saveexec_b64 s[6:7], s[4:5]
	s_cbranch_execz .LBB35_13
; %bb.9:                                ;   in Loop: Header=BB35_3 Depth=1
	v_or_b32_e32 v1, 1, v24
	s_and_b64 vcc, exec, s[0:1]
	v_mov_b32_e32 v6, 0
	s_cbranch_vccnz .LBB35_12
; %bb.10:                               ;   in Loop: Header=BB35_3 Depth=1
	v_mov_b32_e32 v6, 0
	s_mov_b64 s[8:9], s[24:25]
	s_mov_b32 s44, s64
.LBB35_11:                              ;   Parent Loop BB35_3 Depth=1
                                        ; =>  This Inner Loop Header: Depth=2
	s_load_dword s45, s[8:9], 0x0
	s_load_dword s46, s[8:9], 0x64
	v_mov_b32_e32 v7, v1
	s_add_i32 s44, s44, -1
	s_waitcnt lgkmcnt(0)
	v_cvt_f32_u32_e32 v1, s45
	s_sub_i32 s47, 0, s45
	s_add_u32 s8, s8, -4
	s_addc_u32 s9, s9, -1
	v_rcp_iflag_f32_e32 v1, v1
	s_cmp_gt_u32 s44, 2
	v_mul_f32_e32 v1, 0x4f7ffffe, v1
	v_cvt_u32_f32_e32 v1, v1
	v_mul_lo_u32 v8, s47, v1
	v_mul_hi_u32 v8, v1, v8
	v_add_u32_e32 v1, v1, v8
	v_mul_hi_u32 v1, v7, v1
	v_mul_lo_u32 v8, v1, s45
	v_sub_u32_e32 v8, v7, v8
	v_add_u32_e32 v9, 1, v1
	v_cmp_le_u32_e32 vcc, s45, v8
	v_cndmask_b32_e32 v1, v1, v9, vcc
	v_subrev_u32_e32 v9, s45, v8
	v_cndmask_b32_e32 v8, v8, v9, vcc
	v_add_u32_e32 v9, 1, v1
	v_cmp_le_u32_e32 vcc, s45, v8
	v_cndmask_b32_e32 v1, v1, v9, vcc
	v_mul_lo_u32 v8, v1, s45
	v_sub_u32_e32 v7, v7, v8
	v_mad_u64_u32 v[6:7], s[46:47], s46, v7, v[6:7]
	s_cbranch_scc1 .LBB35_11
.LBB35_12:                              ;   in Loop: Header=BB35_3 Depth=1
	s_waitcnt lgkmcnt(0)
	v_mad_u64_u32 v[6:7], s[8:9], s61, v1, v[6:7]
	v_mov_b32_e32 v7, v3
.LBB35_13:                              ;   in Loop: Header=BB35_3 Depth=1
	s_or_b64 exec, exec, s[6:7]
	v_cmp_lt_i32_e64 s[6:7], 2, v25
	v_pk_mov_b32 v[10:11], 0, 0
	s_and_saveexec_b64 s[8:9], s[6:7]
	s_cbranch_execz .LBB35_18
; %bb.14:                               ;   in Loop: Header=BB35_3 Depth=1
	v_or_b32_e32 v1, 2, v24
	s_and_b64 vcc, exec, s[0:1]
	v_mov_b32_e32 v8, 0
	s_cbranch_vccnz .LBB35_17
; %bb.15:                               ;   in Loop: Header=BB35_3 Depth=1
	v_mov_b32_e32 v8, 0
	s_mov_b64 s[44:45], s[24:25]
	s_mov_b32 s46, s64
.LBB35_16:                              ;   Parent Loop BB35_3 Depth=1
                                        ; =>  This Inner Loop Header: Depth=2
	s_load_dword s47, s[44:45], 0x0
	s_load_dword s48, s[44:45], 0x64
	v_mov_b32_e32 v9, v1
	s_add_i32 s46, s46, -1
	s_waitcnt lgkmcnt(0)
	v_cvt_f32_u32_e32 v1, s47
	s_sub_i32 s49, 0, s47
	s_add_u32 s44, s44, -4
	s_addc_u32 s45, s45, -1
	v_rcp_iflag_f32_e32 v1, v1
	s_cmp_gt_u32 s46, 2
	v_mul_f32_e32 v1, 0x4f7ffffe, v1
	v_cvt_u32_f32_e32 v1, v1
	v_mul_lo_u32 v10, s49, v1
	v_mul_hi_u32 v10, v1, v10
	v_add_u32_e32 v1, v1, v10
	v_mul_hi_u32 v1, v9, v1
	v_mul_lo_u32 v10, v1, s47
	v_sub_u32_e32 v10, v9, v10
	v_add_u32_e32 v11, 1, v1
	v_cmp_le_u32_e32 vcc, s47, v10
	v_cndmask_b32_e32 v1, v1, v11, vcc
	v_subrev_u32_e32 v11, s47, v10
	v_cndmask_b32_e32 v10, v10, v11, vcc
	v_add_u32_e32 v11, 1, v1
	v_cmp_le_u32_e32 vcc, s47, v10
	v_cndmask_b32_e32 v1, v1, v11, vcc
	v_mul_lo_u32 v10, v1, s47
	v_sub_u32_e32 v9, v9, v10
	v_mad_u64_u32 v[8:9], s[48:49], s48, v9, v[8:9]
	s_cbranch_scc1 .LBB35_16
.LBB35_17:                              ;   in Loop: Header=BB35_3 Depth=1
	s_waitcnt lgkmcnt(0)
	v_mad_u64_u32 v[10:11], s[44:45], s61, v1, v[8:9]
	v_mov_b32_e32 v11, v3
.LBB35_18:                              ;   in Loop: Header=BB35_3 Depth=1
	s_or_b64 exec, exec, s[8:9]
	v_mul_lo_u32 v1, v24, s60
	v_add_u32_e32 v26, s60, v1
	v_pk_mov_b32 v[12:13], 0, 0
	v_add_u32_e32 v28, s60, v26
	v_cmp_lt_i32_e32 vcc, 3, v25
	v_pk_mov_b32 v[8:9], v[12:13], v[12:13] op_sel:[0,1]
	s_and_saveexec_b64 s[8:9], vcc
	s_cbranch_execz .LBB35_23
; %bb.19:                               ;   in Loop: Header=BB35_3 Depth=1
	v_or_b32_e32 v14, 3, v24
	s_and_b64 vcc, exec, s[0:1]
	v_mov_b32_e32 v12, 0
	s_cbranch_vccnz .LBB35_22
; %bb.20:                               ;   in Loop: Header=BB35_3 Depth=1
	v_mov_b32_e32 v12, 0
	s_mov_b64 s[44:45], s[24:25]
	s_mov_b32 s46, s64
.LBB35_21:                              ;   Parent Loop BB35_3 Depth=1
                                        ; =>  This Inner Loop Header: Depth=2
	s_load_dword s47, s[44:45], 0x0
	s_load_dword s48, s[44:45], 0x64
	v_mov_b32_e32 v8, v14
	s_add_i32 s46, s46, -1
	s_waitcnt lgkmcnt(0)
	v_cvt_f32_u32_e32 v9, s47
	s_sub_i32 s49, 0, s47
	s_add_u32 s44, s44, -4
	s_addc_u32 s45, s45, -1
	v_rcp_iflag_f32_e32 v9, v9
	s_cmp_gt_u32 s46, 2
	v_mul_f32_e32 v9, 0x4f7ffffe, v9
	v_cvt_u32_f32_e32 v9, v9
	v_mul_lo_u32 v13, s49, v9
	v_mul_hi_u32 v13, v9, v13
	v_add_u32_e32 v9, v9, v13
	v_mul_hi_u32 v9, v8, v9
	v_mul_lo_u32 v13, v9, s47
	v_sub_u32_e32 v13, v8, v13
	v_add_u32_e32 v14, 1, v9
	v_cmp_le_u32_e32 vcc, s47, v13
	v_cndmask_b32_e32 v9, v9, v14, vcc
	v_subrev_u32_e32 v14, s47, v13
	v_cndmask_b32_e32 v13, v13, v14, vcc
	v_add_u32_e32 v14, 1, v9
	v_cmp_le_u32_e32 vcc, s47, v13
	v_cndmask_b32_e32 v14, v9, v14, vcc
	v_mul_lo_u32 v9, v14, s47
	v_sub_u32_e32 v8, v8, v9
	v_mad_u64_u32 v[12:13], s[48:49], s48, v8, v[12:13]
	s_cbranch_scc1 .LBB35_21
.LBB35_22:                              ;   in Loop: Header=BB35_3 Depth=1
	s_waitcnt lgkmcnt(0)
	v_mad_u64_u32 v[12:13], s[44:45], s61, v14, v[12:13]
	v_add_u32_e32 v8, s60, v28
	v_mov_b32_e32 v9, v3
	v_mov_b32_e32 v13, v3
.LBB35_23:                              ;   in Loop: Header=BB35_3 Depth=1
	s_or_b64 exec, exec, s[8:9]
	v_lshlrev_b64 v[14:15], 2, v[2:3]
	s_waitcnt lgkmcnt(0)
	v_mov_b32_e32 v2, s19
	v_add_co_u32_e32 v14, vcc, s18, v14
	v_addc_co_u32_e32 v15, vcc, v2, v15, vcc
	v_lshlrev_b64 v[6:7], 2, v[6:7]
	v_add_co_u32_e32 v6, vcc, s18, v6
	v_addc_co_u32_e32 v7, vcc, v2, v7, vcc
	v_lshlrev_b64 v[10:11], 2, v[10:11]
	;; [unrolled: 3-line block ×3, first 2 shown]
	v_add_co_u32_e32 v12, vcc, s18, v12
	v_addc_co_u32_e32 v13, vcc, v2, v13, vcc
	global_load_dword v27, v[14:15], off
	global_load_dword v29, v[6:7], off
	;; [unrolled: 1-line block ×4, first 2 shown]
	s_andn2_b64 vcc, exec, s[22:23]
	v_pk_mov_b32 v[6:7], s[14:15], s[14:15] op_sel:[0,1]
	v_pk_mov_b32 v[10:11], s[12:13], s[12:13] op_sel:[0,1]
	s_cbranch_vccnz .LBB35_25
; %bb.24:                               ;   in Loop: Header=BB35_3 Depth=1
	v_pk_mov_b32 v[6:7], s[14:15], s[14:15] op_sel:[0,1]
	flat_load_dwordx2 v[6:7], v[6:7]
	v_pk_mov_b32 v[10:11], s[12:13], s[12:13] op_sel:[0,1]
	flat_load_dwordx2 v[10:11], v[10:11]
	v_mov_b32_e32 v12, s17
	s_waitcnt vmcnt(0) lgkmcnt(0)
	v_add_co_u32_e32 v6, vcc, s16, v6
	v_addc_co_u32_e32 v7, vcc, v7, v12, vcc
.LBB35_25:                              ;   in Loop: Header=BB35_3 Depth=1
	v_alignbit_b32 v20, v7, v6, 2
	v_lshrrev_b32_e32 v21, 2, v7
	v_xor_b32_e32 v12, v4, v10
	v_and_b32_e32 v31, 3, v6
	v_mad_u64_u32 v[6:7], s[8:9], v20, s65, 0
	v_xor_b32_e32 v12, v12, v21
	v_xor_b32_e32 v7, v7, v11
	v_add_u32_e32 v36, 0xbb67ae85, v11
	v_mad_u64_u32 v[12:13], s[8:9], v12, s65, 0
	v_mad_u64_u32 v[14:15], s[8:9], v7, s62, 0
	v_xor_b32_e32 v13, v36, v13
	v_add_u32_e32 v35, 0x9e3779b9, v10
	v_xor_b32_e32 v7, v0, v15
	v_xor_b32_e32 v13, v13, v6
	v_xor_b32_e32 v7, v7, v35
	v_add_u32_e32 v37, 0x3c6ef372, v10
	v_mad_u64_u32 v[16:17], s[8:9], v13, s62, 0
	v_add_u32_e32 v38, 0x76cf5d0a, v11
	v_mad_u64_u32 v[6:7], s[8:9], v7, s65, 0
	v_xor_b32_e32 v13, v37, v17
	v_xor_b32_e32 v13, v13, v14
	v_xor_b32_e32 v7, v38, v7
	v_xor_b32_e32 v7, v7, v12
	v_add_u32_e32 v40, 0x32370b8f, v11
	v_mad_u64_u32 v[12:13], s[8:9], v13, s65, 0
	v_add_u32_e32 v39, 0xdaa66d2b, v10
	v_mad_u64_u32 v[14:15], s[8:9], v7, s62, 0
	v_xor_b32_e32 v13, v40, v13
	;; [unrolled: 8-line block ×5, first 2 shown]
	v_xor_b32_e32 v13, v13, v14
	v_xor_b32_e32 v7, v46, v7
	v_xor_b32_e32 v7, v7, v12
	v_add_u32_e32 v48, 0x1fd5c5a3, v11
	v_mad_u64_u32 v[12:13], s[8:9], v13, s65, 0
	v_xor_b32_e32 v13, v48, v13
	v_xor_b32_e32 v6, v13, v6
	v_add_u32_e32 v47, 0x5384540f, v10
	v_mad_u64_u32 v[18:19], s[8:9], v7, s62, 0
	v_add_co_u32_e32 v33, vcc, s66, v10
	v_mad_u64_u32 v[14:15], s[8:9], v6, s62, 0
	v_xor_b32_e32 v7, v47, v19
	v_xor_b32_e32 v6, v33, v15
	;; [unrolled: 1-line block ×4, first 2 shown]
	v_mad_u64_u32 v[16:17], s[8:9], v7, s65, 0
	v_mad_u64_u32 v[6:7], s[8:9], v6, s65, 0
	v_add_u32_e32 v34, 0x96a522ad, v11
	v_xor_b32_e32 v7, v7, v16
	v_xor_b32_e32 v32, v34, v7
	v_add_co_u32_e32 v7, vcc, 1, v20
	v_cndmask_b32_e64 v16, 0, 1, vcc
	v_addc_co_u32_e32 v22, vcc, 0, v21, vcc
	v_cmp_eq_u32_e32 vcc, 0, v22
	v_cndmask_b32_e32 v16, 0, v16, vcc
	v_add_u32_e32 v20, v16, v5
	v_cmp_eq_u32_e32 vcc, 0, v20
	v_mad_u64_u32 v[18:19], s[8:9], v7, s65, 0
	v_mad_u64_u32 v[20:21], s[8:9], v20, s62, 0
	v_add_u32_e32 v15, 0x8ff34781, v10
	v_cndmask_b32_e32 v16, 0, v16, vcc
	v_xor_b32_e32 v7, v21, v10
	v_xor_b32_e32 v10, v19, v11
	;; [unrolled: 1-line block ×4, first 2 shown]
	v_mad_u64_u32 v[22:23], s[8:9], v16, s62, 0
	v_add_u32_e32 v13, 0xdb3d7428, v11
	v_mad_u64_u32 v[10:11], s[8:9], v7, s65, 0
	v_xor_b32_e32 v7, v35, v23
	v_xor_b32_e32 v7, v7, v20
	v_xor_b32_e32 v11, v36, v11
	v_xor_b32_e32 v11, v11, v18
	v_mad_u64_u32 v[18:19], s[8:9], v7, s65, 0
	v_mad_u64_u32 v[20:21], s[8:9], v11, s62, 0
	v_xor_b32_e32 v11, v38, v19
	v_xor_b32_e32 v7, v37, v21
	v_xor_b32_e32 v16, v11, v10
	v_xor_b32_e32 v7, v7, v22
	v_mad_u64_u32 v[22:23], s[8:9], v16, s62, 0
	;; [unrolled: 6-line block ×7, first 2 shown]
	v_xor_b32_e32 v7, v13, v21
	v_xor_b32_e32 v7, v7, v10
	v_mad_u64_u32 v[22:23], s[8:9], v11, s62, 0
	v_mad_u64_u32 v[10:11], s[8:9], v7, s62, 0
	v_xor_b32_e32 v7, v11, v22
	v_xor_b32_e32 v7, v15, v7
	v_cmp_lt_i32_e32 vcc, 1, v31
                                        ; implicit-def: $vgpr19
	s_and_saveexec_b64 s[8:9], vcc
	s_xor_b64 s[8:9], exec, s[8:9]
	s_cbranch_execz .LBB35_31
; %bb.26:                               ;   in Loop: Header=BB35_3 Depth=1
	v_cmp_lt_i32_e32 vcc, 2, v31
                                        ; implicit-def: $vgpr19
	s_and_saveexec_b64 s[44:45], vcc
	s_xor_b64 s[44:45], exec, s[44:45]
; %bb.27:                               ;   in Loop: Header=BB35_3 Depth=1
	v_xor_b32_e32 v11, v33, v23
	v_xor_b32_e32 v11, v11, v18
	v_mul_hi_u32 v11, v11, s65
	v_xor_b32_e32 v11, v11, v20
	v_xor_b32_e32 v19, v34, v11
                                        ; implicit-def: $vgpr32
; %bb.28:                               ;   in Loop: Header=BB35_3 Depth=1
	s_andn2_saveexec_b64 s[44:45], s[44:45]
; %bb.29:                               ;   in Loop: Header=BB35_3 Depth=1
	v_mov_b32_e32 v19, v10
	v_mov_b32_e32 v10, v7
	;; [unrolled: 1-line block ×4, first 2 shown]
; %bb.30:                               ;   in Loop: Header=BB35_3 Depth=1
	s_or_b64 exec, exec, s[44:45]
                                        ; implicit-def: $vgpr12_vgpr13
                                        ; implicit-def: $vgpr14_vgpr15
                                        ; implicit-def: $vgpr31
                                        ; implicit-def: $vgpr32
                                        ; implicit-def: $vgpr16_vgpr17
                                        ; implicit-def: $vgpr13
                                        ; implicit-def: $vgpr15
.LBB35_31:                              ;   in Loop: Header=BB35_3 Depth=1
	s_andn2_saveexec_b64 s[8:9], s[8:9]
	s_cbranch_execz .LBB35_35
; %bb.32:                               ;   in Loop: Header=BB35_3 Depth=1
	v_xor_b32_e32 v10, v13, v17
	v_xor_b32_e32 v10, v10, v12
	v_mad_u64_u32 v[12:13], s[44:45], v10, s62, 0
	v_xor_b32_e32 v10, v13, v14
	v_xor_b32_e32 v11, v15, v10
	v_cmp_eq_u32_e32 vcc, 1, v31
	v_mov_b32_e32 v19, v6
	v_mov_b32_e32 v10, v32
	;; [unrolled: 1-line block ×3, first 2 shown]
	s_and_saveexec_b64 s[44:45], vcc
; %bb.33:                               ;   in Loop: Header=BB35_3 Depth=1
	v_mov_b32_e32 v19, v7
	v_mov_b32_e32 v10, v6
	;; [unrolled: 1-line block ×4, first 2 shown]
; %bb.34:                               ;   in Loop: Header=BB35_3 Depth=1
	s_or_b64 exec, exec, s[44:45]
	v_mov_b32_e32 v6, v11
	v_mov_b32_e32 v7, v13
.LBB35_35:                              ;   in Loop: Header=BB35_3 Depth=1
	s_or_b64 exec, exec, s[8:9]
	v_min_i32_e32 v11, 4, v25
	v_cmp_lt_i32_e32 vcc, 2, v11
	s_mov_b64 s[44:45], 0
	s_mov_b64 s[54:55], 0
	;; [unrolled: 1-line block ×3, first 2 shown]
                                        ; implicit-def: $sgpr46_sgpr47
                                        ; implicit-def: $sgpr48_sgpr49
                                        ; implicit-def: $sgpr50_sgpr51
	s_and_saveexec_b64 s[52:53], vcc
	s_xor_b64 s[52:53], exec, s[52:53]
	s_cbranch_execz .LBB35_47
; %bb.36:                               ;   in Loop: Header=BB35_3 Depth=1
	v_cmp_lt_i32_e32 vcc, 3, v11
	s_mov_b64 s[8:9], -1
	s_mov_b64 s[58:59], 0
                                        ; implicit-def: $sgpr46_sgpr47
                                        ; implicit-def: $sgpr56_sgpr57
	s_and_saveexec_b64 s[48:49], vcc
	s_cbranch_execz .LBB35_42
; %bb.37:                               ;   in Loop: Header=BB35_3 Depth=1
	v_cmp_eq_u32_e32 vcc, 4, v11
	s_mov_b64 s[8:9], 0
	s_mov_b64 s[58:59], -1
                                        ; implicit-def: $sgpr46_sgpr47
                                        ; implicit-def: $sgpr56_sgpr57
	s_and_saveexec_b64 s[50:51], vcc
	s_cbranch_execz .LBB35_41
; %bb.38:                               ;   in Loop: Header=BB35_3 Depth=1
	s_waitcnt vmcnt(0)
	v_cmp_le_f32_e32 vcc, 0, v2
	v_cmp_ge_f32_e64 s[8:9], 1.0, v2
	s_and_b64 s[58:59], vcc, s[8:9]
	s_mov_b64 s[46:47], 0
	s_mov_b64 s[8:9], 0
	s_and_saveexec_b64 s[56:57], s[58:59]
	s_cbranch_execz .LBB35_40
; %bb.39:                               ;   in Loop: Header=BB35_3 Depth=1
	v_cvt_f32_u32_e32 v12, v19
	v_mov_b32_e32 v13, 0x2f800000
	v_lshlrev_b64 v[8:9], 2, v[8:9]
	v_add_co_u32_e32 v8, vcc, s10, v8
	v_fmac_f32_e32 v13, 0x2f800000, v12
	v_mov_b32_e32 v12, s11
	v_addc_co_u32_e32 v9, vcc, v12, v9, vcc
	v_cmp_le_f32_e32 vcc, v13, v2
	s_mov_b64 s[8:9], exec
	v_cndmask_b32_e64 v2, 0, 1, vcc
	global_store_dword v[8:9], v2, off
.LBB35_40:                              ;   in Loop: Header=BB35_3 Depth=1
	s_or_b64 exec, exec, s[56:57]
	s_mov_b64 s[56:57], -1
	s_xor_b64 s[58:59], exec, -1
	s_and_b64 s[8:9], s[8:9], exec
.LBB35_41:                              ;   in Loop: Header=BB35_3 Depth=1
	s_or_b64 exec, exec, s[50:51]
	s_and_b64 s[58:59], s[58:59], exec
	s_orn2_b64 s[8:9], s[8:9], exec
.LBB35_42:                              ;   in Loop: Header=BB35_3 Depth=1
	s_or_b64 exec, exec, s[48:49]
	s_mov_b64 s[50:51], s[46:47]
	s_and_saveexec_b64 s[48:49], s[8:9]
	s_cbranch_execz .LBB35_46
; %bb.43:                               ;   in Loop: Header=BB35_3 Depth=1
	s_waitcnt vmcnt(1)
	v_cmp_le_f32_e32 vcc, 0, v30
	v_cmp_ge_f32_e64 s[8:9], 1.0, v30
	s_and_b64 s[50:51], vcc, s[8:9]
	s_mov_b64 s[8:9], 0
	s_and_saveexec_b64 s[54:55], s[50:51]
	s_xor_b64 s[50:51], exec, s[54:55]
	s_cbranch_execz .LBB35_45
; %bb.44:                               ;   in Loop: Header=BB35_3 Depth=1
	v_cvt_f32_u32_e32 v8, v10
	v_mov_b32_e32 v10, 0x2f800000
	s_waitcnt vmcnt(0)
	v_cndmask_b32_e64 v2, 0, v28, s[6:7]
	s_mov_b64 s[8:9], exec
	v_fmac_f32_e32 v10, 0x2f800000, v8
	v_lshlrev_b64 v[8:9], 2, v[2:3]
	v_mov_b32_e32 v2, s11
	v_add_co_u32_e32 v8, vcc, s10, v8
	v_addc_co_u32_e32 v9, vcc, v2, v9, vcc
	v_cmp_le_f32_e32 vcc, v10, v30
	v_cndmask_b32_e64 v2, 0, 1, vcc
	global_store_dword v[8:9], v2, off
.LBB35_45:                              ;   in Loop: Header=BB35_3 Depth=1
	s_or_b64 exec, exec, s[50:51]
	s_andn2_b64 s[50:51], s[46:47], exec
	s_or_b64 s[46:47], s[46:47], exec
	s_andn2_b64 s[56:57], s[56:57], exec
	s_and_b64 s[54:55], s[8:9], exec
.LBB35_46:                              ;   in Loop: Header=BB35_3 Depth=1
	s_or_b64 exec, exec, s[48:49]
	s_and_b64 s[50:51], s[50:51], exec
	s_and_b64 s[48:49], s[46:47], exec
	;; [unrolled: 1-line block ×5, first 2 shown]
.LBB35_47:                              ;   in Loop: Header=BB35_3 Depth=1
	s_andn2_saveexec_b64 s[6:7], s[52:53]
; %bb.48:                               ;   in Loop: Header=BB35_3 Depth=1
	v_cmp_lt_i32_e32 vcc, 1, v11
	s_andn2_b64 s[52:53], s[54:55], exec
	s_and_b64 s[54:55], vcc, exec
	s_mov_b64 s[44:45], exec
	s_andn2_b64 s[50:51], s[50:51], exec
	s_andn2_b64 s[48:49], s[48:49], exec
	;; [unrolled: 1-line block ×3, first 2 shown]
	s_or_b64 s[54:55], s[52:53], s[54:55]
; %bb.49:                               ;   in Loop: Header=BB35_3 Depth=1
	s_or_b64 exec, exec, s[6:7]
	s_mov_b64 s[52:53], 0
	s_mov_b64 s[6:7], s[50:51]
	s_and_saveexec_b64 s[56:57], s[54:55]
	s_cbranch_execnz .LBB35_52
; %bb.50:                               ;   in Loop: Header=BB35_3 Depth=1
	s_or_b64 exec, exec, s[56:57]
	s_and_saveexec_b64 s[4:5], s[44:45]
	s_cbranch_execnz .LBB35_55
.LBB35_51:                              ;   in Loop: Header=BB35_3 Depth=1
	s_or_b64 exec, exec, s[4:5]
	s_and_saveexec_b64 s[44:45], s[52:53]
	s_cbranch_execnz .LBB35_56
	s_branch .LBB35_59
.LBB35_52:                              ;   in Loop: Header=BB35_3 Depth=1
	s_waitcnt vmcnt(2)
	v_cmp_le_f32_e32 vcc, 0, v29
	v_cmp_ge_f32_e64 s[6:7], 1.0, v29
	s_and_b64 s[6:7], vcc, s[6:7]
	s_and_saveexec_b64 s[54:55], s[6:7]
	s_xor_b64 s[6:7], exec, s[54:55]
	s_cbranch_execz .LBB35_54
; %bb.53:                               ;   in Loop: Header=BB35_3 Depth=1
	v_cvt_f32_u32_e32 v7, v7
	s_waitcnt vmcnt(0)
	v_cndmask_b32_e64 v2, 0, v26, s[4:5]
	v_lshlrev_b64 v[8:9], 2, v[2:3]
	v_mov_b32_e32 v10, 0x2f800000
	v_mov_b32_e32 v2, s11
	v_add_co_u32_e32 v8, vcc, s10, v8
	v_fmac_f32_e32 v10, 0x2f800000, v7
	v_addc_co_u32_e32 v9, vcc, v2, v9, vcc
	v_cmp_le_f32_e32 vcc, v10, v29
	v_cndmask_b32_e64 v2, 0, 1, vcc
	s_mov_b64 s[52:53], exec
	global_store_dword v[8:9], v2, off
.LBB35_54:                              ;   in Loop: Header=BB35_3 Depth=1
	s_or_b64 exec, exec, s[6:7]
	s_andn2_b64 s[6:7], s[50:51], exec
	s_or_b64 s[50:51], s[50:51], exec
	s_andn2_b64 s[48:49], s[48:49], exec
	s_andn2_b64 s[46:47], s[46:47], exec
	s_and_b64 s[52:53], s[52:53], exec
	s_andn2_b64 s[44:45], s[44:45], exec
	s_or_b64 exec, exec, s[56:57]
	s_and_saveexec_b64 s[4:5], s[44:45]
	s_cbranch_execz .LBB35_51
.LBB35_55:                              ;   in Loop: Header=BB35_3 Depth=1
	v_cmp_eq_u32_e32 vcc, 1, v11
	s_andn2_b64 s[44:45], s[52:53], exec
	s_and_b64 s[52:53], vcc, exec
	s_andn2_b64 s[6:7], s[6:7], exec
	s_andn2_b64 s[50:51], s[50:51], exec
	;; [unrolled: 1-line block ×4, first 2 shown]
	s_or_b64 s[8:9], s[8:9], exec
	s_or_b64 s[52:53], s[44:45], s[52:53]
	s_or_b64 exec, exec, s[4:5]
	s_and_saveexec_b64 s[44:45], s[52:53]
	s_cbranch_execz .LBB35_59
.LBB35_56:                              ;   in Loop: Header=BB35_3 Depth=1
	s_waitcnt vmcnt(3)
	v_cmp_le_f32_e32 vcc, 0, v27
	v_cmp_ge_f32_e64 s[4:5], 1.0, v27
	s_and_b64 s[54:55], vcc, s[4:5]
	s_mov_b64 s[4:5], 0
	s_and_saveexec_b64 s[52:53], s[54:55]
	s_cbranch_execz .LBB35_58
; %bb.57:                               ;   in Loop: Header=BB35_3 Depth=1
	v_cvt_f32_u32_e32 v6, v6
	v_mov_b32_e32 v8, 0x2f800000
	s_waitcnt vmcnt(0)
	v_cndmask_b32_e64 v2, 0, v1, s[2:3]
	v_mov_b32_e32 v1, s11
	v_fmac_f32_e32 v8, 0x2f800000, v6
	v_lshlrev_b64 v[6:7], 2, v[2:3]
	v_add_co_u32_e32 v6, vcc, s10, v6
	v_addc_co_u32_e32 v7, vcc, v1, v7, vcc
	v_cmp_le_f32_e32 vcc, v8, v27
	s_mov_b64 s[4:5], exec
	v_cndmask_b32_e64 v1, 0, 1, vcc
	global_store_dword v[6:7], v1, off
.LBB35_58:                              ;   in Loop: Header=BB35_3 Depth=1
	s_or_b64 exec, exec, s[52:53]
	s_andn2_b64 s[2:3], s[8:9], exec
	s_and_b64 s[4:5], s[4:5], exec
	s_or_b64 s[6:7], s[6:7], exec
	s_andn2_b64 s[50:51], s[50:51], exec
	s_andn2_b64 s[48:49], s[48:49], exec
	;; [unrolled: 1-line block ×3, first 2 shown]
	s_or_b64 s[8:9], s[2:3], s[4:5]
.LBB35_59:                              ;   in Loop: Header=BB35_3 Depth=1
	s_or_b64 exec, exec, s[44:45]
	s_andn2_b64 s[4:5], s[42:43], exec
	s_and_b64 s[6:7], s[6:7], exec
	s_or_b64 s[42:43], s[4:5], s[6:7]
	s_andn2_b64 s[4:5], s[40:41], exec
	s_and_b64 s[6:7], s[50:51], exec
	s_or_b64 s[40:41], s[4:5], s[6:7]
	;; [unrolled: 3-line block ×3, first 2 shown]
	s_andn2_b64 s[4:5], s[36:37], exec
	s_and_b64 s[6:7], s[46:47], exec
	s_mov_b64 s[2:3], -1
	s_or_b64 s[36:37], s[4:5], s[6:7]
	s_and_saveexec_b64 s[4:5], s[8:9]
	s_cbranch_execz .LBB35_2
; %bb.60:                               ;   in Loop: Header=BB35_3 Depth=1
	v_add_u32_e32 v24, s63, v24
	v_cmp_le_u32_e32 vcc, s33, v24
	s_andn2_b64 s[42:43], s[42:43], exec
	s_andn2_b64 s[40:41], s[40:41], exec
	;; [unrolled: 1-line block ×4, first 2 shown]
	s_orn2_b64 s[2:3], vcc, exec
	s_branch .LBB35_2
.LBB35_61:
	s_or_b64 exec, exec, s[26:27]
	s_xor_b64 s[6:7], s[34:35], -1
	s_xor_b64 s[8:9], s[30:31], -1
	;; [unrolled: 1-line block ×3, first 2 shown]
	s_mov_b64 s[2:3], 0
	s_and_saveexec_b64 s[4:5], s[0:1]
	s_xor_b64 s[0:1], exec, s[4:5]
	s_cbranch_execnz .LBB35_66
; %bb.62:
	s_andn2_saveexec_b64 s[0:1], s[0:1]
	s_cbranch_execnz .LBB35_74
.LBB35_63:
	s_or_b64 exec, exec, s[0:1]
	s_and_b64 exec, exec, s[2:3]
.LBB35_64:
	; divergent unreachable
.LBB35_65:
	s_endpgm
.LBB35_66:
	s_mov_b64 s[4:5], 0
	s_and_saveexec_b64 s[2:3], s[8:9]
	s_xor_b64 s[2:3], exec, s[2:3]
	s_cbranch_execz .LBB35_72
; %bb.67:
	s_and_saveexec_b64 s[8:9], s[6:7]
	s_xor_b64 s[6:7], exec, s[8:9]
	s_cbranch_execz .LBB35_70
; %bb.68:
	s_and_saveexec_b64 s[8:9], s[20:21]
	s_xor_b64 s[8:9], exec, s[8:9]
	s_cbranch_execnz .LBB35_77
.LBB35_69:
	s_or_b64 exec, exec, s[8:9]
	s_and_b64 s[4:5], s[4:5], exec
.LBB35_70:
	s_andn2_saveexec_b64 s[6:7], s[6:7]
	s_cbranch_execnz .LBB35_76
.LBB35_71:
	s_or_b64 exec, exec, s[6:7]
	s_and_b64 s[4:5], s[4:5], exec
.LBB35_72:
	s_andn2_saveexec_b64 s[2:3], s[2:3]
	s_cbranch_execnz .LBB35_75
.LBB35_73:
	s_or_b64 exec, exec, s[2:3]
	s_and_b64 s[2:3], s[4:5], exec
	s_andn2_saveexec_b64 s[0:1], s[0:1]
	s_cbranch_execz .LBB35_63
.LBB35_74:
	s_or_b64 s[2:3], s[2:3], exec
	s_trap 2
	s_or_b64 exec, exec, s[0:1]
	s_and_b64 exec, exec, s[2:3]
	s_cbranch_execnz .LBB35_64
	s_branch .LBB35_65
.LBB35_75:
	s_or_b64 s[4:5], s[4:5], exec
	s_trap 2
	s_branch .LBB35_73
.LBB35_76:
	s_trap 2
	s_or_b64 s[4:5], s[4:5], exec
	s_branch .LBB35_71
.LBB35_77:
	s_mov_b64 s[4:5], exec
	s_trap 2
	s_branch .LBB35_69
	.section	.rodata,"a",@progbits
	.p2align	6, 0x0
	.amdhsa_kernel _ZN2at4cuda12_GLOBAL__N_121kernelPointwiseApply2IZNS_6native9templates4cuda28bernoulli_tensor_cuda_kernelIifEEvRKNS_10TensorBaseES9_NS_15PhiloxCudaStateEEUliRiSB_SB_SB_RKfSD_SD_SD_E_iSC_jLi1ELin1ELi4ELi512ELi2EEEvNS0_6detail10TensorInfoIT0_T2_EENSG_IT1_SI_EESI_T_
		.amdhsa_group_segment_fixed_size 0
		.amdhsa_private_segment_fixed_size 0
		.amdhsa_kernarg_size 728
		.amdhsa_user_sgpr_count 6
		.amdhsa_user_sgpr_private_segment_buffer 1
		.amdhsa_user_sgpr_dispatch_ptr 0
		.amdhsa_user_sgpr_queue_ptr 0
		.amdhsa_user_sgpr_kernarg_segment_ptr 1
		.amdhsa_user_sgpr_dispatch_id 0
		.amdhsa_user_sgpr_flat_scratch_init 0
		.amdhsa_user_sgpr_kernarg_preload_length 0
		.amdhsa_user_sgpr_kernarg_preload_offset 0
		.amdhsa_user_sgpr_private_segment_size 0
		.amdhsa_uses_dynamic_stack 0
		.amdhsa_system_sgpr_private_segment_wavefront_offset 0
		.amdhsa_system_sgpr_workgroup_id_x 1
		.amdhsa_system_sgpr_workgroup_id_y 0
		.amdhsa_system_sgpr_workgroup_id_z 0
		.amdhsa_system_sgpr_workgroup_info 0
		.amdhsa_system_vgpr_workitem_id 0
		.amdhsa_next_free_vgpr 49
		.amdhsa_next_free_sgpr 67
		.amdhsa_accum_offset 52
		.amdhsa_reserve_vcc 1
		.amdhsa_reserve_flat_scratch 0
		.amdhsa_float_round_mode_32 0
		.amdhsa_float_round_mode_16_64 0
		.amdhsa_float_denorm_mode_32 3
		.amdhsa_float_denorm_mode_16_64 3
		.amdhsa_dx10_clamp 1
		.amdhsa_ieee_mode 1
		.amdhsa_fp16_overflow 0
		.amdhsa_tg_split 0
		.amdhsa_exception_fp_ieee_invalid_op 0
		.amdhsa_exception_fp_denorm_src 0
		.amdhsa_exception_fp_ieee_div_zero 0
		.amdhsa_exception_fp_ieee_overflow 0
		.amdhsa_exception_fp_ieee_underflow 0
		.amdhsa_exception_fp_ieee_inexact 0
		.amdhsa_exception_int_div_zero 0
	.end_amdhsa_kernel
	.section	.text._ZN2at4cuda12_GLOBAL__N_121kernelPointwiseApply2IZNS_6native9templates4cuda28bernoulli_tensor_cuda_kernelIifEEvRKNS_10TensorBaseES9_NS_15PhiloxCudaStateEEUliRiSB_SB_SB_RKfSD_SD_SD_E_iSC_jLi1ELin1ELi4ELi512ELi2EEEvNS0_6detail10TensorInfoIT0_T2_EENSG_IT1_SI_EESI_T_,"axG",@progbits,_ZN2at4cuda12_GLOBAL__N_121kernelPointwiseApply2IZNS_6native9templates4cuda28bernoulli_tensor_cuda_kernelIifEEvRKNS_10TensorBaseES9_NS_15PhiloxCudaStateEEUliRiSB_SB_SB_RKfSD_SD_SD_E_iSC_jLi1ELin1ELi4ELi512ELi2EEEvNS0_6detail10TensorInfoIT0_T2_EENSG_IT1_SI_EESI_T_,comdat
.Lfunc_end35:
	.size	_ZN2at4cuda12_GLOBAL__N_121kernelPointwiseApply2IZNS_6native9templates4cuda28bernoulli_tensor_cuda_kernelIifEEvRKNS_10TensorBaseES9_NS_15PhiloxCudaStateEEUliRiSB_SB_SB_RKfSD_SD_SD_E_iSC_jLi1ELin1ELi4ELi512ELi2EEEvNS0_6detail10TensorInfoIT0_T2_EENSG_IT1_SI_EESI_T_, .Lfunc_end35-_ZN2at4cuda12_GLOBAL__N_121kernelPointwiseApply2IZNS_6native9templates4cuda28bernoulli_tensor_cuda_kernelIifEEvRKNS_10TensorBaseES9_NS_15PhiloxCudaStateEEUliRiSB_SB_SB_RKfSD_SD_SD_E_iSC_jLi1ELin1ELi4ELi512ELi2EEEvNS0_6detail10TensorInfoIT0_T2_EENSG_IT1_SI_EESI_T_
                                        ; -- End function
	.section	.AMDGPU.csdata,"",@progbits
; Kernel info:
; codeLenInByte = 3504
; NumSgprs: 71
; NumVgprs: 49
; NumAgprs: 0
; TotalNumVgprs: 49
; ScratchSize: 0
; MemoryBound: 0
; FloatMode: 240
; IeeeMode: 1
; LDSByteSize: 0 bytes/workgroup (compile time only)
; SGPRBlocks: 8
; VGPRBlocks: 6
; NumSGPRsForWavesPerEU: 71
; NumVGPRsForWavesPerEU: 49
; AccumOffset: 52
; Occupancy: 8
; WaveLimiterHint : 1
; COMPUTE_PGM_RSRC2:SCRATCH_EN: 0
; COMPUTE_PGM_RSRC2:USER_SGPR: 6
; COMPUTE_PGM_RSRC2:TRAP_HANDLER: 0
; COMPUTE_PGM_RSRC2:TGID_X_EN: 1
; COMPUTE_PGM_RSRC2:TGID_Y_EN: 0
; COMPUTE_PGM_RSRC2:TGID_Z_EN: 0
; COMPUTE_PGM_RSRC2:TIDIG_COMP_CNT: 0
; COMPUTE_PGM_RSRC3_GFX90A:ACCUM_OFFSET: 12
; COMPUTE_PGM_RSRC3_GFX90A:TG_SPLIT: 0
	.section	.text._ZN2at4cuda12_GLOBAL__N_121kernelPointwiseApply2IZNS_6native9templates4cuda28bernoulli_tensor_cuda_kernelIifEEvRKNS_10TensorBaseES9_NS_15PhiloxCudaStateEEUliRiSB_SB_SB_RKfSD_SD_SD_E_iSC_jLi2ELi1ELi4ELi512ELi2EEEvNS0_6detail10TensorInfoIT0_T2_EENSG_IT1_SI_EESI_T_,"axG",@progbits,_ZN2at4cuda12_GLOBAL__N_121kernelPointwiseApply2IZNS_6native9templates4cuda28bernoulli_tensor_cuda_kernelIifEEvRKNS_10TensorBaseES9_NS_15PhiloxCudaStateEEUliRiSB_SB_SB_RKfSD_SD_SD_E_iSC_jLi2ELi1ELi4ELi512ELi2EEEvNS0_6detail10TensorInfoIT0_T2_EENSG_IT1_SI_EESI_T_,comdat
	.globl	_ZN2at4cuda12_GLOBAL__N_121kernelPointwiseApply2IZNS_6native9templates4cuda28bernoulli_tensor_cuda_kernelIifEEvRKNS_10TensorBaseES9_NS_15PhiloxCudaStateEEUliRiSB_SB_SB_RKfSD_SD_SD_E_iSC_jLi2ELi1ELi4ELi512ELi2EEEvNS0_6detail10TensorInfoIT0_T2_EENSG_IT1_SI_EESI_T_ ; -- Begin function _ZN2at4cuda12_GLOBAL__N_121kernelPointwiseApply2IZNS_6native9templates4cuda28bernoulli_tensor_cuda_kernelIifEEvRKNS_10TensorBaseES9_NS_15PhiloxCudaStateEEUliRiSB_SB_SB_RKfSD_SD_SD_E_iSC_jLi2ELi1ELi4ELi512ELi2EEEvNS0_6detail10TensorInfoIT0_T2_EENSG_IT1_SI_EESI_T_
	.p2align	8
	.type	_ZN2at4cuda12_GLOBAL__N_121kernelPointwiseApply2IZNS_6native9templates4cuda28bernoulli_tensor_cuda_kernelIifEEvRKNS_10TensorBaseES9_NS_15PhiloxCudaStateEEUliRiSB_SB_SB_RKfSD_SD_SD_E_iSC_jLi2ELi1ELi4ELi512ELi2EEEvNS0_6detail10TensorInfoIT0_T2_EENSG_IT1_SI_EESI_T_,@function
_ZN2at4cuda12_GLOBAL__N_121kernelPointwiseApply2IZNS_6native9templates4cuda28bernoulli_tensor_cuda_kernelIifEEvRKNS_10TensorBaseES9_NS_15PhiloxCudaStateEEUliRiSB_SB_SB_RKfSD_SD_SD_E_iSC_jLi2ELi1ELi4ELi512ELi2EEEvNS0_6detail10TensorInfoIT0_T2_EENSG_IT1_SI_EESI_T_: ; @_ZN2at4cuda12_GLOBAL__N_121kernelPointwiseApply2IZNS_6native9templates4cuda28bernoulli_tensor_cuda_kernelIifEEvRKNS_10TensorBaseES9_NS_15PhiloxCudaStateEEUliRiSB_SB_SB_RKfSD_SD_SD_E_iSC_jLi2ELi1ELi4ELi512ELi2EEEvNS0_6detail10TensorInfoIT0_T2_EENSG_IT1_SI_EESI_T_
; %bb.0:
	s_load_dword s2, s[4:5], 0x1e4
	s_load_dword s33, s[4:5], 0x1b0
	s_add_u32 s0, s4, 0x1d8
	s_addc_u32 s1, s5, 0
	s_waitcnt lgkmcnt(0)
	s_and_b32 s2, s2, 0xffff
	s_mul_i32 s6, s6, s2
	v_add_u32_e32 v1, s6, v0
	v_lshlrev_b32_e32 v0, 2, v1
	v_cmp_gt_u32_e32 vcc, s33, v0
	s_and_saveexec_b64 s[6:7], vcc
	s_cbranch_execz .LBB36_51
; %bb.1:
	s_load_dwordx2 s[12:13], s[4:5], 0x0
	s_load_dword s52, s[4:5], 0xc
	s_load_dwordx2 s[14:15], s[4:5], 0x6c
	s_load_dwordx2 s[16:17], s[4:5], 0xd8
	s_load_dword s3, s[0:1], 0x0
	s_load_dwordx2 s[18:19], s[4:5], 0x1c8
	s_load_dword s6, s[4:5], 0x1d0
	s_load_dword s7, s[4:5], 0x144
	s_load_dwordx4 s[8:11], s[4:5], 0x1b8
	s_waitcnt lgkmcnt(0)
	v_cvt_f32_u32_e32 v2, s52
	s_mov_b32 s53, 0xcd9e8d57
	s_bitcmp1_b32 s6, 0
	s_cselect_b64 s[22:23], -1, 0
	v_rcp_iflag_f32_e32 v4, v2
	v_mad_u64_u32 v[2:3], s[0:1], v1, s53, 0
	s_sub_i32 s56, 0, s52
	v_mul_f32_e32 v4, 0x4f7ffffe, v4
	v_cvt_u32_f32_e32 v4, v4
	v_mov_b32_e32 v6, v3
	s_mul_i32 s3, s3, s2
	s_lshl_b32 s55, s3, 2
	v_mul_lo_u32 v3, s56, v4
	v_mul_hi_u32 v3, v4, v3
	v_add_u32_e32 v3, v4, v3
	v_add_u32_e32 v4, 2, v0
	v_mul_lo_u32 v32, v0, s7
	v_mul_lo_u32 v34, s7, v4
	v_add_u32_e32 v4, 3, v0
	s_mov_b32 s54, 0
	v_mov_b32_e32 v5, 0
	v_sub_u32_e32 v7, s33, v0
	v_add_u32_e32 v33, s7, v32
	s_mul_i32 s57, s55, s7
	v_mul_lo_u32 v35, s7, v4
	s_mov_b64 s[24:25], 0
	s_mov_b32 s58, 0xd2511f53
	s_mov_b32 s59, 0xf1bbcdc8
                                        ; implicit-def: $sgpr26_sgpr27
                                        ; implicit-def: $sgpr28_sgpr29
                                        ; implicit-def: $sgpr30_sgpr31
                                        ; implicit-def: $sgpr20_sgpr21
                                        ; implicit-def: $sgpr34_sgpr35
                                        ; implicit-def: $sgpr36_sgpr37
                                        ; implicit-def: $sgpr38_sgpr39
                                        ; implicit-def: $sgpr40_sgpr41
	s_branch .LBB36_3
.LBB36_2:                               ;   in Loop: Header=BB36_3 Depth=1
	s_or_b64 exec, exec, s[2:3]
	s_and_b64 s[0:1], exec, s[0:1]
	s_or_b64 s[24:25], s[0:1], s[24:25]
	s_andn2_b64 s[0:1], s[20:21], exec
	s_and_b64 s[2:3], s[40:41], exec
	s_or_b64 s[20:21], s[0:1], s[2:3]
	s_andn2_b64 s[0:1], s[30:31], exec
	s_and_b64 s[2:3], s[38:39], exec
	;; [unrolled: 3-line block ×4, first 2 shown]
	s_or_b64 s[26:27], s[0:1], s[2:3]
	s_andn2_b64 exec, exec, s[24:25]
	s_cbranch_execz .LBB36_47
.LBB36_3:                               ; =>This Inner Loop Header: Depth=1
	v_pk_mov_b32 v[10:11], 0, 0
	v_cmp_lt_i32_e32 vcc, 0, v7
	v_pk_mov_b32 v[8:9], v[10:11], v[10:11] op_sel:[0,1]
	s_and_saveexec_b64 s[2:3], vcc
	s_cbranch_execz .LBB36_5
; %bb.4:                                ;   in Loop: Header=BB36_3 Depth=1
	s_waitcnt vmcnt(3)
	v_mul_hi_u32 v4, v3, v0
	v_not_b32_e32 v12, v4
	v_mad_u64_u32 v[8:9], s[0:1], s56, v4, v[0:1]
	v_add_u32_e32 v9, 1, v4
	v_cmp_le_u32_e64 s[0:1], s52, v8
	v_mad_u64_u32 v[12:13], s[4:5], s52, v12, v[0:1]
	v_cndmask_b32_e64 v4, v4, v9, s[0:1]
	v_cndmask_b32_e64 v8, v8, v12, s[0:1]
	v_add_u32_e32 v9, 1, v4
	v_cmp_le_u32_e64 s[0:1], s52, v8
	v_cndmask_b32_e64 v12, v4, v9, s[0:1]
	v_mad_u64_u32 v[8:9], s[0:1], s56, v12, v[0:1]
	v_mul_lo_u32 v4, v8, s15
	v_mad_u64_u32 v[8:9], s[0:1], v12, s14, v[4:5]
	v_mov_b32_e32 v9, v5
.LBB36_5:                               ;   in Loop: Header=BB36_3 Depth=1
	s_or_b64 exec, exec, s[2:3]
	v_cmp_lt_i32_e64 s[0:1], 1, v7
	s_and_saveexec_b64 s[4:5], s[0:1]
	s_cbranch_execz .LBB36_7
; %bb.6:                                ;   in Loop: Header=BB36_3 Depth=1
	s_waitcnt vmcnt(3)
	v_add_u32_e32 v4, 1, v0
	v_mul_hi_u32 v10, v4, v3
	v_mul_lo_u32 v11, v10, s52
	v_sub_u32_e32 v11, v4, v11
	v_add_u32_e32 v12, 1, v10
	v_cmp_le_u32_e64 s[2:3], s52, v11
	v_cndmask_b32_e64 v10, v10, v12, s[2:3]
	v_subrev_u32_e32 v12, s52, v11
	v_cndmask_b32_e64 v11, v11, v12, s[2:3]
	v_add_u32_e32 v12, 1, v10
	v_cmp_le_u32_e64 s[2:3], s52, v11
	v_cndmask_b32_e64 v10, v10, v12, s[2:3]
	v_mul_lo_u32 v11, v10, s52
	v_sub_u32_e32 v4, v4, v11
	v_mul_lo_u32 v4, v4, s15
	v_mad_u64_u32 v[10:11], s[2:3], v10, s14, v[4:5]
	v_mov_b32_e32 v11, v5
.LBB36_7:                               ;   in Loop: Header=BB36_3 Depth=1
	s_or_b64 exec, exec, s[4:5]
	v_pk_mov_b32 v[16:17], 0, 0
	v_cmp_lt_i32_e64 s[2:3], 2, v7
	v_pk_mov_b32 v[14:15], v[16:17], v[16:17] op_sel:[0,1]
	s_and_saveexec_b64 s[6:7], s[2:3]
	s_cbranch_execz .LBB36_9
; %bb.8:                                ;   in Loop: Header=BB36_3 Depth=1
	s_waitcnt vmcnt(3)
	v_add_u32_e32 v4, 2, v0
	v_mul_hi_u32 v12, v4, v3
	v_mul_lo_u32 v13, v12, s52
	v_sub_u32_e32 v13, v4, v13
	v_add_u32_e32 v14, 1, v12
	v_cmp_le_u32_e64 s[4:5], s52, v13
	v_cndmask_b32_e64 v12, v12, v14, s[4:5]
	v_subrev_u32_e32 v14, s52, v13
	v_cndmask_b32_e64 v13, v13, v14, s[4:5]
	v_add_u32_e32 v14, 1, v12
	v_cmp_le_u32_e64 s[4:5], s52, v13
	v_cndmask_b32_e64 v12, v12, v14, s[4:5]
	v_mul_lo_u32 v13, v12, s52
	v_sub_u32_e32 v4, v4, v13
	v_mul_lo_u32 v4, v4, s15
	v_mad_u64_u32 v[14:15], s[4:5], v12, s14, v[4:5]
	v_mov_b32_e32 v15, v5
.LBB36_9:                               ;   in Loop: Header=BB36_3 Depth=1
	s_or_b64 exec, exec, s[6:7]
	v_cmp_lt_i32_e64 s[4:5], 3, v7
	s_and_saveexec_b64 s[42:43], s[4:5]
	s_cbranch_execz .LBB36_11
; %bb.10:                               ;   in Loop: Header=BB36_3 Depth=1
	s_waitcnt vmcnt(3)
	v_add_u32_e32 v4, 3, v0
	v_mul_hi_u32 v12, v4, v3
	v_mul_lo_u32 v13, v12, s52
	v_sub_u32_e32 v13, v4, v13
	v_add_u32_e32 v16, 1, v12
	v_cmp_le_u32_e64 s[6:7], s52, v13
	v_cndmask_b32_e64 v12, v12, v16, s[6:7]
	v_subrev_u32_e32 v16, s52, v13
	v_cndmask_b32_e64 v13, v13, v16, s[6:7]
	v_add_u32_e32 v16, 1, v12
	v_cmp_le_u32_e64 s[6:7], s52, v13
	v_cndmask_b32_e64 v12, v12, v16, s[6:7]
	v_mul_lo_u32 v13, v12, s52
	v_sub_u32_e32 v4, v4, v13
	v_mul_lo_u32 v4, v4, s15
	v_mad_u64_u32 v[16:17], s[6:7], v12, s14, v[4:5]
	v_mov_b32_e32 v17, v5
.LBB36_11:                              ;   in Loop: Header=BB36_3 Depth=1
	s_or_b64 exec, exec, s[42:43]
	s_waitcnt vmcnt(3)
	v_add_u32_e32 v4, s54, v32
	v_cndmask_b32_e32 v4, 0, v4, vcc
	v_add_u32_e32 v18, s54, v33
	v_lshlrev_b64 v[12:13], 2, v[4:5]
	v_mov_b32_e32 v24, s17
	v_add_co_u32_e32 v12, vcc, s16, v12
	v_cndmask_b32_e64 v4, 0, v18, s[0:1]
	v_add_u32_e32 v20, s54, v34
	v_addc_co_u32_e32 v13, vcc, v24, v13, vcc
	v_lshlrev_b64 v[18:19], 2, v[4:5]
	v_add_co_u32_e32 v18, vcc, s16, v18
	v_cndmask_b32_e64 v4, 0, v20, s[2:3]
	v_add_u32_e32 v22, s54, v35
	v_addc_co_u32_e32 v19, vcc, v24, v19, vcc
	v_lshlrev_b64 v[20:21], 2, v[4:5]
	v_add_co_u32_e32 v20, vcc, s16, v20
	v_cndmask_b32_e64 v4, 0, v22, s[4:5]
	v_addc_co_u32_e32 v21, vcc, v24, v21, vcc
	v_lshlrev_b64 v[22:23], 2, v[4:5]
	v_add_co_u32_e32 v22, vcc, s16, v22
	v_addc_co_u32_e32 v23, vcc, v24, v23, vcc
	global_load_dword v4, v[12:13], off
	global_load_dword v36, v[18:19], off
	;; [unrolled: 1-line block ×4, first 2 shown]
	s_andn2_b64 vcc, exec, s[22:23]
	v_pk_mov_b32 v[12:13], s[10:11], s[10:11] op_sel:[0,1]
	v_pk_mov_b32 v[18:19], s[8:9], s[8:9] op_sel:[0,1]
	s_cbranch_vccnz .LBB36_13
; %bb.12:                               ;   in Loop: Header=BB36_3 Depth=1
	v_pk_mov_b32 v[12:13], s[10:11], s[10:11] op_sel:[0,1]
	flat_load_dwordx2 v[12:13], v[12:13]
	v_pk_mov_b32 v[18:19], s[8:9], s[8:9] op_sel:[0,1]
	flat_load_dwordx2 v[18:19], v[18:19]
	v_mov_b32_e32 v20, s19
	s_waitcnt vmcnt(0) lgkmcnt(0)
	v_add_co_u32_e32 v12, vcc, s18, v12
	v_addc_co_u32_e32 v13, vcc, v13, v20, vcc
.LBB36_13:                              ;   in Loop: Header=BB36_3 Depth=1
	v_alignbit_b32 v28, v13, v12, 2
	v_lshrrev_b32_e32 v29, 2, v13
	v_xor_b32_e32 v20, v6, v18
	v_and_b32_e32 v39, 3, v12
	v_mad_u64_u32 v[12:13], s[0:1], v28, s58, 0
	v_xor_b32_e32 v20, v20, v29
	v_xor_b32_e32 v13, v13, v19
	v_add_u32_e32 v44, 0xbb67ae85, v19
	v_mad_u64_u32 v[20:21], s[0:1], v20, s58, 0
	v_mad_u64_u32 v[22:23], s[0:1], v13, s53, 0
	v_xor_b32_e32 v21, v44, v21
	v_add_u32_e32 v43, 0x9e3779b9, v18
	v_xor_b32_e32 v13, v2, v23
	v_xor_b32_e32 v21, v21, v12
	v_xor_b32_e32 v13, v13, v43
	v_add_u32_e32 v45, 0x3c6ef372, v18
	v_mad_u64_u32 v[24:25], s[0:1], v21, s53, 0
	v_add_u32_e32 v46, 0x76cf5d0a, v19
	v_mad_u64_u32 v[12:13], s[0:1], v13, s58, 0
	v_xor_b32_e32 v21, v45, v25
	v_xor_b32_e32 v21, v21, v22
	v_xor_b32_e32 v13, v46, v13
	v_xor_b32_e32 v13, v13, v20
	v_add_u32_e32 v48, 0x32370b8f, v19
	v_mad_u64_u32 v[20:21], s[0:1], v21, s58, 0
	v_add_u32_e32 v47, 0xdaa66d2b, v18
	v_mad_u64_u32 v[22:23], s[0:1], v13, s53, 0
	v_xor_b32_e32 v21, v48, v21
	;; [unrolled: 8-line block ×5, first 2 shown]
	v_xor_b32_e32 v21, v21, v22
	v_xor_b32_e32 v13, v54, v13
	;; [unrolled: 1-line block ×3, first 2 shown]
	v_add_u32_e32 v56, 0x1fd5c5a3, v19
	v_mad_u64_u32 v[20:21], s[0:1], v21, s58, 0
	v_xor_b32_e32 v21, v56, v21
	v_xor_b32_e32 v12, v21, v12
	v_add_u32_e32 v55, 0x5384540f, v18
	v_mad_u64_u32 v[26:27], s[0:1], v13, s53, 0
	v_add_co_u32_e32 v41, vcc, s59, v18
	v_mad_u64_u32 v[22:23], s[0:1], v12, s53, 0
	v_xor_b32_e32 v13, v55, v27
	v_xor_b32_e32 v12, v41, v23
	;; [unrolled: 1-line block ×4, first 2 shown]
	v_mad_u64_u32 v[24:25], s[0:1], v13, s58, 0
	v_mad_u64_u32 v[12:13], s[0:1], v12, s58, 0
	v_add_u32_e32 v42, 0x96a522ad, v19
	v_xor_b32_e32 v13, v13, v24
	v_xor_b32_e32 v40, v42, v13
	v_add_co_u32_e32 v13, vcc, 1, v28
	v_cndmask_b32_e64 v24, 0, 1, vcc
	v_addc_co_u32_e32 v30, vcc, 0, v29, vcc
	v_cmp_eq_u32_e32 vcc, 0, v30
	v_cndmask_b32_e32 v24, 0, v24, vcc
	v_add_u32_e32 v28, v24, v1
	v_cmp_eq_u32_e32 vcc, 0, v28
	v_mad_u64_u32 v[26:27], s[0:1], v13, s58, 0
	v_mad_u64_u32 v[28:29], s[0:1], v28, s53, 0
	v_add_u32_e32 v23, 0x8ff34781, v18
	v_cndmask_b32_e32 v24, 0, v24, vcc
	v_xor_b32_e32 v13, v29, v18
	v_xor_b32_e32 v18, v27, v19
	v_xor_b32_e32 v24, v24, v18
	v_xor_b32_e32 v13, v30, v13
	v_mad_u64_u32 v[30:31], s[0:1], v24, s53, 0
	v_add_u32_e32 v21, 0xdb3d7428, v19
	v_mad_u64_u32 v[18:19], s[0:1], v13, s58, 0
	v_xor_b32_e32 v13, v43, v31
	v_xor_b32_e32 v13, v13, v28
	v_xor_b32_e32 v19, v44, v19
	v_xor_b32_e32 v19, v19, v26
	v_mad_u64_u32 v[26:27], s[0:1], v13, s58, 0
	v_mad_u64_u32 v[28:29], s[0:1], v19, s53, 0
	v_xor_b32_e32 v19, v46, v27
	v_xor_b32_e32 v13, v45, v29
	v_xor_b32_e32 v24, v19, v18
	v_xor_b32_e32 v13, v13, v30
	v_mad_u64_u32 v[30:31], s[0:1], v24, s53, 0
	;; [unrolled: 6-line block ×7, first 2 shown]
	v_xor_b32_e32 v13, v21, v29
	v_xor_b32_e32 v13, v13, v18
	v_mad_u64_u32 v[30:31], s[0:1], v19, s53, 0
	v_mad_u64_u32 v[18:19], s[0:1], v13, s53, 0
	v_xor_b32_e32 v13, v19, v30
	v_xor_b32_e32 v13, v23, v13
	v_cmp_lt_i32_e32 vcc, 1, v39
                                        ; implicit-def: $vgpr27
	s_and_saveexec_b64 s[0:1], vcc
	s_xor_b64 s[0:1], exec, s[0:1]
	s_cbranch_execz .LBB36_19
; %bb.14:                               ;   in Loop: Header=BB36_3 Depth=1
	v_cmp_lt_i32_e32 vcc, 2, v39
                                        ; implicit-def: $vgpr27
	s_and_saveexec_b64 s[2:3], vcc
	s_xor_b64 s[2:3], exec, s[2:3]
; %bb.15:                               ;   in Loop: Header=BB36_3 Depth=1
	v_xor_b32_e32 v19, v41, v31
	v_xor_b32_e32 v19, v19, v26
	v_mul_hi_u32 v19, v19, s58
	v_xor_b32_e32 v19, v19, v28
	v_xor_b32_e32 v27, v42, v19
                                        ; implicit-def: $vgpr40
; %bb.16:                               ;   in Loop: Header=BB36_3 Depth=1
	s_andn2_saveexec_b64 s[2:3], s[2:3]
; %bb.17:                               ;   in Loop: Header=BB36_3 Depth=1
	v_mov_b32_e32 v27, v18
	v_mov_b32_e32 v18, v13
	v_mov_b32_e32 v13, v12
	v_mov_b32_e32 v12, v40
; %bb.18:                               ;   in Loop: Header=BB36_3 Depth=1
	s_or_b64 exec, exec, s[2:3]
                                        ; implicit-def: $vgpr20_vgpr21
                                        ; implicit-def: $vgpr22_vgpr23
                                        ; implicit-def: $vgpr39
                                        ; implicit-def: $vgpr40
                                        ; implicit-def: $vgpr24_vgpr25
                                        ; implicit-def: $vgpr21
                                        ; implicit-def: $vgpr23
.LBB36_19:                              ;   in Loop: Header=BB36_3 Depth=1
	s_andn2_saveexec_b64 s[0:1], s[0:1]
	s_cbranch_execz .LBB36_23
; %bb.20:                               ;   in Loop: Header=BB36_3 Depth=1
	v_xor_b32_e32 v18, v21, v25
	v_xor_b32_e32 v18, v18, v20
	v_mad_u64_u32 v[20:21], s[2:3], v18, s53, 0
	v_xor_b32_e32 v18, v21, v22
	v_xor_b32_e32 v19, v23, v18
	v_cmp_eq_u32_e32 vcc, 1, v39
	v_mov_b32_e32 v27, v12
	v_mov_b32_e32 v18, v40
	;; [unrolled: 1-line block ×3, first 2 shown]
	s_and_saveexec_b64 s[2:3], vcc
; %bb.21:                               ;   in Loop: Header=BB36_3 Depth=1
	v_mov_b32_e32 v27, v13
	v_mov_b32_e32 v18, v12
	;; [unrolled: 1-line block ×4, first 2 shown]
; %bb.22:                               ;   in Loop: Header=BB36_3 Depth=1
	s_or_b64 exec, exec, s[2:3]
	v_mov_b32_e32 v12, v19
	v_mov_b32_e32 v13, v21
.LBB36_23:                              ;   in Loop: Header=BB36_3 Depth=1
	s_or_b64 exec, exec, s[0:1]
	v_min_i32_e32 v19, 4, v7
	v_cmp_lt_i32_e32 vcc, 2, v19
	s_mov_b64 s[2:3], 0
	s_mov_b64 s[48:49], 0
                                        ; implicit-def: $sgpr4_sgpr5
                                        ; implicit-def: $sgpr6_sgpr7
                                        ; implicit-def: $sgpr42_sgpr43
	s_and_saveexec_b64 s[0:1], vcc
	s_xor_b64 s[44:45], exec, s[0:1]
	s_cbranch_execz .LBB36_33
; %bb.24:                               ;   in Loop: Header=BB36_3 Depth=1
	v_cmp_lt_i32_e32 vcc, 3, v19
	s_mov_b64 s[42:43], -1
                                        ; implicit-def: $sgpr4_sgpr5
                                        ; implicit-def: $sgpr46_sgpr47
	s_and_saveexec_b64 s[6:7], vcc
	s_cbranch_execz .LBB36_28
; %bb.25:                               ;   in Loop: Header=BB36_3 Depth=1
	s_waitcnt vmcnt(0)
	v_cmp_le_f32_e32 vcc, 0, v38
	v_cmp_ge_f32_e64 s[0:1], 1.0, v38
	s_and_b64 s[46:47], vcc, s[0:1]
	s_mov_b64 s[4:5], 0
	s_mov_b64 s[0:1], 0
	s_and_saveexec_b64 s[42:43], s[46:47]
	s_cbranch_execz .LBB36_27
; %bb.26:                               ;   in Loop: Header=BB36_3 Depth=1
	v_cvt_f32_u32_e32 v20, v27
	v_mov_b32_e32 v21, 0x2f800000
	v_lshlrev_b64 v[16:17], 2, v[16:17]
	v_add_co_u32_e32 v16, vcc, s12, v16
	v_fmac_f32_e32 v21, 0x2f800000, v20
	v_mov_b32_e32 v20, s13
	v_addc_co_u32_e32 v17, vcc, v20, v17, vcc
	v_cmp_le_f32_e32 vcc, v21, v38
	s_mov_b64 s[0:1], exec
	v_cndmask_b32_e64 v20, 0, 1, vcc
	global_store_dword v[16:17], v20, off
.LBB36_27:                              ;   in Loop: Header=BB36_3 Depth=1
	s_or_b64 exec, exec, s[42:43]
	s_mov_b64 s[46:47], -1
	s_orn2_b64 s[42:43], s[0:1], exec
.LBB36_28:                              ;   in Loop: Header=BB36_3 Depth=1
	s_or_b64 exec, exec, s[6:7]
	s_mov_b64 s[0:1], 0
	s_mov_b64 s[48:49], s[4:5]
	s_and_saveexec_b64 s[6:7], s[42:43]
	s_cbranch_execz .LBB36_32
; %bb.29:                               ;   in Loop: Header=BB36_3 Depth=1
	s_waitcnt vmcnt(1)
	v_cmp_le_f32_e32 vcc, 0, v37
	v_cmp_ge_f32_e64 s[0:1], 1.0, v37
	s_and_b64 s[42:43], vcc, s[0:1]
	s_mov_b64 s[0:1], 0
	s_and_saveexec_b64 s[48:49], s[42:43]
	s_xor_b64 s[42:43], exec, s[48:49]
	s_cbranch_execz .LBB36_31
; %bb.30:                               ;   in Loop: Header=BB36_3 Depth=1
	v_cvt_f32_u32_e32 v16, v18
	v_mov_b32_e32 v17, 0x2f800000
	v_lshlrev_b64 v[14:15], 2, v[14:15]
	v_add_co_u32_e32 v14, vcc, s12, v14
	v_fmac_f32_e32 v17, 0x2f800000, v16
	v_mov_b32_e32 v16, s13
	v_addc_co_u32_e32 v15, vcc, v16, v15, vcc
	v_cmp_le_f32_e32 vcc, v17, v37
	v_cndmask_b32_e64 v16, 0, 1, vcc
	s_mov_b64 s[0:1], exec
	global_store_dword v[14:15], v16, off
.LBB36_31:                              ;   in Loop: Header=BB36_3 Depth=1
	s_or_b64 exec, exec, s[42:43]
	s_andn2_b64 s[48:49], s[4:5], exec
	s_or_b64 s[4:5], s[4:5], exec
	s_andn2_b64 s[46:47], s[46:47], exec
	s_and_b64 s[0:1], s[0:1], exec
.LBB36_32:                              ;   in Loop: Header=BB36_3 Depth=1
	s_or_b64 exec, exec, s[6:7]
	s_and_b64 s[42:43], s[48:49], exec
	s_and_b64 s[6:7], s[4:5], exec
	;; [unrolled: 1-line block ×4, first 2 shown]
.LBB36_33:                              ;   in Loop: Header=BB36_3 Depth=1
	s_andn2_saveexec_b64 s[0:1], s[44:45]
; %bb.34:                               ;   in Loop: Header=BB36_3 Depth=1
	v_cmp_lt_i32_e32 vcc, 1, v19
	s_andn2_b64 s[44:45], s[48:49], exec
	s_and_b64 s[46:47], vcc, exec
	s_mov_b64 s[2:3], exec
	s_andn2_b64 s[42:43], s[42:43], exec
	s_andn2_b64 s[6:7], s[6:7], exec
	;; [unrolled: 1-line block ×3, first 2 shown]
	s_or_b64 s[48:49], s[44:45], s[46:47]
; %bb.35:                               ;   in Loop: Header=BB36_3 Depth=1
	s_or_b64 exec, exec, s[0:1]
	s_mov_b64 s[44:45], 0
	s_mov_b64 s[0:1], 0
	;; [unrolled: 1-line block ×3, first 2 shown]
	s_and_saveexec_b64 s[50:51], s[48:49]
	s_cbranch_execnz .LBB36_38
; %bb.36:                               ;   in Loop: Header=BB36_3 Depth=1
	s_or_b64 exec, exec, s[50:51]
	s_and_saveexec_b64 s[48:49], s[2:3]
	s_cbranch_execnz .LBB36_41
.LBB36_37:                              ;   in Loop: Header=BB36_3 Depth=1
	s_or_b64 exec, exec, s[48:49]
	s_and_saveexec_b64 s[2:3], s[0:1]
	s_cbranch_execnz .LBB36_42
	s_branch .LBB36_45
.LBB36_38:                              ;   in Loop: Header=BB36_3 Depth=1
	s_waitcnt vmcnt(2)
	v_cmp_le_f32_e32 vcc, 0, v36
	v_cmp_ge_f32_e64 s[0:1], 1.0, v36
	s_and_b64 s[46:47], vcc, s[0:1]
	s_mov_b64 s[0:1], 0
	s_and_saveexec_b64 s[48:49], s[46:47]
	s_xor_b64 s[46:47], exec, s[48:49]
	s_cbranch_execz .LBB36_40
; %bb.39:                               ;   in Loop: Header=BB36_3 Depth=1
	v_cvt_f32_u32_e32 v13, v13
	v_mov_b32_e32 v14, 0x2f800000
	v_lshlrev_b64 v[10:11], 2, v[10:11]
	v_add_co_u32_e32 v10, vcc, s12, v10
	v_fmac_f32_e32 v14, 0x2f800000, v13
	v_mov_b32_e32 v13, s13
	v_addc_co_u32_e32 v11, vcc, v13, v11, vcc
	v_cmp_le_f32_e32 vcc, v14, v36
	v_cndmask_b32_e64 v13, 0, 1, vcc
	s_mov_b64 s[0:1], exec
	global_store_dword v[10:11], v13, off
.LBB36_40:                              ;   in Loop: Header=BB36_3 Depth=1
	s_or_b64 exec, exec, s[46:47]
	s_andn2_b64 s[46:47], s[42:43], exec
	s_or_b64 s[42:43], s[42:43], exec
	s_andn2_b64 s[6:7], s[6:7], exec
	s_andn2_b64 s[4:5], s[4:5], exec
	s_and_b64 s[0:1], s[0:1], exec
	s_andn2_b64 s[2:3], s[2:3], exec
	s_or_b64 exec, exec, s[50:51]
	s_and_saveexec_b64 s[48:49], s[2:3]
	s_cbranch_execz .LBB36_37
.LBB36_41:                              ;   in Loop: Header=BB36_3 Depth=1
	v_cmp_eq_u32_e32 vcc, 1, v19
	s_andn2_b64 s[0:1], s[0:1], exec
	s_and_b64 s[2:3], vcc, exec
	s_mov_b64 s[44:45], exec
	s_andn2_b64 s[46:47], s[46:47], exec
	s_andn2_b64 s[42:43], s[42:43], exec
	;; [unrolled: 1-line block ×4, first 2 shown]
	s_or_b64 s[0:1], s[0:1], s[2:3]
	s_or_b64 exec, exec, s[48:49]
	s_and_saveexec_b64 s[2:3], s[0:1]
	s_cbranch_execz .LBB36_45
.LBB36_42:                              ;   in Loop: Header=BB36_3 Depth=1
	s_waitcnt vmcnt(3)
	v_cmp_le_f32_e32 vcc, 0, v4
	v_cmp_ge_f32_e64 s[0:1], 1.0, v4
	s_and_b64 s[50:51], vcc, s[0:1]
	s_mov_b64 s[0:1], 0
	s_and_saveexec_b64 s[48:49], s[50:51]
	s_cbranch_execz .LBB36_44
; %bb.43:                               ;   in Loop: Header=BB36_3 Depth=1
	v_cvt_f32_u32_e32 v10, v12
	v_mov_b32_e32 v11, 0x2f800000
	v_lshlrev_b64 v[8:9], 2, v[8:9]
	v_add_co_u32_e32 v8, vcc, s12, v8
	v_fmac_f32_e32 v11, 0x2f800000, v10
	v_mov_b32_e32 v10, s13
	v_addc_co_u32_e32 v9, vcc, v10, v9, vcc
	v_cmp_le_f32_e32 vcc, v11, v4
	s_mov_b64 s[0:1], exec
	v_cndmask_b32_e64 v4, 0, 1, vcc
	global_store_dword v[8:9], v4, off
.LBB36_44:                              ;   in Loop: Header=BB36_3 Depth=1
	s_or_b64 exec, exec, s[48:49]
	s_andn2_b64 s[44:45], s[44:45], exec
	s_and_b64 s[0:1], s[0:1], exec
	s_or_b64 s[46:47], s[46:47], exec
	s_andn2_b64 s[42:43], s[42:43], exec
	s_andn2_b64 s[6:7], s[6:7], exec
	;; [unrolled: 1-line block ×3, first 2 shown]
	s_or_b64 s[44:45], s[44:45], s[0:1]
.LBB36_45:                              ;   in Loop: Header=BB36_3 Depth=1
	s_or_b64 exec, exec, s[2:3]
	s_andn2_b64 s[2:3], s[40:41], exec
	s_and_b64 s[40:41], s[46:47], exec
	s_or_b64 s[40:41], s[2:3], s[40:41]
	s_andn2_b64 s[2:3], s[38:39], exec
	s_and_b64 s[38:39], s[42:43], exec
	s_or_b64 s[38:39], s[2:3], s[38:39]
	;; [unrolled: 3-line block ×3, first 2 shown]
	s_andn2_b64 s[2:3], s[34:35], exec
	s_and_b64 s[4:5], s[4:5], exec
	s_mov_b64 s[0:1], -1
	s_or_b64 s[34:35], s[2:3], s[4:5]
	s_and_saveexec_b64 s[2:3], s[44:45]
	s_cbranch_execz .LBB36_2
; %bb.46:                               ;   in Loop: Header=BB36_3 Depth=1
	v_add_u32_e32 v0, s55, v0
	v_cmp_le_u32_e32 vcc, s33, v0
	v_subrev_u32_e32 v7, s55, v7
	s_add_i32 s54, s54, s57
	s_andn2_b64 s[40:41], s[40:41], exec
	s_andn2_b64 s[38:39], s[38:39], exec
	;; [unrolled: 1-line block ×4, first 2 shown]
	s_orn2_b64 s[0:1], vcc, exec
	s_branch .LBB36_2
.LBB36_47:
	s_or_b64 exec, exec, s[24:25]
	s_xor_b64 s[6:7], s[30:31], -1
	s_xor_b64 s[8:9], s[28:29], -1
	;; [unrolled: 1-line block ×3, first 2 shown]
	s_mov_b64 s[2:3], 0
	s_and_saveexec_b64 s[4:5], s[0:1]
	s_xor_b64 s[0:1], exec, s[4:5]
	s_cbranch_execnz .LBB36_52
; %bb.48:
	s_andn2_saveexec_b64 s[0:1], s[0:1]
	s_cbranch_execnz .LBB36_60
.LBB36_49:
	s_or_b64 exec, exec, s[0:1]
	s_and_b64 exec, exec, s[2:3]
.LBB36_50:
	; divergent unreachable
.LBB36_51:
	s_endpgm
.LBB36_52:
	s_mov_b64 s[4:5], 0
	s_and_saveexec_b64 s[2:3], s[8:9]
	s_xor_b64 s[2:3], exec, s[2:3]
	s_cbranch_execz .LBB36_58
; %bb.53:
	s_and_saveexec_b64 s[8:9], s[6:7]
	s_xor_b64 s[6:7], exec, s[8:9]
	s_cbranch_execz .LBB36_56
; %bb.54:
	s_and_saveexec_b64 s[8:9], s[20:21]
	s_xor_b64 s[8:9], exec, s[8:9]
	s_cbranch_execnz .LBB36_63
.LBB36_55:
	s_or_b64 exec, exec, s[8:9]
	s_and_b64 s[4:5], s[4:5], exec
.LBB36_56:
	s_andn2_saveexec_b64 s[6:7], s[6:7]
	s_cbranch_execnz .LBB36_62
.LBB36_57:
	s_or_b64 exec, exec, s[6:7]
	s_and_b64 s[4:5], s[4:5], exec
.LBB36_58:
	s_andn2_saveexec_b64 s[2:3], s[2:3]
	s_cbranch_execnz .LBB36_61
.LBB36_59:
	s_or_b64 exec, exec, s[2:3]
	s_and_b64 s[2:3], s[4:5], exec
	s_andn2_saveexec_b64 s[0:1], s[0:1]
	s_cbranch_execz .LBB36_49
.LBB36_60:
	s_or_b64 s[2:3], s[2:3], exec
	s_trap 2
	s_or_b64 exec, exec, s[0:1]
	s_and_b64 exec, exec, s[2:3]
	s_cbranch_execnz .LBB36_50
	s_branch .LBB36_51
.LBB36_61:
	s_or_b64 s[4:5], s[4:5], exec
	s_trap 2
	s_branch .LBB36_59
.LBB36_62:
	s_trap 2
	s_or_b64 s[4:5], s[4:5], exec
	s_branch .LBB36_57
.LBB36_63:
	s_mov_b64 s[4:5], exec
	s_trap 2
	s_branch .LBB36_55
	.section	.rodata,"a",@progbits
	.p2align	6, 0x0
	.amdhsa_kernel _ZN2at4cuda12_GLOBAL__N_121kernelPointwiseApply2IZNS_6native9templates4cuda28bernoulli_tensor_cuda_kernelIifEEvRKNS_10TensorBaseES9_NS_15PhiloxCudaStateEEUliRiSB_SB_SB_RKfSD_SD_SD_E_iSC_jLi2ELi1ELi4ELi512ELi2EEEvNS0_6detail10TensorInfoIT0_T2_EENSG_IT1_SI_EESI_T_
		.amdhsa_group_segment_fixed_size 0
		.amdhsa_private_segment_fixed_size 0
		.amdhsa_kernarg_size 728
		.amdhsa_user_sgpr_count 6
		.amdhsa_user_sgpr_private_segment_buffer 1
		.amdhsa_user_sgpr_dispatch_ptr 0
		.amdhsa_user_sgpr_queue_ptr 0
		.amdhsa_user_sgpr_kernarg_segment_ptr 1
		.amdhsa_user_sgpr_dispatch_id 0
		.amdhsa_user_sgpr_flat_scratch_init 0
		.amdhsa_user_sgpr_kernarg_preload_length 0
		.amdhsa_user_sgpr_kernarg_preload_offset 0
		.amdhsa_user_sgpr_private_segment_size 0
		.amdhsa_uses_dynamic_stack 0
		.amdhsa_system_sgpr_private_segment_wavefront_offset 0
		.amdhsa_system_sgpr_workgroup_id_x 1
		.amdhsa_system_sgpr_workgroup_id_y 0
		.amdhsa_system_sgpr_workgroup_id_z 0
		.amdhsa_system_sgpr_workgroup_info 0
		.amdhsa_system_vgpr_workitem_id 0
		.amdhsa_next_free_vgpr 57
		.amdhsa_next_free_sgpr 60
		.amdhsa_accum_offset 60
		.amdhsa_reserve_vcc 1
		.amdhsa_reserve_flat_scratch 0
		.amdhsa_float_round_mode_32 0
		.amdhsa_float_round_mode_16_64 0
		.amdhsa_float_denorm_mode_32 3
		.amdhsa_float_denorm_mode_16_64 3
		.amdhsa_dx10_clamp 1
		.amdhsa_ieee_mode 1
		.amdhsa_fp16_overflow 0
		.amdhsa_tg_split 0
		.amdhsa_exception_fp_ieee_invalid_op 0
		.amdhsa_exception_fp_denorm_src 0
		.amdhsa_exception_fp_ieee_div_zero 0
		.amdhsa_exception_fp_ieee_overflow 0
		.amdhsa_exception_fp_ieee_underflow 0
		.amdhsa_exception_fp_ieee_inexact 0
		.amdhsa_exception_int_div_zero 0
	.end_amdhsa_kernel
	.section	.text._ZN2at4cuda12_GLOBAL__N_121kernelPointwiseApply2IZNS_6native9templates4cuda28bernoulli_tensor_cuda_kernelIifEEvRKNS_10TensorBaseES9_NS_15PhiloxCudaStateEEUliRiSB_SB_SB_RKfSD_SD_SD_E_iSC_jLi2ELi1ELi4ELi512ELi2EEEvNS0_6detail10TensorInfoIT0_T2_EENSG_IT1_SI_EESI_T_,"axG",@progbits,_ZN2at4cuda12_GLOBAL__N_121kernelPointwiseApply2IZNS_6native9templates4cuda28bernoulli_tensor_cuda_kernelIifEEvRKNS_10TensorBaseES9_NS_15PhiloxCudaStateEEUliRiSB_SB_SB_RKfSD_SD_SD_E_iSC_jLi2ELi1ELi4ELi512ELi2EEEvNS0_6detail10TensorInfoIT0_T2_EENSG_IT1_SI_EESI_T_,comdat
.Lfunc_end36:
	.size	_ZN2at4cuda12_GLOBAL__N_121kernelPointwiseApply2IZNS_6native9templates4cuda28bernoulli_tensor_cuda_kernelIifEEvRKNS_10TensorBaseES9_NS_15PhiloxCudaStateEEUliRiSB_SB_SB_RKfSD_SD_SD_E_iSC_jLi2ELi1ELi4ELi512ELi2EEEvNS0_6detail10TensorInfoIT0_T2_EENSG_IT1_SI_EESI_T_, .Lfunc_end36-_ZN2at4cuda12_GLOBAL__N_121kernelPointwiseApply2IZNS_6native9templates4cuda28bernoulli_tensor_cuda_kernelIifEEvRKNS_10TensorBaseES9_NS_15PhiloxCudaStateEEUliRiSB_SB_SB_RKfSD_SD_SD_E_iSC_jLi2ELi1ELi4ELi512ELi2EEEvNS0_6detail10TensorInfoIT0_T2_EENSG_IT1_SI_EESI_T_
                                        ; -- End function
	.section	.AMDGPU.csdata,"",@progbits
; Kernel info:
; codeLenInByte = 3092
; NumSgprs: 64
; NumVgprs: 57
; NumAgprs: 0
; TotalNumVgprs: 57
; ScratchSize: 0
; MemoryBound: 0
; FloatMode: 240
; IeeeMode: 1
; LDSByteSize: 0 bytes/workgroup (compile time only)
; SGPRBlocks: 7
; VGPRBlocks: 7
; NumSGPRsForWavesPerEU: 64
; NumVGPRsForWavesPerEU: 57
; AccumOffset: 60
; Occupancy: 8
; WaveLimiterHint : 1
; COMPUTE_PGM_RSRC2:SCRATCH_EN: 0
; COMPUTE_PGM_RSRC2:USER_SGPR: 6
; COMPUTE_PGM_RSRC2:TRAP_HANDLER: 0
; COMPUTE_PGM_RSRC2:TGID_X_EN: 1
; COMPUTE_PGM_RSRC2:TGID_Y_EN: 0
; COMPUTE_PGM_RSRC2:TGID_Z_EN: 0
; COMPUTE_PGM_RSRC2:TIDIG_COMP_CNT: 0
; COMPUTE_PGM_RSRC3_GFX90A:ACCUM_OFFSET: 14
; COMPUTE_PGM_RSRC3_GFX90A:TG_SPLIT: 0
	.section	.text._ZN2at4cuda12_GLOBAL__N_121kernelPointwiseApply2IZNS_6native9templates4cuda28bernoulli_tensor_cuda_kernelIifEEvRKNS_10TensorBaseES9_NS_15PhiloxCudaStateEEUliRiSB_SB_SB_RKfSD_SD_SD_E_iSC_jLi2ELi2ELi4ELi512ELi2EEEvNS0_6detail10TensorInfoIT0_T2_EENSG_IT1_SI_EESI_T_,"axG",@progbits,_ZN2at4cuda12_GLOBAL__N_121kernelPointwiseApply2IZNS_6native9templates4cuda28bernoulli_tensor_cuda_kernelIifEEvRKNS_10TensorBaseES9_NS_15PhiloxCudaStateEEUliRiSB_SB_SB_RKfSD_SD_SD_E_iSC_jLi2ELi2ELi4ELi512ELi2EEEvNS0_6detail10TensorInfoIT0_T2_EENSG_IT1_SI_EESI_T_,comdat
	.globl	_ZN2at4cuda12_GLOBAL__N_121kernelPointwiseApply2IZNS_6native9templates4cuda28bernoulli_tensor_cuda_kernelIifEEvRKNS_10TensorBaseES9_NS_15PhiloxCudaStateEEUliRiSB_SB_SB_RKfSD_SD_SD_E_iSC_jLi2ELi2ELi4ELi512ELi2EEEvNS0_6detail10TensorInfoIT0_T2_EENSG_IT1_SI_EESI_T_ ; -- Begin function _ZN2at4cuda12_GLOBAL__N_121kernelPointwiseApply2IZNS_6native9templates4cuda28bernoulli_tensor_cuda_kernelIifEEvRKNS_10TensorBaseES9_NS_15PhiloxCudaStateEEUliRiSB_SB_SB_RKfSD_SD_SD_E_iSC_jLi2ELi2ELi4ELi512ELi2EEEvNS0_6detail10TensorInfoIT0_T2_EENSG_IT1_SI_EESI_T_
	.p2align	8
	.type	_ZN2at4cuda12_GLOBAL__N_121kernelPointwiseApply2IZNS_6native9templates4cuda28bernoulli_tensor_cuda_kernelIifEEvRKNS_10TensorBaseES9_NS_15PhiloxCudaStateEEUliRiSB_SB_SB_RKfSD_SD_SD_E_iSC_jLi2ELi2ELi4ELi512ELi2EEEvNS0_6detail10TensorInfoIT0_T2_EENSG_IT1_SI_EESI_T_,@function
_ZN2at4cuda12_GLOBAL__N_121kernelPointwiseApply2IZNS_6native9templates4cuda28bernoulli_tensor_cuda_kernelIifEEvRKNS_10TensorBaseES9_NS_15PhiloxCudaStateEEUliRiSB_SB_SB_RKfSD_SD_SD_E_iSC_jLi2ELi2ELi4ELi512ELi2EEEvNS0_6detail10TensorInfoIT0_T2_EENSG_IT1_SI_EESI_T_: ; @_ZN2at4cuda12_GLOBAL__N_121kernelPointwiseApply2IZNS_6native9templates4cuda28bernoulli_tensor_cuda_kernelIifEEvRKNS_10TensorBaseES9_NS_15PhiloxCudaStateEEUliRiSB_SB_SB_RKfSD_SD_SD_E_iSC_jLi2ELi2ELi4ELi512ELi2EEEvNS0_6detail10TensorInfoIT0_T2_EENSG_IT1_SI_EESI_T_
; %bb.0:
	s_load_dword s2, s[4:5], 0x1e4
	s_load_dword s33, s[4:5], 0x1b0
	s_add_u32 s0, s4, 0x1d8
	s_addc_u32 s1, s5, 0
	s_waitcnt lgkmcnt(0)
	s_and_b32 s18, s2, 0xffff
	s_mul_i32 s6, s6, s18
	v_add_u32_e32 v1, s6, v0
	v_lshlrev_b32_e32 v0, 2, v1
	v_cmp_gt_u32_e32 vcc, s33, v0
	s_and_saveexec_b64 s[2:3], vcc
	s_cbranch_execz .LBB37_59
; %bb.1:
	s_load_dwordx2 s[2:3], s[4:5], 0x0
	s_load_dword s54, s[4:5], 0xc
	s_load_dwordx2 s[6:7], s[4:5], 0x6c
	s_load_dwordx2 s[12:13], s[4:5], 0xd8
	s_load_dword s19, s[0:1], 0x0
	s_load_dword s20, s[4:5], 0x1d0
	;; [unrolled: 1-line block ×3, first 2 shown]
	s_load_dwordx2 s[14:15], s[4:5], 0x144
	s_load_dwordx2 s[16:17], s[4:5], 0x1c8
	s_load_dwordx4 s[8:11], s[4:5], 0x1b8
	s_waitcnt lgkmcnt(0)
	v_cvt_f32_u32_e32 v4, s54
	v_cvt_f32_u32_e32 v7, s55
	s_mov_b32 s56, 0xcd9e8d57
	v_mad_u64_u32 v[2:3], s[0:1], v1, s56, 0
	v_rcp_iflag_f32_e32 v4, v4
	v_mov_b32_e32 v6, v3
	s_bitcmp1_b32 s20, 0
	s_cselect_b64 s[4:5], -1, 0
	v_mul_f32_e32 v3, 0x4f7ffffe, v4
	v_rcp_iflag_f32_e32 v4, v7
	v_cvt_u32_f32_e32 v3, v3
	s_sub_i32 s58, 0, s54
	s_sub_i32 s59, 0, s55
	v_mul_f32_e32 v4, 0x4f7ffffe, v4
	v_cvt_u32_f32_e32 v4, v4
	v_mul_lo_u32 v7, s58, v3
	v_mul_hi_u32 v7, v3, v7
	v_add_u32_e32 v3, v3, v7
	v_mul_lo_u32 v7, s59, v4
	s_mul_i32 s19, s19, s18
	v_mul_hi_u32 v7, v4, v7
	v_mov_b32_e32 v5, 0
	s_lshl_b32 s57, s19, 2
	v_add_u32_e32 v7, v4, v7
	v_sub_u32_e32 v32, s33, v0
	s_mov_b64 s[20:21], 0
	s_mov_b32 s60, 0xd2511f53
	s_mov_b32 s61, 0xf1bbcdc8
                                        ; implicit-def: $sgpr22_sgpr23
                                        ; implicit-def: $sgpr24_sgpr25
                                        ; implicit-def: $sgpr26_sgpr27
                                        ; implicit-def: $sgpr18_sgpr19
                                        ; implicit-def: $sgpr28_sgpr29
                                        ; implicit-def: $sgpr30_sgpr31
                                        ; implicit-def: $sgpr34_sgpr35
                                        ; implicit-def: $sgpr36_sgpr37
	s_branch .LBB37_3
.LBB37_2:                               ;   in Loop: Header=BB37_3 Depth=1
	s_or_b64 exec, exec, s[38:39]
	s_and_b64 s[0:1], exec, s[0:1]
	s_or_b64 s[20:21], s[0:1], s[20:21]
	s_andn2_b64 s[0:1], s[18:19], exec
	s_and_b64 s[18:19], s[36:37], exec
	s_or_b64 s[18:19], s[0:1], s[18:19]
	s_andn2_b64 s[0:1], s[26:27], exec
	s_and_b64 s[26:27], s[34:35], exec
	;; [unrolled: 3-line block ×4, first 2 shown]
	s_or_b64 s[22:23], s[0:1], s[22:23]
	s_andn2_b64 exec, exec, s[20:21]
	s_cbranch_execz .LBB37_55
.LBB37_3:                               ; =>This Inner Loop Header: Depth=1
	v_cmp_lt_i32_e32 vcc, 0, v32
	v_mov_b32_e32 v8, 0
	s_and_saveexec_b64 s[38:39], vcc
	s_cbranch_execz .LBB37_5
; %bb.4:                                ;   in Loop: Header=BB37_3 Depth=1
	s_waitcnt vmcnt(3)
	v_mul_hi_u32 v4, v3, v0
	v_not_b32_e32 v10, v4
	s_waitcnt vmcnt(2)
	v_mad_u64_u32 v[8:9], s[0:1], s58, v4, v[0:1]
	v_add_u32_e32 v9, 1, v4
	v_cmp_le_u32_e64 s[0:1], s54, v8
	v_mad_u64_u32 v[10:11], s[40:41], s54, v10, v[0:1]
	v_cndmask_b32_e64 v4, v4, v9, s[0:1]
	v_cndmask_b32_e64 v8, v8, v10, s[0:1]
	v_add_u32_e32 v9, 1, v4
	v_cmp_le_u32_e64 s[0:1], s54, v8
	v_cndmask_b32_e64 v10, v4, v9, s[0:1]
	v_mad_u64_u32 v[8:9], s[0:1], s58, v10, v[0:1]
	v_mul_lo_u32 v4, v8, s7
	v_mad_u64_u32 v[8:9], s[0:1], v10, s6, v[4:5]
.LBB37_5:                               ;   in Loop: Header=BB37_3 Depth=1
	s_or_b64 exec, exec, s[38:39]
	s_waitcnt vmcnt(3)
	v_mov_b32_e32 v4, 0
	s_and_saveexec_b64 s[0:1], vcc
	s_cbranch_execz .LBB37_7
; %bb.6:                                ;   in Loop: Header=BB37_3 Depth=1
	v_mul_hi_u32 v4, v7, v0
	s_waitcnt vmcnt(2)
	v_not_b32_e32 v9, v4
	v_mad_u64_u32 v[10:11], s[38:39], s59, v4, v[0:1]
	v_add_u32_e32 v11, 1, v4
	v_cmp_le_u32_e32 vcc, s55, v10
	v_mad_u64_u32 v[12:13], s[38:39], s55, v9, v[0:1]
	v_cndmask_b32_e32 v4, v4, v11, vcc
	v_cndmask_b32_e32 v9, v10, v12, vcc
	v_add_u32_e32 v10, 1, v4
	v_cmp_le_u32_e32 vcc, s55, v9
	v_cndmask_b32_e32 v9, v4, v10, vcc
	v_mad_u64_u32 v[10:11], s[38:39], s59, v9, v[0:1]
	v_mul_lo_u32 v4, v10, s15
	v_mad_u64_u32 v[10:11], s[38:39], v9, s14, v[4:5]
	v_mov_b32_e32 v4, v10
.LBB37_7:                               ;   in Loop: Header=BB37_3 Depth=1
	s_or_b64 exec, exec, s[0:1]
	v_pk_mov_b32 v[14:15], 0, 0
	s_waitcnt vmcnt(2)
	v_add_u32_e32 v9, 1, v0
	v_cmp_lt_i32_e32 vcc, 1, v32
	v_pk_mov_b32 v[10:11], v[14:15], v[14:15] op_sel:[0,1]
	s_and_saveexec_b64 s[38:39], vcc
	s_cbranch_execz .LBB37_9
; %bb.8:                                ;   in Loop: Header=BB37_3 Depth=1
	v_mul_hi_u32 v10, v9, v3
	v_mul_lo_u32 v11, v10, s54
	v_sub_u32_e32 v11, v9, v11
	v_add_u32_e32 v12, 1, v10
	v_cmp_le_u32_e64 s[0:1], s54, v11
	v_cndmask_b32_e64 v10, v10, v12, s[0:1]
	v_subrev_u32_e32 v12, s54, v11
	v_cndmask_b32_e64 v11, v11, v12, s[0:1]
	v_add_u32_e32 v12, 1, v10
	v_cmp_le_u32_e64 s[0:1], s54, v11
	v_cndmask_b32_e64 v11, v10, v12, s[0:1]
	v_mul_lo_u32 v10, v11, s54
	v_sub_u32_e32 v10, v9, v10
	v_mul_lo_u32 v10, v10, s7
	v_mad_u64_u32 v[10:11], s[0:1], v11, s6, v[10:11]
	v_mov_b32_e32 v11, v5
.LBB37_9:                               ;   in Loop: Header=BB37_3 Depth=1
	s_or_b64 exec, exec, s[38:39]
	s_and_saveexec_b64 s[0:1], vcc
	s_cbranch_execz .LBB37_11
; %bb.10:                               ;   in Loop: Header=BB37_3 Depth=1
	v_mul_hi_u32 v12, v9, v7
	v_mul_lo_u32 v13, v12, s55
	v_sub_u32_e32 v13, v9, v13
	v_add_u32_e32 v14, 1, v12
	v_cmp_le_u32_e32 vcc, s55, v13
	v_cndmask_b32_e32 v12, v12, v14, vcc
	v_subrev_u32_e32 v14, s55, v13
	v_cndmask_b32_e32 v13, v13, v14, vcc
	v_add_u32_e32 v14, 1, v12
	v_cmp_le_u32_e32 vcc, s55, v13
	v_cndmask_b32_e32 v13, v12, v14, vcc
	v_mul_lo_u32 v12, v13, s55
	v_sub_u32_e32 v9, v9, v12
	v_mul_lo_u32 v12, v9, s15
	v_mad_u64_u32 v[14:15], s[38:39], v13, s14, v[12:13]
	v_mov_b32_e32 v15, v5
.LBB37_11:                              ;   in Loop: Header=BB37_3 Depth=1
	s_or_b64 exec, exec, s[0:1]
	v_pk_mov_b32 v[18:19], 0, 0
	v_add_u32_e32 v9, 2, v0
	v_cmp_lt_i32_e32 vcc, 2, v32
	v_pk_mov_b32 v[12:13], v[18:19], v[18:19] op_sel:[0,1]
	s_and_saveexec_b64 s[38:39], vcc
	s_cbranch_execz .LBB37_13
; %bb.12:                               ;   in Loop: Header=BB37_3 Depth=1
	v_mul_hi_u32 v12, v9, v3
	v_mul_lo_u32 v13, v12, s54
	v_sub_u32_e32 v13, v9, v13
	v_add_u32_e32 v16, 1, v12
	v_cmp_le_u32_e64 s[0:1], s54, v13
	v_cndmask_b32_e64 v12, v12, v16, s[0:1]
	v_subrev_u32_e32 v16, s54, v13
	v_cndmask_b32_e64 v13, v13, v16, s[0:1]
	v_add_u32_e32 v16, 1, v12
	v_cmp_le_u32_e64 s[0:1], s54, v13
	v_cndmask_b32_e64 v13, v12, v16, s[0:1]
	v_mul_lo_u32 v12, v13, s54
	v_sub_u32_e32 v12, v9, v12
	v_mul_lo_u32 v12, v12, s7
	v_mad_u64_u32 v[12:13], s[0:1], v13, s6, v[12:13]
	v_mov_b32_e32 v13, v5
.LBB37_13:                              ;   in Loop: Header=BB37_3 Depth=1
	s_or_b64 exec, exec, s[38:39]
	s_and_saveexec_b64 s[0:1], vcc
	s_cbranch_execz .LBB37_15
; %bb.14:                               ;   in Loop: Header=BB37_3 Depth=1
	v_mul_hi_u32 v16, v9, v7
	v_mul_lo_u32 v17, v16, s55
	v_sub_u32_e32 v17, v9, v17
	v_add_u32_e32 v18, 1, v16
	v_cmp_le_u32_e32 vcc, s55, v17
	v_cndmask_b32_e32 v16, v16, v18, vcc
	v_subrev_u32_e32 v18, s55, v17
	v_cndmask_b32_e32 v17, v17, v18, vcc
	v_add_u32_e32 v18, 1, v16
	v_cmp_le_u32_e32 vcc, s55, v17
	v_cndmask_b32_e32 v17, v16, v18, vcc
	v_mul_lo_u32 v16, v17, s55
	v_sub_u32_e32 v9, v9, v16
	v_mul_lo_u32 v16, v9, s15
	v_mad_u64_u32 v[18:19], s[38:39], v17, s14, v[16:17]
	v_mov_b32_e32 v19, v5
.LBB37_15:                              ;   in Loop: Header=BB37_3 Depth=1
	s_or_b64 exec, exec, s[0:1]
	v_pk_mov_b32 v[20:21], 0, 0
	v_add_u32_e32 v9, 3, v0
	v_cmp_lt_i32_e32 vcc, 3, v32
	v_pk_mov_b32 v[16:17], v[20:21], v[20:21] op_sel:[0,1]
	s_and_saveexec_b64 s[38:39], vcc
	s_cbranch_execz .LBB37_17
; %bb.16:                               ;   in Loop: Header=BB37_3 Depth=1
	v_mul_hi_u32 v16, v9, v3
	v_mul_lo_u32 v17, v16, s54
	v_sub_u32_e32 v17, v9, v17
	v_add_u32_e32 v22, 1, v16
	v_cmp_le_u32_e64 s[0:1], s54, v17
	v_cndmask_b32_e64 v16, v16, v22, s[0:1]
	v_subrev_u32_e32 v22, s54, v17
	v_cndmask_b32_e64 v17, v17, v22, s[0:1]
	v_add_u32_e32 v22, 1, v16
	v_cmp_le_u32_e64 s[0:1], s54, v17
	v_cndmask_b32_e64 v17, v16, v22, s[0:1]
	v_mul_lo_u32 v16, v17, s54
	v_sub_u32_e32 v16, v9, v16
	v_mul_lo_u32 v16, v16, s7
	v_mad_u64_u32 v[16:17], s[0:1], v17, s6, v[16:17]
	v_mov_b32_e32 v17, v5
.LBB37_17:                              ;   in Loop: Header=BB37_3 Depth=1
	s_or_b64 exec, exec, s[38:39]
	s_and_saveexec_b64 s[0:1], vcc
	s_cbranch_execz .LBB37_19
; %bb.18:                               ;   in Loop: Header=BB37_3 Depth=1
	v_mul_hi_u32 v20, v9, v7
	v_mul_lo_u32 v21, v20, s55
	v_sub_u32_e32 v21, v9, v21
	v_add_u32_e32 v22, 1, v20
	v_cmp_le_u32_e32 vcc, s55, v21
	v_cndmask_b32_e32 v20, v20, v22, vcc
	v_subrev_u32_e32 v22, s55, v21
	v_cndmask_b32_e32 v21, v21, v22, vcc
	v_add_u32_e32 v22, 1, v20
	v_cmp_le_u32_e32 vcc, s55, v21
	v_cndmask_b32_e32 v21, v20, v22, vcc
	v_mul_lo_u32 v20, v21, s55
	v_sub_u32_e32 v9, v9, v20
	v_mul_lo_u32 v20, v9, s15
	v_mad_u64_u32 v[20:21], s[38:39], v21, s14, v[20:21]
	v_mov_b32_e32 v21, v5
.LBB37_19:                              ;   in Loop: Header=BB37_3 Depth=1
	s_or_b64 exec, exec, s[0:1]
	v_lshlrev_b64 v[22:23], 2, v[4:5]
	v_mov_b32_e32 v4, s13
	v_add_co_u32_e32 v22, vcc, s12, v22
	v_addc_co_u32_e32 v23, vcc, v4, v23, vcc
	v_lshlrev_b64 v[14:15], 2, v[14:15]
	v_add_co_u32_e32 v14, vcc, s12, v14
	v_addc_co_u32_e32 v15, vcc, v4, v15, vcc
	v_lshlrev_b64 v[18:19], 2, v[18:19]
	;; [unrolled: 3-line block ×3, first 2 shown]
	v_add_co_u32_e32 v20, vcc, s12, v20
	v_addc_co_u32_e32 v21, vcc, v4, v21, vcc
	global_load_dword v4, v[22:23], off
	global_load_dword v9, v[14:15], off
	;; [unrolled: 1-line block ×4, first 2 shown]
	s_andn2_b64 vcc, exec, s[4:5]
	v_pk_mov_b32 v[14:15], s[10:11], s[10:11] op_sel:[0,1]
	v_pk_mov_b32 v[18:19], s[8:9], s[8:9] op_sel:[0,1]
	s_cbranch_vccnz .LBB37_21
; %bb.20:                               ;   in Loop: Header=BB37_3 Depth=1
	v_pk_mov_b32 v[14:15], s[10:11], s[10:11] op_sel:[0,1]
	flat_load_dwordx2 v[14:15], v[14:15]
	v_pk_mov_b32 v[18:19], s[8:9], s[8:9] op_sel:[0,1]
	flat_load_dwordx2 v[18:19], v[18:19]
	v_mov_b32_e32 v20, s17
	s_waitcnt vmcnt(0) lgkmcnt(0)
	v_add_co_u32_e32 v14, vcc, s16, v14
	v_addc_co_u32_e32 v15, vcc, v15, v20, vcc
.LBB37_21:                              ;   in Loop: Header=BB37_3 Depth=1
	v_alignbit_b32 v28, v15, v14, 2
	v_lshrrev_b32_e32 v29, 2, v15
	v_xor_b32_e32 v20, v6, v18
	v_and_b32_e32 v35, 3, v14
	v_mad_u64_u32 v[14:15], s[0:1], v28, s60, 0
	v_xor_b32_e32 v20, v20, v29
	v_xor_b32_e32 v15, v15, v19
	v_add_u32_e32 v40, 0xbb67ae85, v19
	v_mad_u64_u32 v[20:21], s[0:1], v20, s60, 0
	v_mad_u64_u32 v[22:23], s[0:1], v15, s56, 0
	v_xor_b32_e32 v21, v40, v21
	v_add_u32_e32 v39, 0x9e3779b9, v18
	v_xor_b32_e32 v15, v2, v23
	v_xor_b32_e32 v21, v21, v14
	v_xor_b32_e32 v15, v15, v39
	v_add_u32_e32 v41, 0x3c6ef372, v18
	v_mad_u64_u32 v[24:25], s[0:1], v21, s56, 0
	v_add_u32_e32 v42, 0x76cf5d0a, v19
	v_mad_u64_u32 v[14:15], s[0:1], v15, s60, 0
	v_xor_b32_e32 v21, v41, v25
	v_xor_b32_e32 v21, v21, v22
	v_xor_b32_e32 v15, v42, v15
	v_xor_b32_e32 v15, v15, v20
	v_add_u32_e32 v44, 0x32370b8f, v19
	v_mad_u64_u32 v[20:21], s[0:1], v21, s60, 0
	v_add_u32_e32 v43, 0xdaa66d2b, v18
	v_mad_u64_u32 v[22:23], s[0:1], v15, s56, 0
	v_xor_b32_e32 v21, v44, v21
	;; [unrolled: 8-line block ×5, first 2 shown]
	v_xor_b32_e32 v21, v21, v22
	v_xor_b32_e32 v15, v50, v15
	;; [unrolled: 1-line block ×3, first 2 shown]
	v_add_u32_e32 v52, 0x1fd5c5a3, v19
	v_mad_u64_u32 v[20:21], s[0:1], v21, s60, 0
	v_xor_b32_e32 v21, v52, v21
	v_xor_b32_e32 v14, v21, v14
	v_add_u32_e32 v51, 0x5384540f, v18
	v_mad_u64_u32 v[26:27], s[0:1], v15, s56, 0
	v_add_co_u32_e32 v37, vcc, s61, v18
	v_mad_u64_u32 v[22:23], s[0:1], v14, s56, 0
	v_xor_b32_e32 v15, v51, v27
	v_xor_b32_e32 v14, v37, v23
	v_xor_b32_e32 v15, v15, v24
	v_xor_b32_e32 v14, v14, v26
	v_mad_u64_u32 v[24:25], s[0:1], v15, s60, 0
	v_mad_u64_u32 v[14:15], s[0:1], v14, s60, 0
	v_add_u32_e32 v38, 0x96a522ad, v19
	v_xor_b32_e32 v15, v15, v24
	v_xor_b32_e32 v36, v38, v15
	v_add_co_u32_e32 v15, vcc, 1, v28
	v_cndmask_b32_e64 v24, 0, 1, vcc
	v_addc_co_u32_e32 v30, vcc, 0, v29, vcc
	v_cmp_eq_u32_e32 vcc, 0, v30
	v_cndmask_b32_e32 v24, 0, v24, vcc
	v_add_u32_e32 v28, v24, v1
	v_cmp_eq_u32_e32 vcc, 0, v28
	v_mad_u64_u32 v[26:27], s[0:1], v15, s60, 0
	v_mad_u64_u32 v[28:29], s[0:1], v28, s56, 0
	v_add_u32_e32 v23, 0x8ff34781, v18
	v_cndmask_b32_e32 v24, 0, v24, vcc
	v_xor_b32_e32 v15, v29, v18
	v_xor_b32_e32 v18, v27, v19
	;; [unrolled: 1-line block ×4, first 2 shown]
	v_mad_u64_u32 v[30:31], s[0:1], v24, s56, 0
	v_add_u32_e32 v21, 0xdb3d7428, v19
	v_mad_u64_u32 v[18:19], s[0:1], v15, s60, 0
	v_xor_b32_e32 v15, v39, v31
	v_xor_b32_e32 v15, v15, v28
	v_xor_b32_e32 v19, v40, v19
	v_xor_b32_e32 v19, v19, v26
	v_mad_u64_u32 v[26:27], s[0:1], v15, s60, 0
	v_mad_u64_u32 v[28:29], s[0:1], v19, s56, 0
	v_xor_b32_e32 v19, v42, v27
	v_xor_b32_e32 v15, v41, v29
	v_xor_b32_e32 v24, v19, v18
	v_xor_b32_e32 v15, v15, v30
	v_mad_u64_u32 v[30:31], s[0:1], v24, s56, 0
	;; [unrolled: 6-line block ×7, first 2 shown]
	v_xor_b32_e32 v15, v21, v29
	v_xor_b32_e32 v15, v15, v18
	v_mad_u64_u32 v[30:31], s[0:1], v19, s56, 0
	v_mad_u64_u32 v[18:19], s[0:1], v15, s56, 0
	v_xor_b32_e32 v15, v19, v30
	v_xor_b32_e32 v15, v23, v15
	v_cmp_lt_i32_e32 vcc, 1, v35
                                        ; implicit-def: $vgpr27
	s_and_saveexec_b64 s[0:1], vcc
	s_xor_b64 s[0:1], exec, s[0:1]
	s_cbranch_execz .LBB37_27
; %bb.22:                               ;   in Loop: Header=BB37_3 Depth=1
	v_cmp_lt_i32_e32 vcc, 2, v35
                                        ; implicit-def: $vgpr27
	s_and_saveexec_b64 s[38:39], vcc
	s_xor_b64 s[38:39], exec, s[38:39]
; %bb.23:                               ;   in Loop: Header=BB37_3 Depth=1
	v_xor_b32_e32 v19, v37, v31
	v_xor_b32_e32 v19, v19, v26
	v_mul_hi_u32 v19, v19, s60
	v_xor_b32_e32 v19, v19, v28
	v_xor_b32_e32 v27, v38, v19
                                        ; implicit-def: $vgpr36
; %bb.24:                               ;   in Loop: Header=BB37_3 Depth=1
	s_andn2_saveexec_b64 s[38:39], s[38:39]
; %bb.25:                               ;   in Loop: Header=BB37_3 Depth=1
	v_mov_b32_e32 v27, v18
	v_mov_b32_e32 v18, v15
	;; [unrolled: 1-line block ×4, first 2 shown]
; %bb.26:                               ;   in Loop: Header=BB37_3 Depth=1
	s_or_b64 exec, exec, s[38:39]
                                        ; implicit-def: $vgpr20_vgpr21
                                        ; implicit-def: $vgpr22_vgpr23
                                        ; implicit-def: $vgpr35
                                        ; implicit-def: $vgpr36
                                        ; implicit-def: $vgpr24_vgpr25
                                        ; implicit-def: $vgpr21
                                        ; implicit-def: $vgpr23
.LBB37_27:                              ;   in Loop: Header=BB37_3 Depth=1
	s_andn2_saveexec_b64 s[0:1], s[0:1]
	s_cbranch_execz .LBB37_31
; %bb.28:                               ;   in Loop: Header=BB37_3 Depth=1
	v_xor_b32_e32 v18, v21, v25
	v_xor_b32_e32 v18, v18, v20
	v_mad_u64_u32 v[20:21], s[38:39], v18, s56, 0
	v_xor_b32_e32 v18, v21, v22
	v_xor_b32_e32 v19, v23, v18
	v_cmp_eq_u32_e32 vcc, 1, v35
	v_mov_b32_e32 v27, v14
	v_mov_b32_e32 v18, v36
	;; [unrolled: 1-line block ×3, first 2 shown]
	s_and_saveexec_b64 s[38:39], vcc
; %bb.29:                               ;   in Loop: Header=BB37_3 Depth=1
	v_mov_b32_e32 v27, v15
	v_mov_b32_e32 v18, v14
	;; [unrolled: 1-line block ×4, first 2 shown]
; %bb.30:                               ;   in Loop: Header=BB37_3 Depth=1
	s_or_b64 exec, exec, s[38:39]
	v_mov_b32_e32 v14, v19
	v_mov_b32_e32 v15, v21
.LBB37_31:                              ;   in Loop: Header=BB37_3 Depth=1
	s_or_b64 exec, exec, s[0:1]
	v_min_i32_e32 v19, 4, v32
	v_cmp_lt_i32_e32 vcc, 2, v19
	s_mov_b64 s[38:39], 0
	s_mov_b64 s[50:51], 0
                                        ; implicit-def: $sgpr40_sgpr41
                                        ; implicit-def: $sgpr42_sgpr43
                                        ; implicit-def: $sgpr44_sgpr45
	s_and_saveexec_b64 s[0:1], vcc
	s_xor_b64 s[46:47], exec, s[0:1]
	s_cbranch_execz .LBB37_41
; %bb.32:                               ;   in Loop: Header=BB37_3 Depth=1
	v_cmp_lt_i32_e32 vcc, 3, v19
	s_mov_b64 s[44:45], -1
                                        ; implicit-def: $sgpr40_sgpr41
                                        ; implicit-def: $sgpr48_sgpr49
	s_and_saveexec_b64 s[42:43], vcc
	s_cbranch_execz .LBB37_36
; %bb.33:                               ;   in Loop: Header=BB37_3 Depth=1
	s_waitcnt vmcnt(0)
	v_cmp_le_f32_e32 vcc, 0, v34
	v_cmp_ge_f32_e64 s[0:1], 1.0, v34
	s_and_b64 s[48:49], vcc, s[0:1]
	s_mov_b64 s[40:41], 0
	s_mov_b64 s[0:1], 0
	s_and_saveexec_b64 s[44:45], s[48:49]
	s_cbranch_execz .LBB37_35
; %bb.34:                               ;   in Loop: Header=BB37_3 Depth=1
	v_cvt_f32_u32_e32 v20, v27
	v_mov_b32_e32 v21, 0x2f800000
	v_lshlrev_b64 v[16:17], 2, v[16:17]
	v_add_co_u32_e32 v16, vcc, s2, v16
	v_fmac_f32_e32 v21, 0x2f800000, v20
	v_mov_b32_e32 v20, s3
	v_addc_co_u32_e32 v17, vcc, v20, v17, vcc
	v_cmp_le_f32_e32 vcc, v21, v34
	s_mov_b64 s[0:1], exec
	v_cndmask_b32_e64 v20, 0, 1, vcc
	global_store_dword v[16:17], v20, off
.LBB37_35:                              ;   in Loop: Header=BB37_3 Depth=1
	s_or_b64 exec, exec, s[44:45]
	s_mov_b64 s[48:49], -1
	s_orn2_b64 s[44:45], s[0:1], exec
.LBB37_36:                              ;   in Loop: Header=BB37_3 Depth=1
	s_or_b64 exec, exec, s[42:43]
	s_mov_b64 s[0:1], 0
	s_mov_b64 s[50:51], s[40:41]
	s_and_saveexec_b64 s[42:43], s[44:45]
	s_cbranch_execz .LBB37_40
; %bb.37:                               ;   in Loop: Header=BB37_3 Depth=1
	s_waitcnt vmcnt(1)
	v_cmp_le_f32_e32 vcc, 0, v33
	v_cmp_ge_f32_e64 s[0:1], 1.0, v33
	s_and_b64 s[44:45], vcc, s[0:1]
	s_mov_b64 s[0:1], 0
	s_and_saveexec_b64 s[50:51], s[44:45]
	s_xor_b64 s[44:45], exec, s[50:51]
	s_cbranch_execz .LBB37_39
; %bb.38:                               ;   in Loop: Header=BB37_3 Depth=1
	v_cvt_f32_u32_e32 v16, v18
	v_mov_b32_e32 v17, 0x2f800000
	v_lshlrev_b64 v[12:13], 2, v[12:13]
	v_add_co_u32_e32 v12, vcc, s2, v12
	v_fmac_f32_e32 v17, 0x2f800000, v16
	v_mov_b32_e32 v16, s3
	v_addc_co_u32_e32 v13, vcc, v16, v13, vcc
	v_cmp_le_f32_e32 vcc, v17, v33
	v_cndmask_b32_e64 v16, 0, 1, vcc
	s_mov_b64 s[0:1], exec
	global_store_dword v[12:13], v16, off
.LBB37_39:                              ;   in Loop: Header=BB37_3 Depth=1
	s_or_b64 exec, exec, s[44:45]
	s_andn2_b64 s[50:51], s[40:41], exec
	s_or_b64 s[40:41], s[40:41], exec
	s_andn2_b64 s[48:49], s[48:49], exec
	s_and_b64 s[0:1], s[0:1], exec
.LBB37_40:                              ;   in Loop: Header=BB37_3 Depth=1
	s_or_b64 exec, exec, s[42:43]
	s_and_b64 s[44:45], s[50:51], exec
	s_and_b64 s[42:43], s[40:41], exec
	;; [unrolled: 1-line block ×4, first 2 shown]
.LBB37_41:                              ;   in Loop: Header=BB37_3 Depth=1
	s_andn2_saveexec_b64 s[0:1], s[46:47]
; %bb.42:                               ;   in Loop: Header=BB37_3 Depth=1
	v_cmp_lt_i32_e32 vcc, 1, v19
	s_andn2_b64 s[46:47], s[50:51], exec
	s_and_b64 s[48:49], vcc, exec
	s_mov_b64 s[38:39], exec
	s_andn2_b64 s[44:45], s[44:45], exec
	s_andn2_b64 s[42:43], s[42:43], exec
	;; [unrolled: 1-line block ×3, first 2 shown]
	s_or_b64 s[50:51], s[46:47], s[48:49]
; %bb.43:                               ;   in Loop: Header=BB37_3 Depth=1
	s_or_b64 exec, exec, s[0:1]
	s_mov_b64 s[46:47], 0
	s_mov_b64 s[0:1], 0
	;; [unrolled: 1-line block ×3, first 2 shown]
	s_and_saveexec_b64 s[52:53], s[50:51]
	s_cbranch_execnz .LBB37_46
; %bb.44:                               ;   in Loop: Header=BB37_3 Depth=1
	s_or_b64 exec, exec, s[52:53]
	s_and_saveexec_b64 s[50:51], s[38:39]
	s_cbranch_execnz .LBB37_49
.LBB37_45:                              ;   in Loop: Header=BB37_3 Depth=1
	s_or_b64 exec, exec, s[50:51]
	s_and_saveexec_b64 s[38:39], s[0:1]
	s_cbranch_execnz .LBB37_50
	s_branch .LBB37_53
.LBB37_46:                              ;   in Loop: Header=BB37_3 Depth=1
	s_waitcnt vmcnt(2)
	v_cmp_le_f32_e32 vcc, 0, v9
	v_cmp_ge_f32_e64 s[0:1], 1.0, v9
	s_and_b64 s[48:49], vcc, s[0:1]
	s_mov_b64 s[0:1], 0
	s_and_saveexec_b64 s[50:51], s[48:49]
	s_xor_b64 s[48:49], exec, s[50:51]
	s_cbranch_execz .LBB37_48
; %bb.47:                               ;   in Loop: Header=BB37_3 Depth=1
	v_cvt_f32_u32_e32 v12, v15
	v_mov_b32_e32 v13, 0x2f800000
	v_lshlrev_b64 v[10:11], 2, v[10:11]
	v_add_co_u32_e32 v10, vcc, s2, v10
	v_fmac_f32_e32 v13, 0x2f800000, v12
	v_mov_b32_e32 v12, s3
	v_addc_co_u32_e32 v11, vcc, v12, v11, vcc
	v_cmp_le_f32_e32 vcc, v13, v9
	v_cndmask_b32_e64 v9, 0, 1, vcc
	s_mov_b64 s[0:1], exec
	global_store_dword v[10:11], v9, off
.LBB37_48:                              ;   in Loop: Header=BB37_3 Depth=1
	s_or_b64 exec, exec, s[48:49]
	s_andn2_b64 s[48:49], s[44:45], exec
	s_or_b64 s[44:45], s[44:45], exec
	s_andn2_b64 s[42:43], s[42:43], exec
	s_andn2_b64 s[40:41], s[40:41], exec
	s_and_b64 s[0:1], s[0:1], exec
	s_andn2_b64 s[38:39], s[38:39], exec
	s_or_b64 exec, exec, s[52:53]
	s_and_saveexec_b64 s[50:51], s[38:39]
	s_cbranch_execz .LBB37_45
.LBB37_49:                              ;   in Loop: Header=BB37_3 Depth=1
	v_cmp_eq_u32_e32 vcc, 1, v19
	s_andn2_b64 s[0:1], s[0:1], exec
	s_and_b64 s[38:39], vcc, exec
	s_mov_b64 s[46:47], exec
	s_andn2_b64 s[48:49], s[48:49], exec
	s_andn2_b64 s[44:45], s[44:45], exec
	;; [unrolled: 1-line block ×4, first 2 shown]
	s_or_b64 s[0:1], s[0:1], s[38:39]
	s_or_b64 exec, exec, s[50:51]
	s_and_saveexec_b64 s[38:39], s[0:1]
	s_cbranch_execz .LBB37_53
.LBB37_50:                              ;   in Loop: Header=BB37_3 Depth=1
	s_waitcnt vmcnt(3)
	v_cmp_le_f32_e32 vcc, 0, v4
	v_cmp_ge_f32_e64 s[0:1], 1.0, v4
	s_and_b64 s[52:53], vcc, s[0:1]
	s_mov_b64 s[0:1], 0
	s_and_saveexec_b64 s[50:51], s[52:53]
	s_cbranch_execz .LBB37_52
; %bb.51:                               ;   in Loop: Header=BB37_3 Depth=1
	v_cvt_f32_u32_e32 v10, v14
	s_waitcnt vmcnt(2)
	v_mov_b32_e32 v9, v5
	v_mov_b32_e32 v11, 0x2f800000
	v_lshlrev_b64 v[8:9], 2, v[8:9]
	v_fmac_f32_e32 v11, 0x2f800000, v10
	v_mov_b32_e32 v10, s3
	v_add_co_u32_e32 v8, vcc, s2, v8
	v_addc_co_u32_e32 v9, vcc, v10, v9, vcc
	v_cmp_le_f32_e32 vcc, v11, v4
	s_mov_b64 s[0:1], exec
	v_cndmask_b32_e64 v4, 0, 1, vcc
	global_store_dword v[8:9], v4, off
.LBB37_52:                              ;   in Loop: Header=BB37_3 Depth=1
	s_or_b64 exec, exec, s[50:51]
	s_andn2_b64 s[46:47], s[46:47], exec
	s_and_b64 s[0:1], s[0:1], exec
	s_or_b64 s[48:49], s[48:49], exec
	s_andn2_b64 s[44:45], s[44:45], exec
	s_andn2_b64 s[42:43], s[42:43], exec
	;; [unrolled: 1-line block ×3, first 2 shown]
	s_or_b64 s[46:47], s[46:47], s[0:1]
.LBB37_53:                              ;   in Loop: Header=BB37_3 Depth=1
	s_or_b64 exec, exec, s[38:39]
	s_andn2_b64 s[36:37], s[36:37], exec
	s_and_b64 s[38:39], s[48:49], exec
	s_or_b64 s[36:37], s[36:37], s[38:39]
	s_andn2_b64 s[34:35], s[34:35], exec
	s_and_b64 s[38:39], s[44:45], exec
	s_or_b64 s[34:35], s[34:35], s[38:39]
	;; [unrolled: 3-line block ×3, first 2 shown]
	s_andn2_b64 s[28:29], s[28:29], exec
	s_and_b64 s[38:39], s[40:41], exec
	s_mov_b64 s[0:1], -1
	s_or_b64 s[28:29], s[28:29], s[38:39]
	s_and_saveexec_b64 s[38:39], s[46:47]
	s_cbranch_execz .LBB37_2
; %bb.54:                               ;   in Loop: Header=BB37_3 Depth=1
	v_add_u32_e32 v0, s57, v0
	v_cmp_le_u32_e32 vcc, s33, v0
	v_subrev_u32_e32 v32, s57, v32
	s_andn2_b64 s[36:37], s[36:37], exec
	s_andn2_b64 s[34:35], s[34:35], exec
	;; [unrolled: 1-line block ×4, first 2 shown]
	s_orn2_b64 s[0:1], vcc, exec
	s_branch .LBB37_2
.LBB37_55:
	s_or_b64 exec, exec, s[20:21]
	s_xor_b64 s[6:7], s[26:27], -1
	s_xor_b64 s[8:9], s[24:25], -1
	;; [unrolled: 1-line block ×3, first 2 shown]
	s_mov_b64 s[2:3], 0
	s_and_saveexec_b64 s[4:5], s[0:1]
	s_xor_b64 s[0:1], exec, s[4:5]
	s_cbranch_execnz .LBB37_60
; %bb.56:
	s_andn2_saveexec_b64 s[0:1], s[0:1]
	s_cbranch_execnz .LBB37_68
.LBB37_57:
	s_or_b64 exec, exec, s[0:1]
	s_and_b64 exec, exec, s[2:3]
.LBB37_58:
	; divergent unreachable
.LBB37_59:
	s_endpgm
.LBB37_60:
	s_mov_b64 s[4:5], 0
	s_and_saveexec_b64 s[2:3], s[8:9]
	s_xor_b64 s[2:3], exec, s[2:3]
	s_cbranch_execz .LBB37_66
; %bb.61:
	s_and_saveexec_b64 s[8:9], s[6:7]
	s_xor_b64 s[6:7], exec, s[8:9]
	s_cbranch_execz .LBB37_64
; %bb.62:
	s_and_saveexec_b64 s[8:9], s[18:19]
	s_xor_b64 s[8:9], exec, s[8:9]
	s_cbranch_execnz .LBB37_71
.LBB37_63:
	s_or_b64 exec, exec, s[8:9]
	s_and_b64 s[4:5], s[4:5], exec
.LBB37_64:
	s_andn2_saveexec_b64 s[6:7], s[6:7]
	s_cbranch_execnz .LBB37_70
.LBB37_65:
	s_or_b64 exec, exec, s[6:7]
	s_and_b64 s[4:5], s[4:5], exec
.LBB37_66:
	s_andn2_saveexec_b64 s[2:3], s[2:3]
	s_cbranch_execnz .LBB37_69
.LBB37_67:
	s_or_b64 exec, exec, s[2:3]
	s_and_b64 s[2:3], s[4:5], exec
	s_andn2_saveexec_b64 s[0:1], s[0:1]
	s_cbranch_execz .LBB37_57
.LBB37_68:
	s_or_b64 s[2:3], s[2:3], exec
	s_trap 2
	s_or_b64 exec, exec, s[0:1]
	s_and_b64 exec, exec, s[2:3]
	s_cbranch_execnz .LBB37_58
	s_branch .LBB37_59
.LBB37_69:
	s_or_b64 s[4:5], s[4:5], exec
	s_trap 2
	s_branch .LBB37_67
.LBB37_70:
	s_trap 2
	s_or_b64 s[4:5], s[4:5], exec
	s_branch .LBB37_65
.LBB37_71:
	s_mov_b64 s[4:5], exec
	s_trap 2
	s_branch .LBB37_63
	.section	.rodata,"a",@progbits
	.p2align	6, 0x0
	.amdhsa_kernel _ZN2at4cuda12_GLOBAL__N_121kernelPointwiseApply2IZNS_6native9templates4cuda28bernoulli_tensor_cuda_kernelIifEEvRKNS_10TensorBaseES9_NS_15PhiloxCudaStateEEUliRiSB_SB_SB_RKfSD_SD_SD_E_iSC_jLi2ELi2ELi4ELi512ELi2EEEvNS0_6detail10TensorInfoIT0_T2_EENSG_IT1_SI_EESI_T_
		.amdhsa_group_segment_fixed_size 0
		.amdhsa_private_segment_fixed_size 0
		.amdhsa_kernarg_size 728
		.amdhsa_user_sgpr_count 6
		.amdhsa_user_sgpr_private_segment_buffer 1
		.amdhsa_user_sgpr_dispatch_ptr 0
		.amdhsa_user_sgpr_queue_ptr 0
		.amdhsa_user_sgpr_kernarg_segment_ptr 1
		.amdhsa_user_sgpr_dispatch_id 0
		.amdhsa_user_sgpr_flat_scratch_init 0
		.amdhsa_user_sgpr_kernarg_preload_length 0
		.amdhsa_user_sgpr_kernarg_preload_offset 0
		.amdhsa_user_sgpr_private_segment_size 0
		.amdhsa_uses_dynamic_stack 0
		.amdhsa_system_sgpr_private_segment_wavefront_offset 0
		.amdhsa_system_sgpr_workgroup_id_x 1
		.amdhsa_system_sgpr_workgroup_id_y 0
		.amdhsa_system_sgpr_workgroup_id_z 0
		.amdhsa_system_sgpr_workgroup_info 0
		.amdhsa_system_vgpr_workitem_id 0
		.amdhsa_next_free_vgpr 53
		.amdhsa_next_free_sgpr 62
		.amdhsa_accum_offset 56
		.amdhsa_reserve_vcc 1
		.amdhsa_reserve_flat_scratch 0
		.amdhsa_float_round_mode_32 0
		.amdhsa_float_round_mode_16_64 0
		.amdhsa_float_denorm_mode_32 3
		.amdhsa_float_denorm_mode_16_64 3
		.amdhsa_dx10_clamp 1
		.amdhsa_ieee_mode 1
		.amdhsa_fp16_overflow 0
		.amdhsa_tg_split 0
		.amdhsa_exception_fp_ieee_invalid_op 0
		.amdhsa_exception_fp_denorm_src 0
		.amdhsa_exception_fp_ieee_div_zero 0
		.amdhsa_exception_fp_ieee_overflow 0
		.amdhsa_exception_fp_ieee_underflow 0
		.amdhsa_exception_fp_ieee_inexact 0
		.amdhsa_exception_int_div_zero 0
	.end_amdhsa_kernel
	.section	.text._ZN2at4cuda12_GLOBAL__N_121kernelPointwiseApply2IZNS_6native9templates4cuda28bernoulli_tensor_cuda_kernelIifEEvRKNS_10TensorBaseES9_NS_15PhiloxCudaStateEEUliRiSB_SB_SB_RKfSD_SD_SD_E_iSC_jLi2ELi2ELi4ELi512ELi2EEEvNS0_6detail10TensorInfoIT0_T2_EENSG_IT1_SI_EESI_T_,"axG",@progbits,_ZN2at4cuda12_GLOBAL__N_121kernelPointwiseApply2IZNS_6native9templates4cuda28bernoulli_tensor_cuda_kernelIifEEvRKNS_10TensorBaseES9_NS_15PhiloxCudaStateEEUliRiSB_SB_SB_RKfSD_SD_SD_E_iSC_jLi2ELi2ELi4ELi512ELi2EEEvNS0_6detail10TensorInfoIT0_T2_EENSG_IT1_SI_EESI_T_,comdat
.Lfunc_end37:
	.size	_ZN2at4cuda12_GLOBAL__N_121kernelPointwiseApply2IZNS_6native9templates4cuda28bernoulli_tensor_cuda_kernelIifEEvRKNS_10TensorBaseES9_NS_15PhiloxCudaStateEEUliRiSB_SB_SB_RKfSD_SD_SD_E_iSC_jLi2ELi2ELi4ELi512ELi2EEEvNS0_6detail10TensorInfoIT0_T2_EENSG_IT1_SI_EESI_T_, .Lfunc_end37-_ZN2at4cuda12_GLOBAL__N_121kernelPointwiseApply2IZNS_6native9templates4cuda28bernoulli_tensor_cuda_kernelIifEEvRKNS_10TensorBaseES9_NS_15PhiloxCudaStateEEUliRiSB_SB_SB_RKfSD_SD_SD_E_iSC_jLi2ELi2ELi4ELi512ELi2EEEvNS0_6detail10TensorInfoIT0_T2_EENSG_IT1_SI_EESI_T_
                                        ; -- End function
	.section	.AMDGPU.csdata,"",@progbits
; Kernel info:
; codeLenInByte = 3452
; NumSgprs: 66
; NumVgprs: 53
; NumAgprs: 0
; TotalNumVgprs: 53
; ScratchSize: 0
; MemoryBound: 0
; FloatMode: 240
; IeeeMode: 1
; LDSByteSize: 0 bytes/workgroup (compile time only)
; SGPRBlocks: 8
; VGPRBlocks: 6
; NumSGPRsForWavesPerEU: 66
; NumVGPRsForWavesPerEU: 53
; AccumOffset: 56
; Occupancy: 8
; WaveLimiterHint : 1
; COMPUTE_PGM_RSRC2:SCRATCH_EN: 0
; COMPUTE_PGM_RSRC2:USER_SGPR: 6
; COMPUTE_PGM_RSRC2:TRAP_HANDLER: 0
; COMPUTE_PGM_RSRC2:TGID_X_EN: 1
; COMPUTE_PGM_RSRC2:TGID_Y_EN: 0
; COMPUTE_PGM_RSRC2:TGID_Z_EN: 0
; COMPUTE_PGM_RSRC2:TIDIG_COMP_CNT: 0
; COMPUTE_PGM_RSRC3_GFX90A:ACCUM_OFFSET: 13
; COMPUTE_PGM_RSRC3_GFX90A:TG_SPLIT: 0
	.section	.text._ZN2at4cuda12_GLOBAL__N_121kernelPointwiseApply2IZNS_6native9templates4cuda28bernoulli_tensor_cuda_kernelIifEEvRKNS_10TensorBaseES9_NS_15PhiloxCudaStateEEUliRiSB_SB_SB_RKfSD_SD_SD_E_iSC_jLi2ELin1ELi4ELi512ELi2EEEvNS0_6detail10TensorInfoIT0_T2_EENSG_IT1_SI_EESI_T_,"axG",@progbits,_ZN2at4cuda12_GLOBAL__N_121kernelPointwiseApply2IZNS_6native9templates4cuda28bernoulli_tensor_cuda_kernelIifEEvRKNS_10TensorBaseES9_NS_15PhiloxCudaStateEEUliRiSB_SB_SB_RKfSD_SD_SD_E_iSC_jLi2ELin1ELi4ELi512ELi2EEEvNS0_6detail10TensorInfoIT0_T2_EENSG_IT1_SI_EESI_T_,comdat
	.globl	_ZN2at4cuda12_GLOBAL__N_121kernelPointwiseApply2IZNS_6native9templates4cuda28bernoulli_tensor_cuda_kernelIifEEvRKNS_10TensorBaseES9_NS_15PhiloxCudaStateEEUliRiSB_SB_SB_RKfSD_SD_SD_E_iSC_jLi2ELin1ELi4ELi512ELi2EEEvNS0_6detail10TensorInfoIT0_T2_EENSG_IT1_SI_EESI_T_ ; -- Begin function _ZN2at4cuda12_GLOBAL__N_121kernelPointwiseApply2IZNS_6native9templates4cuda28bernoulli_tensor_cuda_kernelIifEEvRKNS_10TensorBaseES9_NS_15PhiloxCudaStateEEUliRiSB_SB_SB_RKfSD_SD_SD_E_iSC_jLi2ELin1ELi4ELi512ELi2EEEvNS0_6detail10TensorInfoIT0_T2_EENSG_IT1_SI_EESI_T_
	.p2align	8
	.type	_ZN2at4cuda12_GLOBAL__N_121kernelPointwiseApply2IZNS_6native9templates4cuda28bernoulli_tensor_cuda_kernelIifEEvRKNS_10TensorBaseES9_NS_15PhiloxCudaStateEEUliRiSB_SB_SB_RKfSD_SD_SD_E_iSC_jLi2ELin1ELi4ELi512ELi2EEEvNS0_6detail10TensorInfoIT0_T2_EENSG_IT1_SI_EESI_T_,@function
_ZN2at4cuda12_GLOBAL__N_121kernelPointwiseApply2IZNS_6native9templates4cuda28bernoulli_tensor_cuda_kernelIifEEvRKNS_10TensorBaseES9_NS_15PhiloxCudaStateEEUliRiSB_SB_SB_RKfSD_SD_SD_E_iSC_jLi2ELin1ELi4ELi512ELi2EEEvNS0_6detail10TensorInfoIT0_T2_EENSG_IT1_SI_EESI_T_: ; @_ZN2at4cuda12_GLOBAL__N_121kernelPointwiseApply2IZNS_6native9templates4cuda28bernoulli_tensor_cuda_kernelIifEEvRKNS_10TensorBaseES9_NS_15PhiloxCudaStateEEUliRiSB_SB_SB_RKfSD_SD_SD_E_iSC_jLi2ELin1ELi4ELi512ELi2EEEvNS0_6detail10TensorInfoIT0_T2_EENSG_IT1_SI_EESI_T_
; %bb.0:
	s_load_dword s2, s[4:5], 0x1e4
	s_load_dword s33, s[4:5], 0x1b0
	s_add_u32 s0, s4, 0x1d8
	s_addc_u32 s1, s5, 0
	s_waitcnt lgkmcnt(0)
	s_and_b32 s2, s2, 0xffff
	s_mul_i32 s6, s6, s2
	v_add_u32_e32 v5, s6, v0
	v_lshlrev_b32_e32 v30, 2, v5
	v_cmp_gt_u32_e32 vcc, s33, v30
	s_and_saveexec_b64 s[6:7], vcc
	s_cbranch_execz .LBB38_73
; %bb.1:
	s_load_dword s3, s[0:1], 0x0
	s_load_dwordx2 s[6:7], s[4:5], 0x1c8
	s_load_dwordx4 s[8:11], s[4:5], 0x1b8
	s_load_dword s20, s[4:5], 0x1a8
	s_load_dwordx2 s[12:13], s[4:5], 0x0
	s_load_dword s54, s[4:5], 0xc
	s_waitcnt lgkmcnt(0)
	s_mul_i32 s21, s3, s2
	s_load_dword s2, s[4:5], 0x1d0
	s_load_dword s55, s[4:5], 0x144
	s_add_u32 s18, s4, 0xd8
	s_addc_u32 s19, s5, 0
	v_cvt_f32_u32_e32 v0, s54
	s_cmp_gt_i32 s20, 1
	s_mov_b32 s56, 0xcd9e8d57
	s_cselect_b64 s[0:1], -1, 0
	v_rcp_iflag_f32_e32 v2, v0
	s_waitcnt lgkmcnt(0)
	s_bitcmp1_b32 s2, 0
	v_mad_u64_u32 v[0:1], s[2:3], v5, s56, 0
	v_mul_f32_e32 v2, 0x4f7ffffe, v2
	v_cvt_u32_f32_e32 v2, v2
	s_load_dwordx2 s[14:15], s[4:5], 0x6c
	s_load_dwordx2 s[16:17], s[4:5], 0xd8
	s_cselect_b64 s[4:5], -1, 0
	s_sub_i32 s2, 0, s54
	s_mov_b32 s3, 0
	v_mov_b32_e32 v4, v1
	v_mul_lo_u32 v1, s2, v2
	s_add_i32 s2, s20, -1
	s_lshl_b32 s57, s21, 2
	s_add_i32 s58, s20, 1
	s_lshl_b64 s[2:3], s[2:3], 2
	s_add_u32 s2, s2, s18
	s_addc_u32 s3, s3, s19
	v_mul_hi_u32 v1, v2, v1
	s_add_u32 s20, s2, 8
	v_mov_b32_e32 v3, 0
	v_add_u32_e32 v1, v2, v1
	s_addc_u32 s21, s3, 0
	s_mov_b64 s[22:23], 0
	v_cndmask_b32_e64 v31, 0, 1, s[0:1]
	s_mov_b32 s59, 0xd2511f53
	s_mov_b32 s60, 0xf1bbcdc8
                                        ; implicit-def: $sgpr24_sgpr25
                                        ; implicit-def: $sgpr26_sgpr27
                                        ; implicit-def: $sgpr28_sgpr29
                                        ; implicit-def: $sgpr18_sgpr19
                                        ; implicit-def: $sgpr30_sgpr31
                                        ; implicit-def: $sgpr34_sgpr35
                                        ; implicit-def: $sgpr36_sgpr37
                                        ; implicit-def: $sgpr38_sgpr39
	s_branch .LBB38_3
.LBB38_2:                               ;   in Loop: Header=BB38_3 Depth=1
	s_or_b64 exec, exec, s[2:3]
	s_and_b64 s[0:1], exec, s[0:1]
	s_or_b64 s[22:23], s[0:1], s[22:23]
	s_andn2_b64 s[0:1], s[18:19], exec
	s_and_b64 s[2:3], s[38:39], exec
	s_or_b64 s[18:19], s[0:1], s[2:3]
	s_andn2_b64 s[0:1], s[28:29], exec
	s_and_b64 s[2:3], s[36:37], exec
	;; [unrolled: 3-line block ×4, first 2 shown]
	s_or_b64 s[24:25], s[0:1], s[2:3]
	s_andn2_b64 exec, exec, s[22:23]
	s_cbranch_execz .LBB38_69
.LBB38_3:                               ; =>This Loop Header: Depth=1
                                        ;     Child Loop BB38_8 Depth 2
                                        ;     Child Loop BB38_15 Depth 2
	;; [unrolled: 1-line block ×4, first 2 shown]
	v_sub_u32_e32 v32, s33, v30
	v_cmp_lt_i32_e32 vcc, 0, v32
	v_mov_b32_e32 v6, 0
	s_and_saveexec_b64 s[2:3], vcc
	s_cbranch_execz .LBB38_5
; %bb.4:                                ;   in Loop: Header=BB38_3 Depth=1
	s_waitcnt vmcnt(3)
	v_mul_hi_u32 v2, v30, v1
	v_mul_lo_u32 v6, v2, s54
	v_sub_u32_e32 v6, v30, v6
	s_waitcnt vmcnt(2)
	v_add_u32_e32 v7, 1, v2
	v_cmp_le_u32_e64 s[0:1], s54, v6
	v_cndmask_b32_e64 v2, v2, v7, s[0:1]
	v_subrev_u32_e32 v7, s54, v6
	v_cndmask_b32_e64 v6, v6, v7, s[0:1]
	v_add_u32_e32 v7, 1, v2
	v_cmp_le_u32_e64 s[0:1], s54, v6
	v_cndmask_b32_e64 v6, v2, v7, s[0:1]
	v_mul_lo_u32 v2, v6, s54
	v_sub_u32_e32 v2, v30, v2
	s_waitcnt lgkmcnt(0)
	v_mul_lo_u32 v2, v2, s15
	v_mad_u64_u32 v[6:7], s[0:1], v6, s14, v[2:3]
.LBB38_5:                               ;   in Loop: Header=BB38_3 Depth=1
	s_or_b64 exec, exec, s[2:3]
	s_waitcnt vmcnt(3)
	v_mov_b32_e32 v2, 0
	v_cmp_ne_u32_e64 s[0:1], 1, v31
	s_and_saveexec_b64 s[2:3], vcc
	s_cbranch_execz .LBB38_10
; %bb.6:                                ;   in Loop: Header=BB38_3 Depth=1
	s_and_b64 vcc, exec, s[0:1]
	v_mov_b32_e32 v8, 0
	v_mov_b32_e32 v2, v30
	s_cbranch_vccnz .LBB38_9
; %bb.7:                                ;   in Loop: Header=BB38_3 Depth=1
	v_mov_b32_e32 v8, 0
	s_mov_b64 s[40:41], s[20:21]
	s_mov_b32 s42, s58
	v_mov_b32_e32 v2, v30
.LBB38_8:                               ;   Parent Loop BB38_3 Depth=1
                                        ; =>  This Inner Loop Header: Depth=2
	s_load_dword s43, s[40:41], 0x0
	s_load_dword s44, s[40:41], 0x64
	s_waitcnt vmcnt(2)
	v_mov_b32_e32 v7, v2
	s_add_i32 s42, s42, -1
	s_waitcnt lgkmcnt(0)
	v_cvt_f32_u32_e32 v2, s43
	s_sub_i32 s45, 0, s43
	s_add_u32 s40, s40, -4
	s_addc_u32 s41, s41, -1
	v_rcp_iflag_f32_e32 v2, v2
	s_cmp_gt_u32 s42, 2
	v_mul_f32_e32 v2, 0x4f7ffffe, v2
	v_cvt_u32_f32_e32 v2, v2
	s_waitcnt vmcnt(1)
	v_mul_lo_u32 v9, s45, v2
	v_mul_hi_u32 v9, v2, v9
	v_add_u32_e32 v2, v2, v9
	v_mul_hi_u32 v2, v7, v2
	v_mul_lo_u32 v9, v2, s43
	v_sub_u32_e32 v9, v7, v9
	v_add_u32_e32 v10, 1, v2
	v_cmp_le_u32_e32 vcc, s43, v9
	v_cndmask_b32_e32 v2, v2, v10, vcc
	v_subrev_u32_e32 v10, s43, v9
	v_cndmask_b32_e32 v9, v9, v10, vcc
	v_add_u32_e32 v10, 1, v2
	v_cmp_le_u32_e32 vcc, s43, v9
	v_cndmask_b32_e32 v2, v2, v10, vcc
	v_mul_lo_u32 v9, v2, s43
	v_sub_u32_e32 v7, v7, v9
	v_mad_u64_u32 v[8:9], s[44:45], s44, v7, v[8:9]
	s_cbranch_scc1 .LBB38_8
.LBB38_9:                               ;   in Loop: Header=BB38_3 Depth=1
	s_waitcnt vmcnt(1)
	v_mad_u64_u32 v[8:9], s[40:41], s55, v2, v[8:9]
	v_mov_b32_e32 v2, v8
.LBB38_10:                              ;   in Loop: Header=BB38_3 Depth=1
	s_or_b64 exec, exec, s[2:3]
	s_waitcnt vmcnt(2)
	v_or_b32_e32 v7, 1, v30
	v_cmp_lt_i32_e32 vcc, 1, v32
	v_mov_b32_e32 v12, 0
	v_mov_b32_e32 v8, 0
	s_and_saveexec_b64 s[40:41], vcc
	s_cbranch_execz .LBB38_12
; %bb.11:                               ;   in Loop: Header=BB38_3 Depth=1
	v_mul_hi_u32 v8, v7, v1
	s_waitcnt vmcnt(1)
	v_mul_lo_u32 v9, v8, s54
	v_sub_u32_e32 v9, v7, v9
	v_add_u32_e32 v10, 1, v8
	v_cmp_le_u32_e64 s[2:3], s54, v9
	v_cndmask_b32_e64 v8, v8, v10, s[2:3]
	v_subrev_u32_e32 v10, s54, v9
	v_cndmask_b32_e64 v9, v9, v10, s[2:3]
	v_add_u32_e32 v10, 1, v8
	v_cmp_le_u32_e64 s[2:3], s54, v9
	v_cndmask_b32_e64 v9, v8, v10, s[2:3]
	v_mul_lo_u32 v8, v9, s54
	v_sub_u32_e32 v8, v7, v8
	s_waitcnt lgkmcnt(0)
	v_mul_lo_u32 v8, v8, s15
	v_mad_u64_u32 v[8:9], s[2:3], v9, s14, v[8:9]
.LBB38_12:                              ;   in Loop: Header=BB38_3 Depth=1
	s_or_b64 exec, exec, s[40:41]
	s_and_saveexec_b64 s[2:3], vcc
	s_cbranch_execz .LBB38_17
; %bb.13:                               ;   in Loop: Header=BB38_3 Depth=1
	s_and_b64 vcc, exec, s[0:1]
	v_mov_b32_e32 v10, 0
	s_cbranch_vccnz .LBB38_16
; %bb.14:                               ;   in Loop: Header=BB38_3 Depth=1
	v_mov_b32_e32 v10, 0
	s_mov_b64 s[40:41], s[20:21]
	s_mov_b32 s42, s58
.LBB38_15:                              ;   Parent Loop BB38_3 Depth=1
                                        ; =>  This Inner Loop Header: Depth=2
	s_load_dword s43, s[40:41], 0x0
	s_load_dword s44, s[40:41], 0x64
	s_waitcnt vmcnt(1)
	v_mov_b32_e32 v9, v7
	s_add_i32 s42, s42, -1
	s_waitcnt lgkmcnt(0)
	v_cvt_f32_u32_e32 v7, s43
	s_sub_i32 s45, 0, s43
	s_add_u32 s40, s40, -4
	s_addc_u32 s41, s41, -1
	v_rcp_iflag_f32_e32 v7, v7
	s_cmp_gt_u32 s42, 2
	v_mul_f32_e32 v7, 0x4f7ffffe, v7
	v_cvt_u32_f32_e32 v7, v7
	s_waitcnt vmcnt(0)
	v_mul_lo_u32 v11, s45, v7
	v_mul_hi_u32 v11, v7, v11
	v_add_u32_e32 v7, v7, v11
	v_mul_hi_u32 v7, v9, v7
	v_mul_lo_u32 v11, v7, s43
	v_sub_u32_e32 v11, v9, v11
	v_add_u32_e32 v12, 1, v7
	v_cmp_le_u32_e32 vcc, s43, v11
	v_cndmask_b32_e32 v7, v7, v12, vcc
	v_subrev_u32_e32 v12, s43, v11
	v_cndmask_b32_e32 v11, v11, v12, vcc
	v_add_u32_e32 v12, 1, v7
	v_cmp_le_u32_e32 vcc, s43, v11
	v_cndmask_b32_e32 v7, v7, v12, vcc
	v_mul_lo_u32 v11, v7, s43
	v_sub_u32_e32 v9, v9, v11
	v_mad_u64_u32 v[10:11], s[44:45], s44, v9, v[10:11]
	s_cbranch_scc1 .LBB38_15
.LBB38_16:                              ;   in Loop: Header=BB38_3 Depth=1
	s_waitcnt vmcnt(0)
	v_mad_u64_u32 v[12:13], s[40:41], s55, v7, v[10:11]
.LBB38_17:                              ;   in Loop: Header=BB38_3 Depth=1
	s_or_b64 exec, exec, s[2:3]
	v_or_b32_e32 v7, 2, v30
	v_cmp_lt_i32_e32 vcc, 2, v32
	v_mov_b32_e32 v10, 0
	s_and_saveexec_b64 s[40:41], vcc
	s_cbranch_execz .LBB38_19
; %bb.18:                               ;   in Loop: Header=BB38_3 Depth=1
	s_waitcnt vmcnt(1)
	v_mul_hi_u32 v9, v7, v1
	v_mul_lo_u32 v10, v9, s54
	v_sub_u32_e32 v10, v7, v10
	s_waitcnt vmcnt(0)
	v_add_u32_e32 v11, 1, v9
	v_cmp_le_u32_e64 s[2:3], s54, v10
	v_cndmask_b32_e64 v9, v9, v11, s[2:3]
	v_subrev_u32_e32 v11, s54, v10
	v_cndmask_b32_e64 v10, v10, v11, s[2:3]
	v_add_u32_e32 v11, 1, v9
	v_cmp_le_u32_e64 s[2:3], s54, v10
	v_cndmask_b32_e64 v9, v9, v11, s[2:3]
	v_mul_lo_u32 v10, v9, s54
	v_sub_u32_e32 v10, v7, v10
	s_waitcnt lgkmcnt(0)
	v_mul_lo_u32 v10, v10, s15
	v_mad_u64_u32 v[10:11], s[2:3], v9, s14, v[10:11]
.LBB38_19:                              ;   in Loop: Header=BB38_3 Depth=1
	s_or_b64 exec, exec, s[40:41]
	v_pk_mov_b32 v[16:17], 0, 0
	s_and_saveexec_b64 s[2:3], vcc
	s_cbranch_execz .LBB38_24
; %bb.20:                               ;   in Loop: Header=BB38_3 Depth=1
	s_and_b64 vcc, exec, s[0:1]
	v_mov_b32_e32 v14, 0
	s_cbranch_vccnz .LBB38_23
; %bb.21:                               ;   in Loop: Header=BB38_3 Depth=1
	v_mov_b32_e32 v14, 0
	s_mov_b64 s[40:41], s[20:21]
	s_mov_b32 s42, s58
.LBB38_22:                              ;   Parent Loop BB38_3 Depth=1
                                        ; =>  This Inner Loop Header: Depth=2
	s_load_dword s43, s[40:41], 0x0
	s_load_dword s44, s[40:41], 0x64
	s_waitcnt vmcnt(1)
	v_mov_b32_e32 v9, v7
	s_add_i32 s42, s42, -1
	s_waitcnt lgkmcnt(0)
	v_cvt_f32_u32_e32 v7, s43
	s_sub_i32 s45, 0, s43
	s_add_u32 s40, s40, -4
	s_addc_u32 s41, s41, -1
	v_rcp_iflag_f32_e32 v7, v7
	s_cmp_gt_u32 s42, 2
	v_mul_f32_e32 v7, 0x4f7ffffe, v7
	v_cvt_u32_f32_e32 v7, v7
	s_waitcnt vmcnt(0)
	v_mul_lo_u32 v11, s45, v7
	v_mul_hi_u32 v11, v7, v11
	v_add_u32_e32 v7, v7, v11
	v_mul_hi_u32 v7, v9, v7
	v_mul_lo_u32 v11, v7, s43
	v_sub_u32_e32 v11, v9, v11
	v_add_u32_e32 v13, 1, v7
	v_cmp_le_u32_e32 vcc, s43, v11
	v_cndmask_b32_e32 v7, v7, v13, vcc
	v_subrev_u32_e32 v13, s43, v11
	v_cndmask_b32_e32 v11, v11, v13, vcc
	v_add_u32_e32 v13, 1, v7
	v_cmp_le_u32_e32 vcc, s43, v11
	v_cndmask_b32_e32 v7, v7, v13, vcc
	v_mul_lo_u32 v11, v7, s43
	v_sub_u32_e32 v9, v9, v11
	v_mad_u64_u32 v[14:15], s[44:45], s44, v9, v[14:15]
	s_cbranch_scc1 .LBB38_22
.LBB38_23:                              ;   in Loop: Header=BB38_3 Depth=1
	v_mad_u64_u32 v[16:17], s[40:41], s55, v7, v[14:15]
	v_mov_b32_e32 v17, v3
.LBB38_24:                              ;   in Loop: Header=BB38_3 Depth=1
	s_or_b64 exec, exec, s[2:3]
	v_pk_mov_b32 v[18:19], 0, 0
	v_or_b32_e32 v7, 3, v30
	v_cmp_lt_i32_e32 vcc, 3, v32
	v_pk_mov_b32 v[14:15], v[18:19], v[18:19] op_sel:[0,1]
	s_and_saveexec_b64 s[40:41], vcc
	s_cbranch_execz .LBB38_26
; %bb.25:                               ;   in Loop: Header=BB38_3 Depth=1
	s_waitcnt vmcnt(1)
	v_mul_hi_u32 v9, v7, v1
	s_waitcnt vmcnt(0)
	v_mul_lo_u32 v11, v9, s54
	v_sub_u32_e32 v11, v7, v11
	v_add_u32_e32 v13, 1, v9
	v_cmp_le_u32_e64 s[2:3], s54, v11
	v_cndmask_b32_e64 v9, v9, v13, s[2:3]
	v_subrev_u32_e32 v13, s54, v11
	v_cndmask_b32_e64 v11, v11, v13, s[2:3]
	v_add_u32_e32 v13, 1, v9
	v_cmp_le_u32_e64 s[2:3], s54, v11
	v_cndmask_b32_e64 v9, v9, v13, s[2:3]
	v_mul_lo_u32 v11, v9, s54
	v_sub_u32_e32 v11, v7, v11
	s_waitcnt lgkmcnt(0)
	v_mul_lo_u32 v14, v11, s15
	v_mad_u64_u32 v[14:15], s[2:3], v9, s14, v[14:15]
	v_mov_b32_e32 v15, v3
.LBB38_26:                              ;   in Loop: Header=BB38_3 Depth=1
	s_or_b64 exec, exec, s[40:41]
	s_and_saveexec_b64 s[2:3], vcc
	s_cbranch_execz .LBB38_31
; %bb.27:                               ;   in Loop: Header=BB38_3 Depth=1
	s_and_b64 vcc, exec, s[0:1]
	v_mov_b32_e32 v18, 0
	s_cbranch_vccnz .LBB38_30
; %bb.28:                               ;   in Loop: Header=BB38_3 Depth=1
	v_mov_b32_e32 v18, 0
	s_mov_b64 s[0:1], s[20:21]
	s_mov_b32 s40, s58
.LBB38_29:                              ;   Parent Loop BB38_3 Depth=1
                                        ; =>  This Inner Loop Header: Depth=2
	s_load_dword s41, s[0:1], 0x0
	s_load_dword s42, s[0:1], 0x64
	s_waitcnt vmcnt(1)
	v_mov_b32_e32 v9, v7
	s_add_i32 s40, s40, -1
	s_waitcnt lgkmcnt(0)
	v_cvt_f32_u32_e32 v7, s41
	s_sub_i32 s43, 0, s41
	s_add_u32 s0, s0, -4
	s_addc_u32 s1, s1, -1
	v_rcp_iflag_f32_e32 v7, v7
	s_cmp_gt_u32 s40, 2
	v_mul_f32_e32 v7, 0x4f7ffffe, v7
	v_cvt_u32_f32_e32 v7, v7
	s_waitcnt vmcnt(0)
	v_mul_lo_u32 v11, s43, v7
	v_mul_hi_u32 v11, v7, v11
	v_add_u32_e32 v7, v7, v11
	v_mul_hi_u32 v7, v9, v7
	v_mul_lo_u32 v11, v7, s41
	v_sub_u32_e32 v11, v9, v11
	v_add_u32_e32 v13, 1, v7
	v_cmp_le_u32_e32 vcc, s41, v11
	v_cndmask_b32_e32 v7, v7, v13, vcc
	v_subrev_u32_e32 v13, s41, v11
	v_cndmask_b32_e32 v11, v11, v13, vcc
	v_add_u32_e32 v13, 1, v7
	v_cmp_le_u32_e32 vcc, s41, v11
	v_cndmask_b32_e32 v7, v7, v13, vcc
	v_mul_lo_u32 v11, v7, s41
	v_sub_u32_e32 v9, v9, v11
	v_mad_u64_u32 v[18:19], s[42:43], s42, v9, v[18:19]
	s_cbranch_scc1 .LBB38_29
.LBB38_30:                              ;   in Loop: Header=BB38_3 Depth=1
	v_mad_u64_u32 v[18:19], s[0:1], s55, v7, v[18:19]
	v_mov_b32_e32 v19, v3
.LBB38_31:                              ;   in Loop: Header=BB38_3 Depth=1
	s_or_b64 exec, exec, s[2:3]
	v_lshlrev_b64 v[20:21], 2, v[2:3]
	s_waitcnt lgkmcnt(0)
	v_mov_b32_e32 v2, s17
	v_add_co_u32_e32 v20, vcc, s16, v20
	v_mov_b32_e32 v13, v3
	v_addc_co_u32_e32 v21, vcc, v2, v21, vcc
	v_lshlrev_b64 v[12:13], 2, v[12:13]
	v_add_co_u32_e32 v12, vcc, s16, v12
	v_addc_co_u32_e32 v13, vcc, v2, v13, vcc
	v_lshlrev_b64 v[16:17], 2, v[16:17]
	v_add_co_u32_e32 v16, vcc, s16, v16
	;; [unrolled: 3-line block ×3, first 2 shown]
	v_addc_co_u32_e32 v19, vcc, v2, v19, vcc
	global_load_dword v2, v[20:21], off
	global_load_dword v7, v[12:13], off
	;; [unrolled: 1-line block ×4, first 2 shown]
	s_andn2_b64 vcc, exec, s[4:5]
	v_pk_mov_b32 v[12:13], s[10:11], s[10:11] op_sel:[0,1]
	v_pk_mov_b32 v[16:17], s[8:9], s[8:9] op_sel:[0,1]
	s_cbranch_vccnz .LBB38_33
; %bb.32:                               ;   in Loop: Header=BB38_3 Depth=1
	v_pk_mov_b32 v[12:13], s[10:11], s[10:11] op_sel:[0,1]
	flat_load_dwordx2 v[12:13], v[12:13]
	v_pk_mov_b32 v[16:17], s[8:9], s[8:9] op_sel:[0,1]
	flat_load_dwordx2 v[16:17], v[16:17]
	v_mov_b32_e32 v18, s7
	s_waitcnt vmcnt(0) lgkmcnt(0)
	v_add_co_u32_e32 v12, vcc, s6, v12
	v_addc_co_u32_e32 v13, vcc, v13, v18, vcc
.LBB38_33:                              ;   in Loop: Header=BB38_3 Depth=1
	v_alignbit_b32 v26, v13, v12, 2
	v_lshrrev_b32_e32 v27, 2, v13
	v_xor_b32_e32 v18, v4, v16
	v_and_b32_e32 v33, 3, v12
	v_mad_u64_u32 v[12:13], s[0:1], v26, s59, 0
	v_xor_b32_e32 v18, v18, v27
	v_xor_b32_e32 v13, v13, v17
	v_add_u32_e32 v38, 0xbb67ae85, v17
	v_mad_u64_u32 v[18:19], s[0:1], v18, s59, 0
	v_mad_u64_u32 v[20:21], s[0:1], v13, s56, 0
	v_xor_b32_e32 v19, v38, v19
	v_add_u32_e32 v37, 0x9e3779b9, v16
	v_xor_b32_e32 v13, v0, v21
	v_xor_b32_e32 v19, v19, v12
	v_xor_b32_e32 v13, v13, v37
	v_add_u32_e32 v39, 0x3c6ef372, v16
	v_mad_u64_u32 v[22:23], s[0:1], v19, s56, 0
	v_add_u32_e32 v40, 0x76cf5d0a, v17
	v_mad_u64_u32 v[12:13], s[0:1], v13, s59, 0
	v_xor_b32_e32 v19, v39, v23
	v_xor_b32_e32 v19, v19, v20
	v_xor_b32_e32 v13, v40, v13
	v_xor_b32_e32 v13, v13, v18
	v_add_u32_e32 v42, 0x32370b8f, v17
	v_mad_u64_u32 v[18:19], s[0:1], v19, s59, 0
	v_add_u32_e32 v41, 0xdaa66d2b, v16
	v_mad_u64_u32 v[20:21], s[0:1], v13, s56, 0
	v_xor_b32_e32 v19, v42, v19
	;; [unrolled: 8-line block ×5, first 2 shown]
	v_xor_b32_e32 v19, v19, v20
	v_xor_b32_e32 v13, v48, v13
	;; [unrolled: 1-line block ×3, first 2 shown]
	v_add_u32_e32 v50, 0x1fd5c5a3, v17
	v_mad_u64_u32 v[18:19], s[0:1], v19, s59, 0
	v_xor_b32_e32 v19, v50, v19
	v_xor_b32_e32 v12, v19, v12
	v_add_u32_e32 v49, 0x5384540f, v16
	v_mad_u64_u32 v[24:25], s[0:1], v13, s56, 0
	v_add_co_u32_e32 v35, vcc, s60, v16
	v_mad_u64_u32 v[20:21], s[0:1], v12, s56, 0
	v_xor_b32_e32 v13, v49, v25
	v_xor_b32_e32 v12, v35, v21
	;; [unrolled: 1-line block ×4, first 2 shown]
	v_mad_u64_u32 v[22:23], s[0:1], v13, s59, 0
	v_mad_u64_u32 v[12:13], s[0:1], v12, s59, 0
	v_add_u32_e32 v36, 0x96a522ad, v17
	v_xor_b32_e32 v13, v13, v22
	v_xor_b32_e32 v34, v36, v13
	v_add_co_u32_e32 v13, vcc, 1, v26
	v_cndmask_b32_e64 v22, 0, 1, vcc
	v_addc_co_u32_e32 v28, vcc, 0, v27, vcc
	v_cmp_eq_u32_e32 vcc, 0, v28
	v_cndmask_b32_e32 v22, 0, v22, vcc
	v_add_u32_e32 v26, v22, v5
	v_cmp_eq_u32_e32 vcc, 0, v26
	v_mad_u64_u32 v[24:25], s[0:1], v13, s59, 0
	v_mad_u64_u32 v[26:27], s[0:1], v26, s56, 0
	v_add_u32_e32 v21, 0x8ff34781, v16
	v_cndmask_b32_e32 v22, 0, v22, vcc
	v_xor_b32_e32 v13, v27, v16
	v_xor_b32_e32 v16, v25, v17
	;; [unrolled: 1-line block ×4, first 2 shown]
	v_mad_u64_u32 v[28:29], s[0:1], v22, s56, 0
	v_add_u32_e32 v19, 0xdb3d7428, v17
	v_mad_u64_u32 v[16:17], s[0:1], v13, s59, 0
	v_xor_b32_e32 v13, v37, v29
	v_xor_b32_e32 v13, v13, v26
	v_xor_b32_e32 v17, v38, v17
	v_xor_b32_e32 v17, v17, v24
	v_mad_u64_u32 v[24:25], s[0:1], v13, s59, 0
	v_mad_u64_u32 v[26:27], s[0:1], v17, s56, 0
	v_xor_b32_e32 v17, v40, v25
	v_xor_b32_e32 v13, v39, v27
	v_xor_b32_e32 v22, v17, v16
	v_xor_b32_e32 v13, v13, v28
	v_mad_u64_u32 v[28:29], s[0:1], v22, s56, 0
	;; [unrolled: 6-line block ×7, first 2 shown]
	v_xor_b32_e32 v13, v19, v27
	v_xor_b32_e32 v13, v13, v16
	v_mad_u64_u32 v[28:29], s[0:1], v17, s56, 0
	v_mad_u64_u32 v[16:17], s[0:1], v13, s56, 0
	v_xor_b32_e32 v13, v17, v28
	v_xor_b32_e32 v13, v21, v13
	v_cmp_lt_i32_e32 vcc, 1, v33
                                        ; implicit-def: $vgpr25
	s_and_saveexec_b64 s[0:1], vcc
	s_xor_b64 s[0:1], exec, s[0:1]
	s_cbranch_execz .LBB38_39
; %bb.34:                               ;   in Loop: Header=BB38_3 Depth=1
	v_cmp_lt_i32_e32 vcc, 2, v33
                                        ; implicit-def: $vgpr25
	s_and_saveexec_b64 s[2:3], vcc
	s_xor_b64 s[2:3], exec, s[2:3]
; %bb.35:                               ;   in Loop: Header=BB38_3 Depth=1
	v_xor_b32_e32 v17, v35, v29
	v_xor_b32_e32 v17, v17, v24
	v_mul_hi_u32 v17, v17, s59
	v_xor_b32_e32 v17, v17, v26
	v_xor_b32_e32 v25, v36, v17
                                        ; implicit-def: $vgpr34
; %bb.36:                               ;   in Loop: Header=BB38_3 Depth=1
	s_andn2_saveexec_b64 s[2:3], s[2:3]
; %bb.37:                               ;   in Loop: Header=BB38_3 Depth=1
	v_mov_b32_e32 v25, v16
	v_mov_b32_e32 v16, v13
	;; [unrolled: 1-line block ×4, first 2 shown]
; %bb.38:                               ;   in Loop: Header=BB38_3 Depth=1
	s_or_b64 exec, exec, s[2:3]
                                        ; implicit-def: $vgpr18_vgpr19
                                        ; implicit-def: $vgpr20_vgpr21
                                        ; implicit-def: $vgpr33
                                        ; implicit-def: $vgpr34
                                        ; implicit-def: $vgpr22_vgpr23
                                        ; implicit-def: $vgpr19
                                        ; implicit-def: $vgpr21
.LBB38_39:                              ;   in Loop: Header=BB38_3 Depth=1
	s_andn2_saveexec_b64 s[0:1], s[0:1]
	s_cbranch_execz .LBB38_43
; %bb.40:                               ;   in Loop: Header=BB38_3 Depth=1
	v_xor_b32_e32 v16, v19, v23
	v_xor_b32_e32 v16, v16, v18
	v_mad_u64_u32 v[18:19], s[2:3], v16, s56, 0
	v_xor_b32_e32 v16, v19, v20
	v_xor_b32_e32 v17, v21, v16
	v_cmp_eq_u32_e32 vcc, 1, v33
	v_mov_b32_e32 v25, v12
	v_mov_b32_e32 v16, v34
	v_mov_b32_e32 v19, v18
	s_and_saveexec_b64 s[2:3], vcc
; %bb.41:                               ;   in Loop: Header=BB38_3 Depth=1
	v_mov_b32_e32 v25, v13
	v_mov_b32_e32 v16, v12
	;; [unrolled: 1-line block ×4, first 2 shown]
; %bb.42:                               ;   in Loop: Header=BB38_3 Depth=1
	s_or_b64 exec, exec, s[2:3]
	v_mov_b32_e32 v12, v17
	v_mov_b32_e32 v13, v19
.LBB38_43:                              ;   in Loop: Header=BB38_3 Depth=1
	s_or_b64 exec, exec, s[0:1]
	v_min_i32_e32 v17, 4, v32
	v_cmp_lt_i32_e32 vcc, 2, v17
	s_mov_b64 s[2:3], 0
	s_mov_b64 s[50:51], 0
	;; [unrolled: 1-line block ×3, first 2 shown]
                                        ; implicit-def: $sgpr42_sgpr43
                                        ; implicit-def: $sgpr44_sgpr45
                                        ; implicit-def: $sgpr46_sgpr47
	s_and_saveexec_b64 s[0:1], vcc
	s_xor_b64 s[48:49], exec, s[0:1]
	s_cbranch_execz .LBB38_55
; %bb.44:                               ;   in Loop: Header=BB38_3 Depth=1
	v_cmp_lt_i32_e32 vcc, 3, v17
	s_mov_b64 s[0:1], -1
	s_mov_b64 s[52:53], 0
                                        ; implicit-def: $sgpr40_sgpr41
                                        ; implicit-def: $sgpr42_sgpr43
	s_and_saveexec_b64 s[44:45], vcc
	s_cbranch_execz .LBB38_50
; %bb.45:                               ;   in Loop: Header=BB38_3 Depth=1
	v_cmp_eq_u32_e32 vcc, 4, v17
	s_mov_b64 s[0:1], 0
	s_mov_b64 s[52:53], -1
                                        ; implicit-def: $sgpr40_sgpr41
                                        ; implicit-def: $sgpr42_sgpr43
	s_and_saveexec_b64 s[46:47], vcc
	s_cbranch_execz .LBB38_49
; %bb.46:                               ;   in Loop: Header=BB38_3 Depth=1
	s_waitcnt vmcnt(0)
	v_cmp_le_f32_e32 vcc, 0, v11
	v_cmp_ge_f32_e64 s[0:1], 1.0, v11
	s_and_b64 s[52:53], vcc, s[0:1]
	s_mov_b64 s[40:41], 0
	s_mov_b64 s[0:1], 0
	s_and_saveexec_b64 s[42:43], s[52:53]
	s_cbranch_execz .LBB38_48
; %bb.47:                               ;   in Loop: Header=BB38_3 Depth=1
	v_cvt_f32_u32_e32 v18, v25
	v_mov_b32_e32 v19, 0x2f800000
	v_lshlrev_b64 v[14:15], 2, v[14:15]
	v_add_co_u32_e32 v14, vcc, s12, v14
	v_fmac_f32_e32 v19, 0x2f800000, v18
	v_mov_b32_e32 v18, s13
	v_addc_co_u32_e32 v15, vcc, v18, v15, vcc
	v_cmp_le_f32_e32 vcc, v19, v11
	s_mov_b64 s[0:1], exec
	v_cndmask_b32_e64 v11, 0, 1, vcc
	global_store_dword v[14:15], v11, off
.LBB38_48:                              ;   in Loop: Header=BB38_3 Depth=1
	s_or_b64 exec, exec, s[42:43]
	s_mov_b64 s[42:43], -1
	s_xor_b64 s[52:53], exec, -1
	s_and_b64 s[0:1], s[0:1], exec
.LBB38_49:                              ;   in Loop: Header=BB38_3 Depth=1
	s_or_b64 exec, exec, s[46:47]
	s_and_b64 s[52:53], s[52:53], exec
	s_orn2_b64 s[0:1], s[0:1], exec
.LBB38_50:                              ;   in Loop: Header=BB38_3 Depth=1
	s_or_b64 exec, exec, s[44:45]
	s_mov_b64 s[46:47], s[40:41]
	s_and_saveexec_b64 s[44:45], s[0:1]
	s_cbranch_execz .LBB38_54
; %bb.51:                               ;   in Loop: Header=BB38_3 Depth=1
	s_waitcnt vmcnt(1)
	v_cmp_le_f32_e32 vcc, 0, v9
	v_cmp_ge_f32_e64 s[0:1], 1.0, v9
	s_and_b64 s[46:47], vcc, s[0:1]
	s_mov_b64 s[0:1], 0
	s_and_saveexec_b64 s[50:51], s[46:47]
	s_xor_b64 s[46:47], exec, s[50:51]
	s_cbranch_execz .LBB38_53
; %bb.52:                               ;   in Loop: Header=BB38_3 Depth=1
	v_cvt_f32_u32_e32 v14, v16
	s_waitcnt vmcnt(0)
	v_mov_b32_e32 v11, v3
	v_mov_b32_e32 v15, 0x2f800000
	v_lshlrev_b64 v[10:11], 2, v[10:11]
	v_fmac_f32_e32 v15, 0x2f800000, v14
	v_mov_b32_e32 v14, s13
	v_add_co_u32_e32 v10, vcc, s12, v10
	v_addc_co_u32_e32 v11, vcc, v14, v11, vcc
	v_cmp_le_f32_e32 vcc, v15, v9
	v_cndmask_b32_e64 v9, 0, 1, vcc
	s_mov_b64 s[0:1], exec
	global_store_dword v[10:11], v9, off
.LBB38_53:                              ;   in Loop: Header=BB38_3 Depth=1
	s_or_b64 exec, exec, s[46:47]
	s_andn2_b64 s[46:47], s[40:41], exec
	s_or_b64 s[40:41], s[40:41], exec
	s_andn2_b64 s[42:43], s[42:43], exec
	s_and_b64 s[50:51], s[0:1], exec
.LBB38_54:                              ;   in Loop: Header=BB38_3 Depth=1
	s_or_b64 exec, exec, s[44:45]
	s_and_b64 s[46:47], s[46:47], exec
	s_and_b64 s[44:45], s[40:41], exec
	;; [unrolled: 1-line block ×5, first 2 shown]
.LBB38_55:                              ;   in Loop: Header=BB38_3 Depth=1
	s_andn2_saveexec_b64 s[0:1], s[48:49]
; %bb.56:                               ;   in Loop: Header=BB38_3 Depth=1
	v_cmp_lt_i32_e32 vcc, 1, v17
	s_andn2_b64 s[48:49], s[50:51], exec
	s_and_b64 s[50:51], vcc, exec
	s_mov_b64 s[2:3], exec
	s_andn2_b64 s[46:47], s[46:47], exec
	s_andn2_b64 s[44:45], s[44:45], exec
	;; [unrolled: 1-line block ×3, first 2 shown]
	s_or_b64 s[50:51], s[48:49], s[50:51]
; %bb.57:                               ;   in Loop: Header=BB38_3 Depth=1
	s_or_b64 exec, exec, s[0:1]
	s_mov_b64 s[0:1], 0
	s_mov_b64 s[48:49], s[46:47]
	s_and_saveexec_b64 s[52:53], s[50:51]
	s_cbranch_execnz .LBB38_60
; %bb.58:                               ;   in Loop: Header=BB38_3 Depth=1
	s_or_b64 exec, exec, s[52:53]
	s_and_saveexec_b64 s[50:51], s[2:3]
	s_cbranch_execnz .LBB38_63
.LBB38_59:                              ;   in Loop: Header=BB38_3 Depth=1
	s_or_b64 exec, exec, s[50:51]
	s_and_saveexec_b64 s[2:3], s[0:1]
	s_cbranch_execnz .LBB38_64
	s_branch .LBB38_67
.LBB38_60:                              ;   in Loop: Header=BB38_3 Depth=1
	s_waitcnt vmcnt(2)
	v_cmp_le_f32_e32 vcc, 0, v7
	v_cmp_ge_f32_e64 s[0:1], 1.0, v7
	s_and_b64 s[48:49], vcc, s[0:1]
	s_mov_b64 s[0:1], 0
	s_and_saveexec_b64 s[50:51], s[48:49]
	s_xor_b64 s[48:49], exec, s[50:51]
	s_cbranch_execz .LBB38_62
; %bb.61:                               ;   in Loop: Header=BB38_3 Depth=1
	v_cvt_f32_u32_e32 v10, v13
	s_waitcnt vmcnt(1)
	v_mov_b32_e32 v9, v3
	s_waitcnt vmcnt(0)
	v_mov_b32_e32 v11, 0x2f800000
	v_lshlrev_b64 v[8:9], 2, v[8:9]
	v_fmac_f32_e32 v11, 0x2f800000, v10
	v_mov_b32_e32 v10, s13
	v_add_co_u32_e32 v8, vcc, s12, v8
	v_addc_co_u32_e32 v9, vcc, v10, v9, vcc
	v_cmp_le_f32_e32 vcc, v11, v7
	v_cndmask_b32_e64 v7, 0, 1, vcc
	s_mov_b64 s[0:1], exec
	global_store_dword v[8:9], v7, off
.LBB38_62:                              ;   in Loop: Header=BB38_3 Depth=1
	s_or_b64 exec, exec, s[48:49]
	s_andn2_b64 s[48:49], s[46:47], exec
	s_or_b64 s[46:47], s[46:47], exec
	s_andn2_b64 s[44:45], s[44:45], exec
	s_andn2_b64 s[42:43], s[42:43], exec
	s_and_b64 s[0:1], s[0:1], exec
	s_andn2_b64 s[2:3], s[2:3], exec
	s_or_b64 exec, exec, s[52:53]
	s_and_saveexec_b64 s[50:51], s[2:3]
	s_cbranch_execz .LBB38_59
.LBB38_63:                              ;   in Loop: Header=BB38_3 Depth=1
	v_cmp_eq_u32_e32 vcc, 1, v17
	s_andn2_b64 s[0:1], s[0:1], exec
	s_and_b64 s[2:3], vcc, exec
	s_andn2_b64 s[48:49], s[48:49], exec
	s_andn2_b64 s[46:47], s[46:47], exec
	;; [unrolled: 1-line block ×4, first 2 shown]
	s_or_b64 s[40:41], s[40:41], exec
	s_or_b64 s[0:1], s[0:1], s[2:3]
	s_or_b64 exec, exec, s[50:51]
	s_and_saveexec_b64 s[2:3], s[0:1]
	s_cbranch_execz .LBB38_67
.LBB38_64:                              ;   in Loop: Header=BB38_3 Depth=1
	s_waitcnt vmcnt(3)
	v_cmp_le_f32_e32 vcc, 0, v2
	v_cmp_ge_f32_e64 s[0:1], 1.0, v2
	s_and_b64 s[52:53], vcc, s[0:1]
	s_mov_b64 s[0:1], 0
	s_and_saveexec_b64 s[50:51], s[52:53]
	s_cbranch_execz .LBB38_66
; %bb.65:                               ;   in Loop: Header=BB38_3 Depth=1
	v_cvt_f32_u32_e32 v8, v12
	s_waitcnt vmcnt(2)
	v_mov_b32_e32 v7, v3
	s_waitcnt vmcnt(1)
	v_mov_b32_e32 v9, 0x2f800000
	v_lshlrev_b64 v[6:7], 2, v[6:7]
	v_fmac_f32_e32 v9, 0x2f800000, v8
	v_mov_b32_e32 v8, s13
	v_add_co_u32_e32 v6, vcc, s12, v6
	v_addc_co_u32_e32 v7, vcc, v8, v7, vcc
	v_cmp_le_f32_e32 vcc, v9, v2
	s_mov_b64 s[0:1], exec
	v_cndmask_b32_e64 v2, 0, 1, vcc
	global_store_dword v[6:7], v2, off
.LBB38_66:                              ;   in Loop: Header=BB38_3 Depth=1
	s_or_b64 exec, exec, s[50:51]
	s_andn2_b64 s[40:41], s[40:41], exec
	s_and_b64 s[0:1], s[0:1], exec
	s_or_b64 s[48:49], s[48:49], exec
	s_andn2_b64 s[46:47], s[46:47], exec
	s_andn2_b64 s[44:45], s[44:45], exec
	;; [unrolled: 1-line block ×3, first 2 shown]
	s_or_b64 s[40:41], s[40:41], s[0:1]
.LBB38_67:                              ;   in Loop: Header=BB38_3 Depth=1
	s_or_b64 exec, exec, s[2:3]
	s_andn2_b64 s[2:3], s[38:39], exec
	s_and_b64 s[38:39], s[48:49], exec
	s_or_b64 s[38:39], s[2:3], s[38:39]
	s_andn2_b64 s[2:3], s[36:37], exec
	s_and_b64 s[36:37], s[46:47], exec
	s_or_b64 s[36:37], s[2:3], s[36:37]
	;; [unrolled: 3-line block ×3, first 2 shown]
	s_andn2_b64 s[2:3], s[30:31], exec
	s_and_b64 s[30:31], s[42:43], exec
	s_mov_b64 s[0:1], -1
	s_or_b64 s[30:31], s[2:3], s[30:31]
	s_and_saveexec_b64 s[2:3], s[40:41]
	s_cbranch_execz .LBB38_2
; %bb.68:                               ;   in Loop: Header=BB38_3 Depth=1
	v_add_u32_e32 v30, s57, v30
	v_cmp_le_u32_e32 vcc, s33, v30
	s_andn2_b64 s[38:39], s[38:39], exec
	s_andn2_b64 s[36:37], s[36:37], exec
	;; [unrolled: 1-line block ×4, first 2 shown]
	s_orn2_b64 s[0:1], vcc, exec
	s_branch .LBB38_2
.LBB38_69:
	s_or_b64 exec, exec, s[22:23]
	s_xor_b64 s[6:7], s[28:29], -1
	s_xor_b64 s[8:9], s[26:27], -1
	;; [unrolled: 1-line block ×3, first 2 shown]
	s_mov_b64 s[2:3], 0
	s_and_saveexec_b64 s[4:5], s[0:1]
	s_xor_b64 s[0:1], exec, s[4:5]
	s_cbranch_execnz .LBB38_74
; %bb.70:
	s_andn2_saveexec_b64 s[0:1], s[0:1]
	s_cbranch_execnz .LBB38_82
.LBB38_71:
	s_or_b64 exec, exec, s[0:1]
	s_and_b64 exec, exec, s[2:3]
.LBB38_72:
	; divergent unreachable
.LBB38_73:
	s_endpgm
.LBB38_74:
	s_mov_b64 s[4:5], 0
	s_and_saveexec_b64 s[2:3], s[8:9]
	s_xor_b64 s[2:3], exec, s[2:3]
	s_cbranch_execz .LBB38_80
; %bb.75:
	s_and_saveexec_b64 s[8:9], s[6:7]
	s_xor_b64 s[6:7], exec, s[8:9]
	s_cbranch_execz .LBB38_78
; %bb.76:
	s_and_saveexec_b64 s[8:9], s[18:19]
	s_xor_b64 s[8:9], exec, s[8:9]
	s_cbranch_execnz .LBB38_85
.LBB38_77:
	s_or_b64 exec, exec, s[8:9]
	s_and_b64 s[4:5], s[4:5], exec
.LBB38_78:
	s_andn2_saveexec_b64 s[6:7], s[6:7]
	s_cbranch_execnz .LBB38_84
.LBB38_79:
	s_or_b64 exec, exec, s[6:7]
	s_and_b64 s[4:5], s[4:5], exec
.LBB38_80:
	s_andn2_saveexec_b64 s[2:3], s[2:3]
	s_cbranch_execnz .LBB38_83
.LBB38_81:
	s_or_b64 exec, exec, s[2:3]
	s_and_b64 s[2:3], s[4:5], exec
	s_andn2_saveexec_b64 s[0:1], s[0:1]
	s_cbranch_execz .LBB38_71
.LBB38_82:
	s_or_b64 s[2:3], s[2:3], exec
	s_trap 2
	s_or_b64 exec, exec, s[0:1]
	s_and_b64 exec, exec, s[2:3]
	s_cbranch_execnz .LBB38_72
	s_branch .LBB38_73
.LBB38_83:
	s_or_b64 s[4:5], s[4:5], exec
	s_trap 2
	s_branch .LBB38_81
.LBB38_84:
	s_trap 2
	s_or_b64 s[4:5], s[4:5], exec
	s_branch .LBB38_79
.LBB38_85:
	s_mov_b64 s[4:5], exec
	s_trap 2
	s_branch .LBB38_77
	.section	.rodata,"a",@progbits
	.p2align	6, 0x0
	.amdhsa_kernel _ZN2at4cuda12_GLOBAL__N_121kernelPointwiseApply2IZNS_6native9templates4cuda28bernoulli_tensor_cuda_kernelIifEEvRKNS_10TensorBaseES9_NS_15PhiloxCudaStateEEUliRiSB_SB_SB_RKfSD_SD_SD_E_iSC_jLi2ELin1ELi4ELi512ELi2EEEvNS0_6detail10TensorInfoIT0_T2_EENSG_IT1_SI_EESI_T_
		.amdhsa_group_segment_fixed_size 0
		.amdhsa_private_segment_fixed_size 0
		.amdhsa_kernarg_size 728
		.amdhsa_user_sgpr_count 6
		.amdhsa_user_sgpr_private_segment_buffer 1
		.amdhsa_user_sgpr_dispatch_ptr 0
		.amdhsa_user_sgpr_queue_ptr 0
		.amdhsa_user_sgpr_kernarg_segment_ptr 1
		.amdhsa_user_sgpr_dispatch_id 0
		.amdhsa_user_sgpr_flat_scratch_init 0
		.amdhsa_user_sgpr_kernarg_preload_length 0
		.amdhsa_user_sgpr_kernarg_preload_offset 0
		.amdhsa_user_sgpr_private_segment_size 0
		.amdhsa_uses_dynamic_stack 0
		.amdhsa_system_sgpr_private_segment_wavefront_offset 0
		.amdhsa_system_sgpr_workgroup_id_x 1
		.amdhsa_system_sgpr_workgroup_id_y 0
		.amdhsa_system_sgpr_workgroup_id_z 0
		.amdhsa_system_sgpr_workgroup_info 0
		.amdhsa_system_vgpr_workitem_id 0
		.amdhsa_next_free_vgpr 51
		.amdhsa_next_free_sgpr 61
		.amdhsa_accum_offset 52
		.amdhsa_reserve_vcc 1
		.amdhsa_reserve_flat_scratch 0
		.amdhsa_float_round_mode_32 0
		.amdhsa_float_round_mode_16_64 0
		.amdhsa_float_denorm_mode_32 3
		.amdhsa_float_denorm_mode_16_64 3
		.amdhsa_dx10_clamp 1
		.amdhsa_ieee_mode 1
		.amdhsa_fp16_overflow 0
		.amdhsa_tg_split 0
		.amdhsa_exception_fp_ieee_invalid_op 0
		.amdhsa_exception_fp_denorm_src 0
		.amdhsa_exception_fp_ieee_div_zero 0
		.amdhsa_exception_fp_ieee_overflow 0
		.amdhsa_exception_fp_ieee_underflow 0
		.amdhsa_exception_fp_ieee_inexact 0
		.amdhsa_exception_int_div_zero 0
	.end_amdhsa_kernel
	.section	.text._ZN2at4cuda12_GLOBAL__N_121kernelPointwiseApply2IZNS_6native9templates4cuda28bernoulli_tensor_cuda_kernelIifEEvRKNS_10TensorBaseES9_NS_15PhiloxCudaStateEEUliRiSB_SB_SB_RKfSD_SD_SD_E_iSC_jLi2ELin1ELi4ELi512ELi2EEEvNS0_6detail10TensorInfoIT0_T2_EENSG_IT1_SI_EESI_T_,"axG",@progbits,_ZN2at4cuda12_GLOBAL__N_121kernelPointwiseApply2IZNS_6native9templates4cuda28bernoulli_tensor_cuda_kernelIifEEvRKNS_10TensorBaseES9_NS_15PhiloxCudaStateEEUliRiSB_SB_SB_RKfSD_SD_SD_E_iSC_jLi2ELin1ELi4ELi512ELi2EEEvNS0_6detail10TensorInfoIT0_T2_EENSG_IT1_SI_EESI_T_,comdat
.Lfunc_end38:
	.size	_ZN2at4cuda12_GLOBAL__N_121kernelPointwiseApply2IZNS_6native9templates4cuda28bernoulli_tensor_cuda_kernelIifEEvRKNS_10TensorBaseES9_NS_15PhiloxCudaStateEEUliRiSB_SB_SB_RKfSD_SD_SD_E_iSC_jLi2ELin1ELi4ELi512ELi2EEEvNS0_6detail10TensorInfoIT0_T2_EENSG_IT1_SI_EESI_T_, .Lfunc_end38-_ZN2at4cuda12_GLOBAL__N_121kernelPointwiseApply2IZNS_6native9templates4cuda28bernoulli_tensor_cuda_kernelIifEEvRKNS_10TensorBaseES9_NS_15PhiloxCudaStateEEUliRiSB_SB_SB_RKfSD_SD_SD_E_iSC_jLi2ELin1ELi4ELi512ELi2EEEvNS0_6detail10TensorInfoIT0_T2_EENSG_IT1_SI_EESI_T_
                                        ; -- End function
	.section	.AMDGPU.csdata,"",@progbits
; Kernel info:
; codeLenInByte = 4052
; NumSgprs: 65
; NumVgprs: 51
; NumAgprs: 0
; TotalNumVgprs: 51
; ScratchSize: 0
; MemoryBound: 0
; FloatMode: 240
; IeeeMode: 1
; LDSByteSize: 0 bytes/workgroup (compile time only)
; SGPRBlocks: 8
; VGPRBlocks: 6
; NumSGPRsForWavesPerEU: 65
; NumVGPRsForWavesPerEU: 51
; AccumOffset: 52
; Occupancy: 8
; WaveLimiterHint : 1
; COMPUTE_PGM_RSRC2:SCRATCH_EN: 0
; COMPUTE_PGM_RSRC2:USER_SGPR: 6
; COMPUTE_PGM_RSRC2:TRAP_HANDLER: 0
; COMPUTE_PGM_RSRC2:TGID_X_EN: 1
; COMPUTE_PGM_RSRC2:TGID_Y_EN: 0
; COMPUTE_PGM_RSRC2:TGID_Z_EN: 0
; COMPUTE_PGM_RSRC2:TIDIG_COMP_CNT: 0
; COMPUTE_PGM_RSRC3_GFX90A:ACCUM_OFFSET: 12
; COMPUTE_PGM_RSRC3_GFX90A:TG_SPLIT: 0
	.section	.text._ZN2at4cuda12_GLOBAL__N_121kernelPointwiseApply2IZNS_6native9templates4cuda28bernoulli_tensor_cuda_kernelIifEEvRKNS_10TensorBaseES9_NS_15PhiloxCudaStateEEUliRiSB_SB_SB_RKfSD_SD_SD_E_iSC_jLin1ELi1ELi4ELi512ELi2EEEvNS0_6detail10TensorInfoIT0_T2_EENSG_IT1_SI_EESI_T_,"axG",@progbits,_ZN2at4cuda12_GLOBAL__N_121kernelPointwiseApply2IZNS_6native9templates4cuda28bernoulli_tensor_cuda_kernelIifEEvRKNS_10TensorBaseES9_NS_15PhiloxCudaStateEEUliRiSB_SB_SB_RKfSD_SD_SD_E_iSC_jLin1ELi1ELi4ELi512ELi2EEEvNS0_6detail10TensorInfoIT0_T2_EENSG_IT1_SI_EESI_T_,comdat
	.globl	_ZN2at4cuda12_GLOBAL__N_121kernelPointwiseApply2IZNS_6native9templates4cuda28bernoulli_tensor_cuda_kernelIifEEvRKNS_10TensorBaseES9_NS_15PhiloxCudaStateEEUliRiSB_SB_SB_RKfSD_SD_SD_E_iSC_jLin1ELi1ELi4ELi512ELi2EEEvNS0_6detail10TensorInfoIT0_T2_EENSG_IT1_SI_EESI_T_ ; -- Begin function _ZN2at4cuda12_GLOBAL__N_121kernelPointwiseApply2IZNS_6native9templates4cuda28bernoulli_tensor_cuda_kernelIifEEvRKNS_10TensorBaseES9_NS_15PhiloxCudaStateEEUliRiSB_SB_SB_RKfSD_SD_SD_E_iSC_jLin1ELi1ELi4ELi512ELi2EEEvNS0_6detail10TensorInfoIT0_T2_EENSG_IT1_SI_EESI_T_
	.p2align	8
	.type	_ZN2at4cuda12_GLOBAL__N_121kernelPointwiseApply2IZNS_6native9templates4cuda28bernoulli_tensor_cuda_kernelIifEEvRKNS_10TensorBaseES9_NS_15PhiloxCudaStateEEUliRiSB_SB_SB_RKfSD_SD_SD_E_iSC_jLin1ELi1ELi4ELi512ELi2EEEvNS0_6detail10TensorInfoIT0_T2_EENSG_IT1_SI_EESI_T_,@function
_ZN2at4cuda12_GLOBAL__N_121kernelPointwiseApply2IZNS_6native9templates4cuda28bernoulli_tensor_cuda_kernelIifEEvRKNS_10TensorBaseES9_NS_15PhiloxCudaStateEEUliRiSB_SB_SB_RKfSD_SD_SD_E_iSC_jLin1ELi1ELi4ELi512ELi2EEEvNS0_6detail10TensorInfoIT0_T2_EENSG_IT1_SI_EESI_T_: ; @_ZN2at4cuda12_GLOBAL__N_121kernelPointwiseApply2IZNS_6native9templates4cuda28bernoulli_tensor_cuda_kernelIifEEvRKNS_10TensorBaseES9_NS_15PhiloxCudaStateEEUliRiSB_SB_SB_RKfSD_SD_SD_E_iSC_jLin1ELi1ELi4ELi512ELi2EEEvNS0_6detail10TensorInfoIT0_T2_EENSG_IT1_SI_EESI_T_
; %bb.0:
	s_load_dword s2, s[4:5], 0x1e4
	s_load_dword s33, s[4:5], 0x1b0
	s_add_u32 s0, s4, 0x1d8
	s_addc_u32 s1, s5, 0
	s_waitcnt lgkmcnt(0)
	s_and_b32 s2, s2, 0xffff
	s_mul_i32 s6, s6, s2
	v_add_u32_e32 v5, s6, v0
	v_lshlrev_b32_e32 v30, 2, v5
	v_cmp_gt_u32_e32 vcc, s33, v30
	s_and_saveexec_b64 s[6:7], vcc
	s_cbranch_execz .LBB39_65
; %bb.1:
	s_load_dword s3, s[0:1], 0x0
	s_load_dword s54, s[4:5], 0x144
	s_load_dwordx4 s[12:15], s[4:5], 0x1b8
	s_load_dwordx2 s[10:11], s[4:5], 0xd8
	s_load_dword s6, s[4:5], 0xd0
	s_waitcnt lgkmcnt(0)
	s_mul_i32 s7, s3, s2
	s_load_dwordx2 s[16:17], s[4:5], 0x1c8
	s_load_dword s2, s[4:5], 0x1d0
	s_load_dword s55, s[4:5], 0x6c
	s_mov_b32 s56, 0xcd9e8d57
	s_load_dwordx2 s[20:21], s[4:5], 0x0
	s_cmp_gt_i32 s6, 1
	s_cselect_b64 s[0:1], -1, 0
	s_waitcnt lgkmcnt(0)
	s_bitcmp1_b32 s2, 0
	v_mad_u64_u32 v[0:1], s[2:3], v5, s56, 0
	s_cselect_b64 s[22:23], -1, 0
	s_add_i32 s2, s6, -1
	s_mov_b32 s3, 0
	s_lshl_b32 s57, s7, 2
	s_add_i32 s58, s6, 1
	s_lshl_b64 s[2:3], s[2:3], 2
	s_add_u32 s2, s2, s4
	s_addc_u32 s3, s3, s5
	v_mov_b32_e32 v4, v1
	s_add_u32 s24, s2, 8
	v_cndmask_b32_e64 v1, 0, 1, s[0:1]
	v_mov_b32_e32 v3, 0
	s_addc_u32 s25, s3, 0
	s_mov_b64 s[26:27], 0
	s_mov_b32 s59, 0xd2511f53
	v_cmp_ne_u32_e64 s[0:1], 1, v1
	s_mov_b32 s60, 0xf1bbcdc8
                                        ; implicit-def: $sgpr28_sgpr29
                                        ; implicit-def: $sgpr30_sgpr31
                                        ; implicit-def: $sgpr34_sgpr35
                                        ; implicit-def: $sgpr18_sgpr19
                                        ; implicit-def: $sgpr36_sgpr37
                                        ; implicit-def: $sgpr38_sgpr39
                                        ; implicit-def: $sgpr40_sgpr41
                                        ; implicit-def: $sgpr42_sgpr43
	s_branch .LBB39_3
.LBB39_2:                               ;   in Loop: Header=BB39_3 Depth=1
	s_or_b64 exec, exec, s[4:5]
	s_and_b64 s[2:3], exec, s[2:3]
	s_or_b64 s[26:27], s[2:3], s[26:27]
	s_andn2_b64 s[2:3], s[18:19], exec
	s_and_b64 s[4:5], s[42:43], exec
	s_or_b64 s[18:19], s[2:3], s[4:5]
	s_andn2_b64 s[2:3], s[34:35], exec
	s_and_b64 s[4:5], s[40:41], exec
	;; [unrolled: 3-line block ×4, first 2 shown]
	s_or_b64 s[28:29], s[2:3], s[4:5]
	s_andn2_b64 exec, exec, s[26:27]
	s_cbranch_execz .LBB39_61
.LBB39_3:                               ; =>This Loop Header: Depth=1
                                        ;     Child Loop BB39_6 Depth 2
                                        ;     Child Loop BB39_11 Depth 2
                                        ;     Child Loop BB39_16 Depth 2
                                        ;     Child Loop BB39_21 Depth 2
	v_sub_u32_e32 v1, s33, v30
	v_cmp_lt_i32_e64 s[2:3], 0, v1
	v_mov_b32_e32 v6, 0
	s_and_saveexec_b64 s[4:5], s[2:3]
	s_cbranch_execz .LBB39_8
; %bb.4:                                ;   in Loop: Header=BB39_3 Depth=1
	s_and_b64 vcc, exec, s[0:1]
	v_mov_b32_e32 v6, 0
	s_waitcnt vmcnt(3)
	v_mov_b32_e32 v2, v30
	s_cbranch_vccnz .LBB39_7
; %bb.5:                                ;   in Loop: Header=BB39_3 Depth=1
	v_mov_b32_e32 v6, 0
	s_mov_b64 s[6:7], s[24:25]
	s_mov_b32 s8, s58
	v_mov_b32_e32 v2, v30
.LBB39_6:                               ;   Parent Loop BB39_3 Depth=1
                                        ; =>  This Inner Loop Header: Depth=2
	s_load_dword s9, s[6:7], 0x0
	s_load_dword s44, s[6:7], 0x64
	s_waitcnt vmcnt(2)
	v_mov_b32_e32 v7, v2
	s_add_i32 s8, s8, -1
	s_waitcnt lgkmcnt(0)
	v_cvt_f32_u32_e32 v2, s9
	s_sub_i32 s45, 0, s9
	s_add_u32 s6, s6, -4
	s_addc_u32 s7, s7, -1
	v_rcp_iflag_f32_e32 v2, v2
	s_cmp_gt_u32 s8, 2
	v_mul_f32_e32 v2, 0x4f7ffffe, v2
	v_cvt_u32_f32_e32 v2, v2
	v_mul_lo_u32 v8, s45, v2
	v_mul_hi_u32 v8, v2, v8
	v_add_u32_e32 v2, v2, v8
	v_mul_hi_u32 v2, v7, v2
	v_mul_lo_u32 v8, v2, s9
	v_sub_u32_e32 v8, v7, v8
	v_add_u32_e32 v9, 1, v2
	v_cmp_le_u32_e32 vcc, s9, v8
	v_cndmask_b32_e32 v2, v2, v9, vcc
	v_subrev_u32_e32 v9, s9, v8
	v_cndmask_b32_e32 v8, v8, v9, vcc
	v_add_u32_e32 v9, 1, v2
	v_cmp_le_u32_e32 vcc, s9, v8
	v_cndmask_b32_e32 v2, v2, v9, vcc
	v_mul_lo_u32 v8, v2, s9
	v_sub_u32_e32 v7, v7, v8
	v_mad_u64_u32 v[6:7], s[44:45], s44, v7, v[6:7]
	s_cbranch_scc1 .LBB39_6
.LBB39_7:                               ;   in Loop: Header=BB39_3 Depth=1
	s_waitcnt vmcnt(2)
	v_mad_u64_u32 v[6:7], s[6:7], s55, v2, v[6:7]
.LBB39_8:                               ;   in Loop: Header=BB39_3 Depth=1
	s_or_b64 exec, exec, s[4:5]
	v_cmp_lt_i32_e64 s[4:5], 1, v1
	v_pk_mov_b32 v[8:9], 0, 0
	s_and_saveexec_b64 s[6:7], s[4:5]
	s_cbranch_execz .LBB39_13
; %bb.9:                                ;   in Loop: Header=BB39_3 Depth=1
	s_waitcnt vmcnt(3)
	v_or_b32_e32 v2, 1, v30
	s_and_b64 vcc, exec, s[0:1]
	v_mov_b32_e32 v8, 0
	s_cbranch_vccnz .LBB39_12
; %bb.10:                               ;   in Loop: Header=BB39_3 Depth=1
	v_mov_b32_e32 v8, 0
	s_mov_b64 s[8:9], s[24:25]
	s_mov_b32 s44, s58
.LBB39_11:                              ;   Parent Loop BB39_3 Depth=1
                                        ; =>  This Inner Loop Header: Depth=2
	s_load_dword s45, s[8:9], 0x0
	s_load_dword s46, s[8:9], 0x64
	s_waitcnt vmcnt(2)
	v_mov_b32_e32 v7, v2
	s_add_i32 s44, s44, -1
	s_waitcnt lgkmcnt(0)
	v_cvt_f32_u32_e32 v2, s45
	s_sub_i32 s47, 0, s45
	s_add_u32 s8, s8, -4
	s_addc_u32 s9, s9, -1
	v_rcp_iflag_f32_e32 v2, v2
	s_cmp_gt_u32 s44, 2
	v_mul_f32_e32 v2, 0x4f7ffffe, v2
	v_cvt_u32_f32_e32 v2, v2
	v_mul_lo_u32 v9, s47, v2
	v_mul_hi_u32 v9, v2, v9
	v_add_u32_e32 v2, v2, v9
	v_mul_hi_u32 v2, v7, v2
	v_mul_lo_u32 v9, v2, s45
	v_sub_u32_e32 v9, v7, v9
	v_add_u32_e32 v10, 1, v2
	v_cmp_le_u32_e32 vcc, s45, v9
	v_cndmask_b32_e32 v2, v2, v10, vcc
	v_subrev_u32_e32 v10, s45, v9
	v_cndmask_b32_e32 v9, v9, v10, vcc
	v_add_u32_e32 v10, 1, v2
	v_cmp_le_u32_e32 vcc, s45, v9
	v_cndmask_b32_e32 v2, v2, v10, vcc
	v_mul_lo_u32 v9, v2, s45
	v_sub_u32_e32 v7, v7, v9
	v_mad_u64_u32 v[8:9], s[46:47], s46, v7, v[8:9]
	s_cbranch_scc1 .LBB39_11
.LBB39_12:                              ;   in Loop: Header=BB39_3 Depth=1
	v_mad_u64_u32 v[8:9], s[8:9], s55, v2, v[8:9]
	v_mov_b32_e32 v9, v3
.LBB39_13:                              ;   in Loop: Header=BB39_3 Depth=1
	s_or_b64 exec, exec, s[6:7]
	v_cmp_lt_i32_e64 s[6:7], 2, v1
	v_pk_mov_b32 v[10:11], 0, 0
	s_and_saveexec_b64 s[8:9], s[6:7]
	s_cbranch_execz .LBB39_18
; %bb.14:                               ;   in Loop: Header=BB39_3 Depth=1
	s_waitcnt vmcnt(3)
	v_or_b32_e32 v2, 2, v30
	s_and_b64 vcc, exec, s[0:1]
	v_mov_b32_e32 v10, 0
	s_cbranch_vccnz .LBB39_17
; %bb.15:                               ;   in Loop: Header=BB39_3 Depth=1
	v_mov_b32_e32 v10, 0
	s_mov_b64 s[44:45], s[24:25]
	s_mov_b32 s46, s58
.LBB39_16:                              ;   Parent Loop BB39_3 Depth=1
                                        ; =>  This Inner Loop Header: Depth=2
	s_load_dword s47, s[44:45], 0x0
	s_load_dword s48, s[44:45], 0x64
	s_waitcnt vmcnt(2)
	v_mov_b32_e32 v7, v2
	s_add_i32 s46, s46, -1
	s_waitcnt lgkmcnt(0)
	v_cvt_f32_u32_e32 v2, s47
	s_sub_i32 s49, 0, s47
	s_add_u32 s44, s44, -4
	s_addc_u32 s45, s45, -1
	v_rcp_iflag_f32_e32 v2, v2
	s_cmp_gt_u32 s46, 2
	v_mul_f32_e32 v2, 0x4f7ffffe, v2
	v_cvt_u32_f32_e32 v2, v2
	v_mul_lo_u32 v11, s49, v2
	v_mul_hi_u32 v11, v2, v11
	v_add_u32_e32 v2, v2, v11
	v_mul_hi_u32 v2, v7, v2
	v_mul_lo_u32 v11, v2, s47
	v_sub_u32_e32 v11, v7, v11
	v_add_u32_e32 v12, 1, v2
	v_cmp_le_u32_e32 vcc, s47, v11
	v_cndmask_b32_e32 v2, v2, v12, vcc
	v_subrev_u32_e32 v12, s47, v11
	v_cndmask_b32_e32 v11, v11, v12, vcc
	v_add_u32_e32 v12, 1, v2
	v_cmp_le_u32_e32 vcc, s47, v11
	v_cndmask_b32_e32 v2, v2, v12, vcc
	v_mul_lo_u32 v11, v2, s47
	v_sub_u32_e32 v7, v7, v11
	v_mad_u64_u32 v[10:11], s[48:49], s48, v7, v[10:11]
	s_cbranch_scc1 .LBB39_16
.LBB39_17:                              ;   in Loop: Header=BB39_3 Depth=1
	v_mad_u64_u32 v[10:11], s[44:45], s55, v2, v[10:11]
	v_mov_b32_e32 v11, v3
.LBB39_18:                              ;   in Loop: Header=BB39_3 Depth=1
	s_or_b64 exec, exec, s[8:9]
	v_cmp_lt_i32_e64 s[8:9], 3, v1
	v_pk_mov_b32 v[14:15], 0, 0
	s_and_saveexec_b64 s[44:45], s[8:9]
	s_cbranch_execz .LBB39_23
; %bb.19:                               ;   in Loop: Header=BB39_3 Depth=1
	s_waitcnt vmcnt(3)
	v_or_b32_e32 v2, 3, v30
	s_and_b64 vcc, exec, s[0:1]
	v_mov_b32_e32 v12, 0
	s_cbranch_vccnz .LBB39_22
; %bb.20:                               ;   in Loop: Header=BB39_3 Depth=1
	v_mov_b32_e32 v12, 0
	s_mov_b64 s[46:47], s[24:25]
	s_mov_b32 s48, s58
.LBB39_21:                              ;   Parent Loop BB39_3 Depth=1
                                        ; =>  This Inner Loop Header: Depth=2
	s_load_dword s49, s[46:47], 0x0
	s_load_dword s50, s[46:47], 0x64
	s_waitcnt vmcnt(2)
	v_mov_b32_e32 v7, v2
	s_add_i32 s48, s48, -1
	s_waitcnt lgkmcnt(0)
	v_cvt_f32_u32_e32 v2, s49
	s_sub_i32 s51, 0, s49
	s_add_u32 s46, s46, -4
	s_addc_u32 s47, s47, -1
	v_rcp_iflag_f32_e32 v2, v2
	s_cmp_gt_u32 s48, 2
	v_mul_f32_e32 v2, 0x4f7ffffe, v2
	v_cvt_u32_f32_e32 v2, v2
	v_mul_lo_u32 v13, s51, v2
	v_mul_hi_u32 v13, v2, v13
	v_add_u32_e32 v2, v2, v13
	v_mul_hi_u32 v2, v7, v2
	v_mul_lo_u32 v13, v2, s49
	v_sub_u32_e32 v13, v7, v13
	v_add_u32_e32 v14, 1, v2
	v_cmp_le_u32_e32 vcc, s49, v13
	v_cndmask_b32_e32 v2, v2, v14, vcc
	v_subrev_u32_e32 v14, s49, v13
	v_cndmask_b32_e32 v13, v13, v14, vcc
	v_add_u32_e32 v14, 1, v2
	v_cmp_le_u32_e32 vcc, s49, v13
	v_cndmask_b32_e32 v2, v2, v14, vcc
	v_mul_lo_u32 v13, v2, s49
	v_sub_u32_e32 v7, v7, v13
	v_mad_u64_u32 v[12:13], s[50:51], s50, v7, v[12:13]
	s_cbranch_scc1 .LBB39_21
.LBB39_22:                              ;   in Loop: Header=BB39_3 Depth=1
	v_mad_u64_u32 v[14:15], s[46:47], s55, v2, v[12:13]
	v_mov_b32_e32 v15, v3
.LBB39_23:                              ;   in Loop: Header=BB39_3 Depth=1
	s_or_b64 exec, exec, s[44:45]
	s_waitcnt vmcnt(3)
	v_mul_lo_u32 v2, v30, s54
	s_waitcnt vmcnt(2)
	v_add_u32_e32 v7, s54, v2
	v_cndmask_b32_e64 v2, 0, v2, s[2:3]
	v_lshlrev_b64 v[12:13], 2, v[2:3]
	v_mov_b32_e32 v22, s11
	v_add_co_u32_e32 v12, vcc, s10, v12
	v_cndmask_b32_e64 v2, 0, v7, s[4:5]
	v_add_u32_e32 v18, s54, v7
	v_addc_co_u32_e32 v13, vcc, v22, v13, vcc
	v_lshlrev_b64 v[16:17], 2, v[2:3]
	v_add_co_u32_e32 v16, vcc, s10, v16
	v_cndmask_b32_e64 v2, 0, v18, s[6:7]
	v_add_u32_e32 v20, s54, v18
	v_addc_co_u32_e32 v17, vcc, v22, v17, vcc
	v_lshlrev_b64 v[18:19], 2, v[2:3]
	v_add_co_u32_e32 v18, vcc, s10, v18
	v_cndmask_b32_e64 v2, 0, v20, s[8:9]
	v_addc_co_u32_e32 v19, vcc, v22, v19, vcc
	v_lshlrev_b64 v[20:21], 2, v[2:3]
	v_add_co_u32_e32 v20, vcc, s10, v20
	v_addc_co_u32_e32 v21, vcc, v22, v21, vcc
	global_load_dword v2, v[12:13], off
	global_load_dword v7, v[16:17], off
	;; [unrolled: 1-line block ×4, first 2 shown]
	s_andn2_b64 vcc, exec, s[22:23]
	v_pk_mov_b32 v[12:13], s[14:15], s[14:15] op_sel:[0,1]
	v_pk_mov_b32 v[16:17], s[12:13], s[12:13] op_sel:[0,1]
	s_cbranch_vccnz .LBB39_25
; %bb.24:                               ;   in Loop: Header=BB39_3 Depth=1
	v_pk_mov_b32 v[12:13], s[14:15], s[14:15] op_sel:[0,1]
	flat_load_dwordx2 v[12:13], v[12:13]
	v_pk_mov_b32 v[16:17], s[12:13], s[12:13] op_sel:[0,1]
	flat_load_dwordx2 v[16:17], v[16:17]
	v_mov_b32_e32 v18, s17
	s_waitcnt vmcnt(0) lgkmcnt(0)
	v_add_co_u32_e32 v12, vcc, s16, v12
	v_addc_co_u32_e32 v13, vcc, v13, v18, vcc
.LBB39_25:                              ;   in Loop: Header=BB39_3 Depth=1
	v_alignbit_b32 v26, v13, v12, 2
	v_lshrrev_b32_e32 v27, 2, v13
	v_xor_b32_e32 v18, v4, v16
	v_and_b32_e32 v33, 3, v12
	v_mad_u64_u32 v[12:13], s[2:3], v26, s59, 0
	v_xor_b32_e32 v18, v18, v27
	v_xor_b32_e32 v13, v13, v17
	v_add_u32_e32 v38, 0xbb67ae85, v17
	v_mad_u64_u32 v[18:19], s[2:3], v18, s59, 0
	v_mad_u64_u32 v[20:21], s[2:3], v13, s56, 0
	v_xor_b32_e32 v19, v38, v19
	v_add_u32_e32 v37, 0x9e3779b9, v16
	v_xor_b32_e32 v13, v0, v21
	v_xor_b32_e32 v19, v19, v12
	v_xor_b32_e32 v13, v13, v37
	v_add_u32_e32 v39, 0x3c6ef372, v16
	v_mad_u64_u32 v[22:23], s[2:3], v19, s56, 0
	v_add_u32_e32 v40, 0x76cf5d0a, v17
	v_mad_u64_u32 v[12:13], s[2:3], v13, s59, 0
	v_xor_b32_e32 v19, v39, v23
	v_xor_b32_e32 v19, v19, v20
	v_xor_b32_e32 v13, v40, v13
	v_xor_b32_e32 v13, v13, v18
	v_add_u32_e32 v42, 0x32370b8f, v17
	v_mad_u64_u32 v[18:19], s[2:3], v19, s59, 0
	v_add_u32_e32 v41, 0xdaa66d2b, v16
	v_mad_u64_u32 v[20:21], s[2:3], v13, s56, 0
	v_xor_b32_e32 v19, v42, v19
	;; [unrolled: 8-line block ×5, first 2 shown]
	v_xor_b32_e32 v19, v19, v20
	v_xor_b32_e32 v13, v48, v13
	v_xor_b32_e32 v13, v13, v18
	v_add_u32_e32 v50, 0x1fd5c5a3, v17
	v_mad_u64_u32 v[18:19], s[2:3], v19, s59, 0
	v_xor_b32_e32 v19, v50, v19
	v_xor_b32_e32 v12, v19, v12
	v_add_u32_e32 v49, 0x5384540f, v16
	v_mad_u64_u32 v[24:25], s[2:3], v13, s56, 0
	v_add_co_u32_e32 v35, vcc, s60, v16
	v_mad_u64_u32 v[20:21], s[2:3], v12, s56, 0
	v_xor_b32_e32 v13, v49, v25
	v_xor_b32_e32 v12, v35, v21
	;; [unrolled: 1-line block ×4, first 2 shown]
	v_mad_u64_u32 v[22:23], s[2:3], v13, s59, 0
	v_mad_u64_u32 v[12:13], s[2:3], v12, s59, 0
	v_add_u32_e32 v36, 0x96a522ad, v17
	v_xor_b32_e32 v13, v13, v22
	v_xor_b32_e32 v34, v36, v13
	v_add_co_u32_e32 v13, vcc, 1, v26
	v_cndmask_b32_e64 v22, 0, 1, vcc
	v_addc_co_u32_e32 v28, vcc, 0, v27, vcc
	v_cmp_eq_u32_e32 vcc, 0, v28
	v_cndmask_b32_e32 v22, 0, v22, vcc
	v_add_u32_e32 v26, v22, v5
	v_cmp_eq_u32_e32 vcc, 0, v26
	v_mad_u64_u32 v[24:25], s[2:3], v13, s59, 0
	v_mad_u64_u32 v[26:27], s[2:3], v26, s56, 0
	v_add_u32_e32 v21, 0x8ff34781, v16
	v_cndmask_b32_e32 v22, 0, v22, vcc
	v_xor_b32_e32 v13, v27, v16
	v_xor_b32_e32 v16, v25, v17
	v_xor_b32_e32 v22, v22, v16
	v_xor_b32_e32 v13, v28, v13
	v_mad_u64_u32 v[28:29], s[2:3], v22, s56, 0
	v_add_u32_e32 v19, 0xdb3d7428, v17
	v_mad_u64_u32 v[16:17], s[2:3], v13, s59, 0
	v_xor_b32_e32 v13, v37, v29
	v_xor_b32_e32 v13, v13, v26
	v_xor_b32_e32 v17, v38, v17
	v_xor_b32_e32 v17, v17, v24
	v_mad_u64_u32 v[24:25], s[2:3], v13, s59, 0
	v_mad_u64_u32 v[26:27], s[2:3], v17, s56, 0
	v_xor_b32_e32 v17, v40, v25
	v_xor_b32_e32 v13, v39, v27
	v_xor_b32_e32 v22, v17, v16
	v_xor_b32_e32 v13, v13, v28
	v_mad_u64_u32 v[28:29], s[2:3], v22, s56, 0
	;; [unrolled: 6-line block ×7, first 2 shown]
	v_xor_b32_e32 v13, v19, v27
	v_xor_b32_e32 v13, v13, v16
	v_mad_u64_u32 v[28:29], s[2:3], v17, s56, 0
	v_mad_u64_u32 v[16:17], s[2:3], v13, s56, 0
	v_xor_b32_e32 v13, v17, v28
	v_xor_b32_e32 v13, v21, v13
	v_cmp_lt_i32_e32 vcc, 1, v33
                                        ; implicit-def: $vgpr17
	s_and_saveexec_b64 s[2:3], vcc
	s_xor_b64 s[2:3], exec, s[2:3]
	s_cbranch_execz .LBB39_31
; %bb.26:                               ;   in Loop: Header=BB39_3 Depth=1
	v_cmp_lt_i32_e32 vcc, 2, v33
                                        ; implicit-def: $vgpr17
	s_and_saveexec_b64 s[4:5], vcc
	s_xor_b64 s[4:5], exec, s[4:5]
; %bb.27:                               ;   in Loop: Header=BB39_3 Depth=1
	v_xor_b32_e32 v17, v35, v29
	v_xor_b32_e32 v17, v17, v24
	v_mul_hi_u32 v17, v17, s59
	v_xor_b32_e32 v17, v17, v26
	v_xor_b32_e32 v17, v36, v17
                                        ; implicit-def: $vgpr34
; %bb.28:                               ;   in Loop: Header=BB39_3 Depth=1
	s_andn2_saveexec_b64 s[4:5], s[4:5]
; %bb.29:                               ;   in Loop: Header=BB39_3 Depth=1
	v_mov_b32_e32 v17, v16
	v_mov_b32_e32 v16, v13
	;; [unrolled: 1-line block ×4, first 2 shown]
; %bb.30:                               ;   in Loop: Header=BB39_3 Depth=1
	s_or_b64 exec, exec, s[4:5]
                                        ; implicit-def: $vgpr18_vgpr19
                                        ; implicit-def: $vgpr20_vgpr21
                                        ; implicit-def: $vgpr33
                                        ; implicit-def: $vgpr34
                                        ; implicit-def: $vgpr22_vgpr23
                                        ; implicit-def: $vgpr19
                                        ; implicit-def: $vgpr21
.LBB39_31:                              ;   in Loop: Header=BB39_3 Depth=1
	s_andn2_saveexec_b64 s[2:3], s[2:3]
	s_cbranch_execz .LBB39_35
; %bb.32:                               ;   in Loop: Header=BB39_3 Depth=1
	v_xor_b32_e32 v16, v19, v23
	v_xor_b32_e32 v16, v16, v18
	v_mad_u64_u32 v[18:19], s[4:5], v16, s56, 0
	v_xor_b32_e32 v16, v19, v20
	v_xor_b32_e32 v19, v21, v16
	v_cmp_eq_u32_e32 vcc, 1, v33
	v_mov_b32_e32 v17, v12
	v_mov_b32_e32 v16, v34
	;; [unrolled: 1-line block ×3, first 2 shown]
	s_and_saveexec_b64 s[4:5], vcc
; %bb.33:                               ;   in Loop: Header=BB39_3 Depth=1
	v_mov_b32_e32 v17, v13
	v_mov_b32_e32 v16, v12
	;; [unrolled: 1-line block ×4, first 2 shown]
; %bb.34:                               ;   in Loop: Header=BB39_3 Depth=1
	s_or_b64 exec, exec, s[4:5]
	v_mov_b32_e32 v12, v19
	v_mov_b32_e32 v13, v20
.LBB39_35:                              ;   in Loop: Header=BB39_3 Depth=1
	s_or_b64 exec, exec, s[2:3]
	v_min_i32_e32 v1, 4, v1
	v_cmp_lt_i32_e32 vcc, 2, v1
	s_mov_b64 s[4:5], 0
	s_mov_b64 s[50:51], 0
	;; [unrolled: 1-line block ×3, first 2 shown]
                                        ; implicit-def: $sgpr8_sgpr9
                                        ; implicit-def: $sgpr44_sgpr45
                                        ; implicit-def: $sgpr46_sgpr47
	s_and_saveexec_b64 s[2:3], vcc
	s_xor_b64 s[48:49], exec, s[2:3]
	s_cbranch_execz .LBB39_47
; %bb.36:                               ;   in Loop: Header=BB39_3 Depth=1
	v_cmp_lt_i32_e32 vcc, 3, v1
	s_mov_b64 s[2:3], -1
	s_mov_b64 s[52:53], 0
                                        ; implicit-def: $sgpr6_sgpr7
                                        ; implicit-def: $sgpr8_sgpr9
	s_and_saveexec_b64 s[44:45], vcc
	s_cbranch_execz .LBB39_42
; %bb.37:                               ;   in Loop: Header=BB39_3 Depth=1
	v_cmp_eq_u32_e32 vcc, 4, v1
	s_mov_b64 s[2:3], 0
	s_mov_b64 s[52:53], -1
                                        ; implicit-def: $sgpr6_sgpr7
                                        ; implicit-def: $sgpr8_sgpr9
	s_and_saveexec_b64 s[46:47], vcc
	s_cbranch_execz .LBB39_41
; %bb.38:                               ;   in Loop: Header=BB39_3 Depth=1
	s_waitcnt vmcnt(0)
	v_cmp_le_f32_e32 vcc, 0, v32
	v_cmp_ge_f32_e64 s[2:3], 1.0, v32
	s_and_b64 s[52:53], vcc, s[2:3]
	s_mov_b64 s[6:7], 0
	s_mov_b64 s[2:3], 0
	s_and_saveexec_b64 s[8:9], s[52:53]
	s_cbranch_execz .LBB39_40
; %bb.39:                               ;   in Loop: Header=BB39_3 Depth=1
	v_cvt_f32_u32_e32 v17, v17
	v_mov_b32_e32 v18, 0x2f800000
	v_lshlrev_b64 v[14:15], 2, v[14:15]
	v_add_co_u32_e32 v14, vcc, s20, v14
	v_fmac_f32_e32 v18, 0x2f800000, v17
	v_mov_b32_e32 v17, s21
	v_addc_co_u32_e32 v15, vcc, v17, v15, vcc
	v_cmp_le_f32_e32 vcc, v18, v32
	s_mov_b64 s[2:3], exec
	v_cndmask_b32_e64 v17, 0, 1, vcc
	global_store_dword v[14:15], v17, off
.LBB39_40:                              ;   in Loop: Header=BB39_3 Depth=1
	s_or_b64 exec, exec, s[8:9]
	s_mov_b64 s[8:9], -1
	s_xor_b64 s[52:53], exec, -1
	s_and_b64 s[2:3], s[2:3], exec
.LBB39_41:                              ;   in Loop: Header=BB39_3 Depth=1
	s_or_b64 exec, exec, s[46:47]
	s_and_b64 s[52:53], s[52:53], exec
	s_orn2_b64 s[2:3], s[2:3], exec
.LBB39_42:                              ;   in Loop: Header=BB39_3 Depth=1
	s_or_b64 exec, exec, s[44:45]
	s_mov_b64 s[46:47], s[6:7]
	s_and_saveexec_b64 s[44:45], s[2:3]
	s_cbranch_execz .LBB39_46
; %bb.43:                               ;   in Loop: Header=BB39_3 Depth=1
	s_waitcnt vmcnt(1)
	v_cmp_le_f32_e32 vcc, 0, v31
	v_cmp_ge_f32_e64 s[2:3], 1.0, v31
	s_and_b64 s[46:47], vcc, s[2:3]
	s_mov_b64 s[2:3], 0
	s_and_saveexec_b64 s[50:51], s[46:47]
	s_xor_b64 s[46:47], exec, s[50:51]
	s_cbranch_execz .LBB39_45
; %bb.44:                               ;   in Loop: Header=BB39_3 Depth=1
	v_cvt_f32_u32_e32 v14, v16
	v_mov_b32_e32 v15, 0x2f800000
	v_lshlrev_b64 v[10:11], 2, v[10:11]
	v_add_co_u32_e32 v10, vcc, s20, v10
	v_fmac_f32_e32 v15, 0x2f800000, v14
	v_mov_b32_e32 v14, s21
	v_addc_co_u32_e32 v11, vcc, v14, v11, vcc
	v_cmp_le_f32_e32 vcc, v15, v31
	v_cndmask_b32_e64 v14, 0, 1, vcc
	s_mov_b64 s[2:3], exec
	global_store_dword v[10:11], v14, off
.LBB39_45:                              ;   in Loop: Header=BB39_3 Depth=1
	s_or_b64 exec, exec, s[46:47]
	s_andn2_b64 s[46:47], s[6:7], exec
	s_or_b64 s[6:7], s[6:7], exec
	s_andn2_b64 s[8:9], s[8:9], exec
	s_and_b64 s[50:51], s[2:3], exec
.LBB39_46:                              ;   in Loop: Header=BB39_3 Depth=1
	s_or_b64 exec, exec, s[44:45]
	s_and_b64 s[46:47], s[46:47], exec
	s_and_b64 s[44:45], s[6:7], exec
	;; [unrolled: 1-line block ×5, first 2 shown]
.LBB39_47:                              ;   in Loop: Header=BB39_3 Depth=1
	s_andn2_saveexec_b64 s[2:3], s[48:49]
; %bb.48:                               ;   in Loop: Header=BB39_3 Depth=1
	v_cmp_lt_i32_e32 vcc, 1, v1
	s_andn2_b64 s[48:49], s[50:51], exec
	s_and_b64 s[50:51], vcc, exec
	s_mov_b64 s[4:5], exec
	s_andn2_b64 s[46:47], s[46:47], exec
	s_andn2_b64 s[44:45], s[44:45], exec
	;; [unrolled: 1-line block ×3, first 2 shown]
	s_or_b64 s[50:51], s[48:49], s[50:51]
; %bb.49:                               ;   in Loop: Header=BB39_3 Depth=1
	s_or_b64 exec, exec, s[2:3]
	s_mov_b64 s[2:3], 0
	s_mov_b64 s[48:49], s[46:47]
	s_and_saveexec_b64 s[52:53], s[50:51]
	s_cbranch_execnz .LBB39_52
; %bb.50:                               ;   in Loop: Header=BB39_3 Depth=1
	s_or_b64 exec, exec, s[52:53]
	s_and_saveexec_b64 s[50:51], s[4:5]
	s_cbranch_execnz .LBB39_55
.LBB39_51:                              ;   in Loop: Header=BB39_3 Depth=1
	s_or_b64 exec, exec, s[50:51]
	s_and_saveexec_b64 s[4:5], s[2:3]
	s_cbranch_execnz .LBB39_56
	s_branch .LBB39_59
.LBB39_52:                              ;   in Loop: Header=BB39_3 Depth=1
	s_waitcnt vmcnt(2)
	v_cmp_le_f32_e32 vcc, 0, v7
	v_cmp_ge_f32_e64 s[2:3], 1.0, v7
	s_and_b64 s[48:49], vcc, s[2:3]
	s_mov_b64 s[2:3], 0
	s_and_saveexec_b64 s[50:51], s[48:49]
	s_xor_b64 s[48:49], exec, s[50:51]
	s_cbranch_execz .LBB39_54
; %bb.53:                               ;   in Loop: Header=BB39_3 Depth=1
	v_cvt_f32_u32_e32 v10, v13
	v_mov_b32_e32 v11, 0x2f800000
	v_lshlrev_b64 v[8:9], 2, v[8:9]
	v_add_co_u32_e32 v8, vcc, s20, v8
	v_fmac_f32_e32 v11, 0x2f800000, v10
	v_mov_b32_e32 v10, s21
	v_addc_co_u32_e32 v9, vcc, v10, v9, vcc
	v_cmp_le_f32_e32 vcc, v11, v7
	v_cndmask_b32_e64 v7, 0, 1, vcc
	s_mov_b64 s[2:3], exec
	global_store_dword v[8:9], v7, off
.LBB39_54:                              ;   in Loop: Header=BB39_3 Depth=1
	s_or_b64 exec, exec, s[48:49]
	s_andn2_b64 s[48:49], s[46:47], exec
	s_or_b64 s[46:47], s[46:47], exec
	s_andn2_b64 s[44:45], s[44:45], exec
	s_andn2_b64 s[8:9], s[8:9], exec
	s_and_b64 s[2:3], s[2:3], exec
	s_andn2_b64 s[4:5], s[4:5], exec
	s_or_b64 exec, exec, s[52:53]
	s_and_saveexec_b64 s[50:51], s[4:5]
	s_cbranch_execz .LBB39_51
.LBB39_55:                              ;   in Loop: Header=BB39_3 Depth=1
	v_cmp_eq_u32_e32 vcc, 1, v1
	s_andn2_b64 s[2:3], s[2:3], exec
	s_and_b64 s[4:5], vcc, exec
	s_andn2_b64 s[48:49], s[48:49], exec
	s_andn2_b64 s[46:47], s[46:47], exec
	;; [unrolled: 1-line block ×4, first 2 shown]
	s_or_b64 s[6:7], s[6:7], exec
	s_or_b64 s[2:3], s[2:3], s[4:5]
	s_or_b64 exec, exec, s[50:51]
	s_and_saveexec_b64 s[4:5], s[2:3]
	s_cbranch_execz .LBB39_59
.LBB39_56:                              ;   in Loop: Header=BB39_3 Depth=1
	s_waitcnt vmcnt(3)
	v_cmp_le_f32_e32 vcc, 0, v2
	v_cmp_ge_f32_e64 s[2:3], 1.0, v2
	s_and_b64 s[52:53], vcc, s[2:3]
	s_mov_b64 s[2:3], 0
	s_and_saveexec_b64 s[50:51], s[52:53]
	s_cbranch_execz .LBB39_58
; %bb.57:                               ;   in Loop: Header=BB39_3 Depth=1
	v_cvt_f32_u32_e32 v1, v12
	s_waitcnt vmcnt(2)
	v_mov_b32_e32 v7, v3
	v_mov_b32_e32 v8, 0x2f800000
	v_lshlrev_b64 v[6:7], 2, v[6:7]
	v_fmac_f32_e32 v8, 0x2f800000, v1
	v_mov_b32_e32 v1, s21
	v_add_co_u32_e32 v6, vcc, s20, v6
	v_addc_co_u32_e32 v7, vcc, v1, v7, vcc
	v_cmp_le_f32_e32 vcc, v8, v2
	s_mov_b64 s[2:3], exec
	v_cndmask_b32_e64 v1, 0, 1, vcc
	global_store_dword v[6:7], v1, off
.LBB39_58:                              ;   in Loop: Header=BB39_3 Depth=1
	s_or_b64 exec, exec, s[50:51]
	s_andn2_b64 s[6:7], s[6:7], exec
	s_and_b64 s[2:3], s[2:3], exec
	s_or_b64 s[48:49], s[48:49], exec
	s_andn2_b64 s[46:47], s[46:47], exec
	s_andn2_b64 s[44:45], s[44:45], exec
	;; [unrolled: 1-line block ×3, first 2 shown]
	s_or_b64 s[6:7], s[6:7], s[2:3]
.LBB39_59:                              ;   in Loop: Header=BB39_3 Depth=1
	s_or_b64 exec, exec, s[4:5]
	s_andn2_b64 s[4:5], s[42:43], exec
	s_and_b64 s[42:43], s[48:49], exec
	s_or_b64 s[42:43], s[4:5], s[42:43]
	s_andn2_b64 s[4:5], s[40:41], exec
	s_and_b64 s[40:41], s[46:47], exec
	s_or_b64 s[40:41], s[4:5], s[40:41]
	s_andn2_b64 s[4:5], s[38:39], exec
	s_and_b64 s[38:39], s[44:45], exec
	s_or_b64 s[38:39], s[4:5], s[38:39]
	s_andn2_b64 s[4:5], s[36:37], exec
	s_and_b64 s[8:9], s[8:9], exec
	s_mov_b64 s[2:3], -1
	s_or_b64 s[36:37], s[4:5], s[8:9]
	s_and_saveexec_b64 s[4:5], s[6:7]
	s_cbranch_execz .LBB39_2
; %bb.60:                               ;   in Loop: Header=BB39_3 Depth=1
	v_add_u32_e32 v30, s57, v30
	v_cmp_le_u32_e32 vcc, s33, v30
	s_andn2_b64 s[42:43], s[42:43], exec
	s_andn2_b64 s[40:41], s[40:41], exec
	;; [unrolled: 1-line block ×4, first 2 shown]
	s_orn2_b64 s[2:3], vcc, exec
	s_branch .LBB39_2
.LBB39_61:
	s_or_b64 exec, exec, s[26:27]
	s_xor_b64 s[6:7], s[34:35], -1
	s_xor_b64 s[8:9], s[30:31], -1
	;; [unrolled: 1-line block ×3, first 2 shown]
	s_mov_b64 s[2:3], 0
	s_and_saveexec_b64 s[4:5], s[0:1]
	s_xor_b64 s[0:1], exec, s[4:5]
	s_cbranch_execnz .LBB39_66
; %bb.62:
	s_andn2_saveexec_b64 s[0:1], s[0:1]
	s_cbranch_execnz .LBB39_74
.LBB39_63:
	s_or_b64 exec, exec, s[0:1]
	s_and_b64 exec, exec, s[2:3]
.LBB39_64:
	; divergent unreachable
.LBB39_65:
	s_endpgm
.LBB39_66:
	s_mov_b64 s[4:5], 0
	s_and_saveexec_b64 s[2:3], s[8:9]
	s_xor_b64 s[2:3], exec, s[2:3]
	s_cbranch_execz .LBB39_72
; %bb.67:
	s_and_saveexec_b64 s[8:9], s[6:7]
	s_xor_b64 s[6:7], exec, s[8:9]
	s_cbranch_execz .LBB39_70
; %bb.68:
	s_and_saveexec_b64 s[8:9], s[18:19]
	s_xor_b64 s[8:9], exec, s[8:9]
	s_cbranch_execnz .LBB39_77
.LBB39_69:
	s_or_b64 exec, exec, s[8:9]
	s_and_b64 s[4:5], s[4:5], exec
.LBB39_70:
	s_andn2_saveexec_b64 s[6:7], s[6:7]
	s_cbranch_execnz .LBB39_76
.LBB39_71:
	s_or_b64 exec, exec, s[6:7]
	s_and_b64 s[4:5], s[4:5], exec
.LBB39_72:
	s_andn2_saveexec_b64 s[2:3], s[2:3]
	s_cbranch_execnz .LBB39_75
.LBB39_73:
	s_or_b64 exec, exec, s[2:3]
	s_and_b64 s[2:3], s[4:5], exec
	s_andn2_saveexec_b64 s[0:1], s[0:1]
	s_cbranch_execz .LBB39_63
.LBB39_74:
	s_or_b64 s[2:3], s[2:3], exec
	s_trap 2
	s_or_b64 exec, exec, s[0:1]
	s_and_b64 exec, exec, s[2:3]
	s_cbranch_execnz .LBB39_64
	s_branch .LBB39_65
.LBB39_75:
	s_or_b64 s[4:5], s[4:5], exec
	s_trap 2
	s_branch .LBB39_73
.LBB39_76:
	s_trap 2
	s_or_b64 s[4:5], s[4:5], exec
	s_branch .LBB39_71
.LBB39_77:
	s_mov_b64 s[4:5], exec
	s_trap 2
	s_branch .LBB39_69
	.section	.rodata,"a",@progbits
	.p2align	6, 0x0
	.amdhsa_kernel _ZN2at4cuda12_GLOBAL__N_121kernelPointwiseApply2IZNS_6native9templates4cuda28bernoulli_tensor_cuda_kernelIifEEvRKNS_10TensorBaseES9_NS_15PhiloxCudaStateEEUliRiSB_SB_SB_RKfSD_SD_SD_E_iSC_jLin1ELi1ELi4ELi512ELi2EEEvNS0_6detail10TensorInfoIT0_T2_EENSG_IT1_SI_EESI_T_
		.amdhsa_group_segment_fixed_size 0
		.amdhsa_private_segment_fixed_size 0
		.amdhsa_kernarg_size 728
		.amdhsa_user_sgpr_count 6
		.amdhsa_user_sgpr_private_segment_buffer 1
		.amdhsa_user_sgpr_dispatch_ptr 0
		.amdhsa_user_sgpr_queue_ptr 0
		.amdhsa_user_sgpr_kernarg_segment_ptr 1
		.amdhsa_user_sgpr_dispatch_id 0
		.amdhsa_user_sgpr_flat_scratch_init 0
		.amdhsa_user_sgpr_kernarg_preload_length 0
		.amdhsa_user_sgpr_kernarg_preload_offset 0
		.amdhsa_user_sgpr_private_segment_size 0
		.amdhsa_uses_dynamic_stack 0
		.amdhsa_system_sgpr_private_segment_wavefront_offset 0
		.amdhsa_system_sgpr_workgroup_id_x 1
		.amdhsa_system_sgpr_workgroup_id_y 0
		.amdhsa_system_sgpr_workgroup_id_z 0
		.amdhsa_system_sgpr_workgroup_info 0
		.amdhsa_system_vgpr_workitem_id 0
		.amdhsa_next_free_vgpr 51
		.amdhsa_next_free_sgpr 61
		.amdhsa_accum_offset 52
		.amdhsa_reserve_vcc 1
		.amdhsa_reserve_flat_scratch 0
		.amdhsa_float_round_mode_32 0
		.amdhsa_float_round_mode_16_64 0
		.amdhsa_float_denorm_mode_32 3
		.amdhsa_float_denorm_mode_16_64 3
		.amdhsa_dx10_clamp 1
		.amdhsa_ieee_mode 1
		.amdhsa_fp16_overflow 0
		.amdhsa_tg_split 0
		.amdhsa_exception_fp_ieee_invalid_op 0
		.amdhsa_exception_fp_denorm_src 0
		.amdhsa_exception_fp_ieee_div_zero 0
		.amdhsa_exception_fp_ieee_overflow 0
		.amdhsa_exception_fp_ieee_underflow 0
		.amdhsa_exception_fp_ieee_inexact 0
		.amdhsa_exception_int_div_zero 0
	.end_amdhsa_kernel
	.section	.text._ZN2at4cuda12_GLOBAL__N_121kernelPointwiseApply2IZNS_6native9templates4cuda28bernoulli_tensor_cuda_kernelIifEEvRKNS_10TensorBaseES9_NS_15PhiloxCudaStateEEUliRiSB_SB_SB_RKfSD_SD_SD_E_iSC_jLin1ELi1ELi4ELi512ELi2EEEvNS0_6detail10TensorInfoIT0_T2_EENSG_IT1_SI_EESI_T_,"axG",@progbits,_ZN2at4cuda12_GLOBAL__N_121kernelPointwiseApply2IZNS_6native9templates4cuda28bernoulli_tensor_cuda_kernelIifEEvRKNS_10TensorBaseES9_NS_15PhiloxCudaStateEEUliRiSB_SB_SB_RKfSD_SD_SD_E_iSC_jLin1ELi1ELi4ELi512ELi2EEEvNS0_6detail10TensorInfoIT0_T2_EENSG_IT1_SI_EESI_T_,comdat
.Lfunc_end39:
	.size	_ZN2at4cuda12_GLOBAL__N_121kernelPointwiseApply2IZNS_6native9templates4cuda28bernoulli_tensor_cuda_kernelIifEEvRKNS_10TensorBaseES9_NS_15PhiloxCudaStateEEUliRiSB_SB_SB_RKfSD_SD_SD_E_iSC_jLin1ELi1ELi4ELi512ELi2EEEvNS0_6detail10TensorInfoIT0_T2_EENSG_IT1_SI_EESI_T_, .Lfunc_end39-_ZN2at4cuda12_GLOBAL__N_121kernelPointwiseApply2IZNS_6native9templates4cuda28bernoulli_tensor_cuda_kernelIifEEvRKNS_10TensorBaseES9_NS_15PhiloxCudaStateEEUliRiSB_SB_SB_RKfSD_SD_SD_E_iSC_jLin1ELi1ELi4ELi512ELi2EEEvNS0_6detail10TensorInfoIT0_T2_EENSG_IT1_SI_EESI_T_
                                        ; -- End function
	.section	.AMDGPU.csdata,"",@progbits
; Kernel info:
; codeLenInByte = 3508
; NumSgprs: 65
; NumVgprs: 51
; NumAgprs: 0
; TotalNumVgprs: 51
; ScratchSize: 0
; MemoryBound: 0
; FloatMode: 240
; IeeeMode: 1
; LDSByteSize: 0 bytes/workgroup (compile time only)
; SGPRBlocks: 8
; VGPRBlocks: 6
; NumSGPRsForWavesPerEU: 65
; NumVGPRsForWavesPerEU: 51
; AccumOffset: 52
; Occupancy: 8
; WaveLimiterHint : 1
; COMPUTE_PGM_RSRC2:SCRATCH_EN: 0
; COMPUTE_PGM_RSRC2:USER_SGPR: 6
; COMPUTE_PGM_RSRC2:TRAP_HANDLER: 0
; COMPUTE_PGM_RSRC2:TGID_X_EN: 1
; COMPUTE_PGM_RSRC2:TGID_Y_EN: 0
; COMPUTE_PGM_RSRC2:TGID_Z_EN: 0
; COMPUTE_PGM_RSRC2:TIDIG_COMP_CNT: 0
; COMPUTE_PGM_RSRC3_GFX90A:ACCUM_OFFSET: 12
; COMPUTE_PGM_RSRC3_GFX90A:TG_SPLIT: 0
	.section	.text._ZN2at4cuda12_GLOBAL__N_121kernelPointwiseApply2IZNS_6native9templates4cuda28bernoulli_tensor_cuda_kernelIifEEvRKNS_10TensorBaseES9_NS_15PhiloxCudaStateEEUliRiSB_SB_SB_RKfSD_SD_SD_E_iSC_jLin1ELi2ELi4ELi512ELi2EEEvNS0_6detail10TensorInfoIT0_T2_EENSG_IT1_SI_EESI_T_,"axG",@progbits,_ZN2at4cuda12_GLOBAL__N_121kernelPointwiseApply2IZNS_6native9templates4cuda28bernoulli_tensor_cuda_kernelIifEEvRKNS_10TensorBaseES9_NS_15PhiloxCudaStateEEUliRiSB_SB_SB_RKfSD_SD_SD_E_iSC_jLin1ELi2ELi4ELi512ELi2EEEvNS0_6detail10TensorInfoIT0_T2_EENSG_IT1_SI_EESI_T_,comdat
	.globl	_ZN2at4cuda12_GLOBAL__N_121kernelPointwiseApply2IZNS_6native9templates4cuda28bernoulli_tensor_cuda_kernelIifEEvRKNS_10TensorBaseES9_NS_15PhiloxCudaStateEEUliRiSB_SB_SB_RKfSD_SD_SD_E_iSC_jLin1ELi2ELi4ELi512ELi2EEEvNS0_6detail10TensorInfoIT0_T2_EENSG_IT1_SI_EESI_T_ ; -- Begin function _ZN2at4cuda12_GLOBAL__N_121kernelPointwiseApply2IZNS_6native9templates4cuda28bernoulli_tensor_cuda_kernelIifEEvRKNS_10TensorBaseES9_NS_15PhiloxCudaStateEEUliRiSB_SB_SB_RKfSD_SD_SD_E_iSC_jLin1ELi2ELi4ELi512ELi2EEEvNS0_6detail10TensorInfoIT0_T2_EENSG_IT1_SI_EESI_T_
	.p2align	8
	.type	_ZN2at4cuda12_GLOBAL__N_121kernelPointwiseApply2IZNS_6native9templates4cuda28bernoulli_tensor_cuda_kernelIifEEvRKNS_10TensorBaseES9_NS_15PhiloxCudaStateEEUliRiSB_SB_SB_RKfSD_SD_SD_E_iSC_jLin1ELi2ELi4ELi512ELi2EEEvNS0_6detail10TensorInfoIT0_T2_EENSG_IT1_SI_EESI_T_,@function
_ZN2at4cuda12_GLOBAL__N_121kernelPointwiseApply2IZNS_6native9templates4cuda28bernoulli_tensor_cuda_kernelIifEEvRKNS_10TensorBaseES9_NS_15PhiloxCudaStateEEUliRiSB_SB_SB_RKfSD_SD_SD_E_iSC_jLin1ELi2ELi4ELi512ELi2EEEvNS0_6detail10TensorInfoIT0_T2_EENSG_IT1_SI_EESI_T_: ; @_ZN2at4cuda12_GLOBAL__N_121kernelPointwiseApply2IZNS_6native9templates4cuda28bernoulli_tensor_cuda_kernelIifEEvRKNS_10TensorBaseES9_NS_15PhiloxCudaStateEEUliRiSB_SB_SB_RKfSD_SD_SD_E_iSC_jLin1ELi2ELi4ELi512ELi2EEEvNS0_6detail10TensorInfoIT0_T2_EENSG_IT1_SI_EESI_T_
; %bb.0:
	s_load_dword s2, s[4:5], 0x1e4
	s_load_dword s33, s[4:5], 0x1b0
	s_add_u32 s0, s4, 0x1d8
	s_addc_u32 s1, s5, 0
	s_waitcnt lgkmcnt(0)
	s_and_b32 s2, s2, 0xffff
	s_mul_i32 s6, s6, s2
	v_add_u32_e32 v5, s6, v0
	v_lshlrev_b32_e32 v30, 2, v5
	v_cmp_gt_u32_e32 vcc, s33, v30
	s_and_saveexec_b64 s[6:7], vcc
	s_cbranch_execz .LBB40_73
; %bb.1:
	s_load_dword s56, s[4:5], 0xe4
	s_load_dwordx2 s[6:7], s[4:5], 0x144
	s_load_dword s3, s[0:1], 0x0
	s_load_dwordx2 s[12:13], s[4:5], 0xd8
	;; [unrolled: 2-line block ×3, first 2 shown]
	s_load_dwordx4 s[8:11], s[4:5], 0x1b8
	s_waitcnt lgkmcnt(0)
	v_cvt_f32_u32_e32 v0, s56
	s_mul_i32 s21, s3, s2
	s_load_dword s2, s[4:5], 0x1d0
	s_load_dword s57, s[4:5], 0x6c
	s_cmp_gt_i32 s20, 1
	v_rcp_iflag_f32_e32 v2, v0
	s_mov_b32 s58, 0xcd9e8d57
	s_cselect_b64 s[0:1], -1, 0
	s_waitcnt lgkmcnt(0)
	s_bitcmp1_b32 s2, 0
	v_mul_f32_e32 v2, 0x4f7ffffe, v2
	v_cvt_u32_f32_e32 v2, v2
	v_mad_u64_u32 v[0:1], s[2:3], v5, s58, 0
	s_cselect_b64 s[18:19], -1, 0
	s_sub_i32 s2, 0, s56
	s_mov_b32 s3, 0
	v_mov_b32_e32 v4, v1
	v_mul_lo_u32 v1, s2, v2
	s_add_i32 s2, s20, -1
	s_load_dwordx2 s[16:17], s[4:5], 0x0
	s_lshl_b32 s59, s21, 2
	s_add_i32 s60, s20, 1
	s_lshl_b64 s[2:3], s[2:3], 2
	s_add_u32 s2, s2, s4
	v_mul_hi_u32 v1, v2, v1
	s_addc_u32 s3, s3, s5
	v_add_u32_e32 v1, v2, v1
	s_add_u32 s20, s2, 8
	v_cndmask_b32_e64 v2, 0, 1, s[0:1]
	v_mov_b32_e32 v3, 0
	s_addc_u32 s21, s3, 0
	s_mov_b64 s[22:23], 0
	s_mov_b32 s61, 0xd2511f53
	v_cmp_ne_u32_e64 s[0:1], 1, v2
	s_mov_b32 s62, 0xf1bbcdc8
                                        ; implicit-def: $sgpr24_sgpr25
                                        ; implicit-def: $sgpr26_sgpr27
                                        ; implicit-def: $sgpr28_sgpr29
                                        ; implicit-def: $sgpr4_sgpr5
                                        ; implicit-def: $sgpr30_sgpr31
                                        ; implicit-def: $sgpr34_sgpr35
                                        ; implicit-def: $sgpr36_sgpr37
                                        ; implicit-def: $sgpr38_sgpr39
	s_branch .LBB40_3
.LBB40_2:                               ;   in Loop: Header=BB40_3 Depth=1
	s_or_b64 exec, exec, s[40:41]
	s_and_b64 s[2:3], exec, s[2:3]
	s_or_b64 s[22:23], s[2:3], s[22:23]
	s_andn2_b64 s[2:3], s[4:5], exec
	s_and_b64 s[4:5], s[38:39], exec
	s_or_b64 s[4:5], s[2:3], s[4:5]
	s_andn2_b64 s[2:3], s[28:29], exec
	s_and_b64 s[28:29], s[36:37], exec
	;; [unrolled: 3-line block ×4, first 2 shown]
	s_or_b64 s[24:25], s[2:3], s[24:25]
	s_andn2_b64 exec, exec, s[22:23]
	s_cbranch_execz .LBB40_69
.LBB40_3:                               ; =>This Loop Header: Depth=1
                                        ;     Child Loop BB40_6 Depth 2
                                        ;     Child Loop BB40_13 Depth 2
	;; [unrolled: 1-line block ×4, first 2 shown]
	v_sub_u32_e32 v31, s33, v30
	v_cmp_lt_i32_e64 s[2:3], 0, v31
	v_mov_b32_e32 v6, 0
	s_and_saveexec_b64 s[40:41], s[2:3]
	s_cbranch_execz .LBB40_8
; %bb.4:                                ;   in Loop: Header=BB40_3 Depth=1
	s_and_b64 vcc, exec, s[0:1]
	v_mov_b32_e32 v6, 0
	s_waitcnt vmcnt(3)
	v_mov_b32_e32 v2, v30
	s_cbranch_vccnz .LBB40_7
; %bb.5:                                ;   in Loop: Header=BB40_3 Depth=1
	v_mov_b32_e32 v6, 0
	s_mov_b64 s[42:43], s[20:21]
	s_mov_b32 s44, s60
	v_mov_b32_e32 v2, v30
.LBB40_6:                               ;   Parent Loop BB40_3 Depth=1
                                        ; =>  This Inner Loop Header: Depth=2
	s_load_dword s45, s[42:43], 0x0
	s_load_dword s46, s[42:43], 0x64
	s_waitcnt vmcnt(2)
	v_mov_b32_e32 v7, v2
	s_add_i32 s44, s44, -1
	s_waitcnt lgkmcnt(0)
	v_cvt_f32_u32_e32 v2, s45
	s_sub_i32 s47, 0, s45
	s_add_u32 s42, s42, -4
	s_addc_u32 s43, s43, -1
	v_rcp_iflag_f32_e32 v2, v2
	s_cmp_gt_u32 s44, 2
	v_mul_f32_e32 v2, 0x4f7ffffe, v2
	v_cvt_u32_f32_e32 v2, v2
	v_mul_lo_u32 v8, s47, v2
	v_mul_hi_u32 v8, v2, v8
	v_add_u32_e32 v2, v2, v8
	v_mul_hi_u32 v2, v7, v2
	v_mul_lo_u32 v8, v2, s45
	v_sub_u32_e32 v8, v7, v8
	s_waitcnt vmcnt(1)
	v_add_u32_e32 v9, 1, v2
	v_cmp_le_u32_e32 vcc, s45, v8
	v_cndmask_b32_e32 v2, v2, v9, vcc
	v_subrev_u32_e32 v9, s45, v8
	v_cndmask_b32_e32 v8, v8, v9, vcc
	v_add_u32_e32 v9, 1, v2
	v_cmp_le_u32_e32 vcc, s45, v8
	v_cndmask_b32_e32 v2, v2, v9, vcc
	v_mul_lo_u32 v8, v2, s45
	v_sub_u32_e32 v7, v7, v8
	v_mad_u64_u32 v[6:7], s[46:47], s46, v7, v[6:7]
	s_cbranch_scc1 .LBB40_6
.LBB40_7:                               ;   in Loop: Header=BB40_3 Depth=1
	s_waitcnt vmcnt(2)
	v_mad_u64_u32 v[6:7], s[42:43], s57, v2, v[6:7]
.LBB40_8:                               ;   in Loop: Header=BB40_3 Depth=1
	s_or_b64 exec, exec, s[40:41]
	v_mov_b32_e32 v8, 0
	s_waitcnt vmcnt(3)
	v_mov_b32_e32 v2, 0
	s_and_saveexec_b64 s[40:41], s[2:3]
	s_cbranch_execz .LBB40_10
; %bb.9:                                ;   in Loop: Header=BB40_3 Depth=1
	v_mul_hi_u32 v2, v30, v1
	s_waitcnt vmcnt(2)
	v_mul_lo_u32 v7, v2, s56
	v_sub_u32_e32 v7, v30, v7
	s_waitcnt vmcnt(1)
	v_add_u32_e32 v9, 1, v2
	v_cmp_le_u32_e32 vcc, s56, v7
	v_cndmask_b32_e32 v2, v2, v9, vcc
	v_subrev_u32_e32 v9, s56, v7
	v_cndmask_b32_e32 v7, v7, v9, vcc
	v_add_u32_e32 v9, 1, v2
	v_cmp_le_u32_e32 vcc, s56, v7
	v_cndmask_b32_e32 v7, v2, v9, vcc
	v_mul_lo_u32 v2, v7, s56
	v_sub_u32_e32 v2, v30, v2
	v_mul_lo_u32 v2, v2, s7
	v_mad_u64_u32 v[10:11], s[2:3], v7, s6, v[2:3]
	v_mov_b32_e32 v2, v10
.LBB40_10:                              ;   in Loop: Header=BB40_3 Depth=1
	s_or_b64 exec, exec, s[40:41]
	s_waitcnt vmcnt(2)
	v_or_b32_e32 v7, 1, v30
	v_cmp_lt_i32_e64 s[2:3], 1, v31
	s_and_saveexec_b64 s[40:41], s[2:3]
	s_cbranch_execz .LBB40_15
; %bb.11:                               ;   in Loop: Header=BB40_3 Depth=1
	s_and_b64 vcc, exec, s[0:1]
	v_mov_b32_e32 v8, 0
	v_mov_b32_e32 v10, v7
	s_cbranch_vccnz .LBB40_14
; %bb.12:                               ;   in Loop: Header=BB40_3 Depth=1
	v_mov_b32_e32 v8, 0
	s_mov_b64 s[42:43], s[20:21]
	s_mov_b32 s44, s60
	v_mov_b32_e32 v10, v7
.LBB40_13:                              ;   Parent Loop BB40_3 Depth=1
                                        ; =>  This Inner Loop Header: Depth=2
	s_load_dword s45, s[42:43], 0x0
	s_load_dword s46, s[42:43], 0x64
	s_waitcnt vmcnt(1)
	v_mov_b32_e32 v9, v10
	s_add_i32 s44, s44, -1
	s_waitcnt lgkmcnt(0)
	v_cvt_f32_u32_e32 v10, s45
	s_sub_i32 s47, 0, s45
	s_add_u32 s42, s42, -4
	s_addc_u32 s43, s43, -1
	v_rcp_iflag_f32_e32 v10, v10
	s_cmp_gt_u32 s44, 2
	v_mul_f32_e32 v10, 0x4f7ffffe, v10
	v_cvt_u32_f32_e32 v10, v10
	v_mul_lo_u32 v11, s47, v10
	v_mul_hi_u32 v11, v10, v11
	v_add_u32_e32 v10, v10, v11
	v_mul_hi_u32 v10, v9, v10
	v_mul_lo_u32 v11, v10, s45
	v_sub_u32_e32 v11, v9, v11
	v_add_u32_e32 v12, 1, v10
	v_cmp_le_u32_e32 vcc, s45, v11
	v_cndmask_b32_e32 v10, v10, v12, vcc
	v_subrev_u32_e32 v12, s45, v11
	v_cndmask_b32_e32 v11, v11, v12, vcc
	v_add_u32_e32 v12, 1, v10
	v_cmp_le_u32_e32 vcc, s45, v11
	v_cndmask_b32_e32 v10, v10, v12, vcc
	v_mul_lo_u32 v11, v10, s45
	v_sub_u32_e32 v9, v9, v11
	v_mad_u64_u32 v[8:9], s[46:47], s46, v9, v[8:9]
	s_cbranch_scc1 .LBB40_13
.LBB40_14:                              ;   in Loop: Header=BB40_3 Depth=1
	s_waitcnt vmcnt(1)
	v_mad_u64_u32 v[8:9], s[42:43], s57, v10, v[8:9]
.LBB40_15:                              ;   in Loop: Header=BB40_3 Depth=1
	s_or_b64 exec, exec, s[40:41]
	v_mov_b32_e32 v12, 0
	s_and_saveexec_b64 s[40:41], s[2:3]
	s_cbranch_execz .LBB40_17
; %bb.16:                               ;   in Loop: Header=BB40_3 Depth=1
	s_waitcnt vmcnt(1)
	v_mul_hi_u32 v9, v7, v1
	v_mul_lo_u32 v10, v9, s56
	v_sub_u32_e32 v10, v7, v10
	v_add_u32_e32 v11, 1, v9
	v_cmp_le_u32_e32 vcc, s56, v10
	v_cndmask_b32_e32 v9, v9, v11, vcc
	v_subrev_u32_e32 v11, s56, v10
	v_cndmask_b32_e32 v10, v10, v11, vcc
	v_add_u32_e32 v11, 1, v9
	v_cmp_le_u32_e32 vcc, s56, v10
	v_cndmask_b32_e32 v9, v9, v11, vcc
	v_mul_lo_u32 v10, v9, s56
	v_sub_u32_e32 v7, v7, v10
	v_mul_lo_u32 v10, v7, s7
	v_mad_u64_u32 v[12:13], s[2:3], v9, s6, v[10:11]
.LBB40_17:                              ;   in Loop: Header=BB40_3 Depth=1
	s_or_b64 exec, exec, s[40:41]
	v_or_b32_e32 v7, 2, v30
	v_cmp_lt_i32_e64 s[2:3], 2, v31
	v_pk_mov_b32 v[10:11], 0, 0
	s_and_saveexec_b64 s[40:41], s[2:3]
	s_cbranch_execz .LBB40_22
; %bb.18:                               ;   in Loop: Header=BB40_3 Depth=1
	s_and_b64 vcc, exec, s[0:1]
	v_mov_b32_e32 v10, 0
	s_waitcnt vmcnt(1)
	v_mov_b32_e32 v9, v7
	s_cbranch_vccnz .LBB40_21
; %bb.19:                               ;   in Loop: Header=BB40_3 Depth=1
	v_mov_b32_e32 v10, 0
	s_mov_b64 s[42:43], s[20:21]
	s_mov_b32 s44, s60
	v_mov_b32_e32 v9, v7
.LBB40_20:                              ;   Parent Loop BB40_3 Depth=1
                                        ; =>  This Inner Loop Header: Depth=2
	s_load_dword s45, s[42:43], 0x0
	s_load_dword s46, s[42:43], 0x64
	v_mov_b32_e32 v11, v9
	s_add_i32 s44, s44, -1
	s_waitcnt lgkmcnt(0)
	v_cvt_f32_u32_e32 v9, s45
	s_sub_i32 s47, 0, s45
	s_add_u32 s42, s42, -4
	s_addc_u32 s43, s43, -1
	v_rcp_iflag_f32_e32 v9, v9
	s_cmp_gt_u32 s44, 2
	v_mul_f32_e32 v9, 0x4f7ffffe, v9
	v_cvt_u32_f32_e32 v9, v9
	v_mul_lo_u32 v13, s47, v9
	v_mul_hi_u32 v13, v9, v13
	v_add_u32_e32 v9, v9, v13
	v_mul_hi_u32 v9, v11, v9
	v_mul_lo_u32 v13, v9, s45
	v_sub_u32_e32 v13, v11, v13
	v_add_u32_e32 v14, 1, v9
	v_cmp_le_u32_e32 vcc, s45, v13
	v_cndmask_b32_e32 v9, v9, v14, vcc
	v_subrev_u32_e32 v14, s45, v13
	v_cndmask_b32_e32 v13, v13, v14, vcc
	v_add_u32_e32 v14, 1, v9
	v_cmp_le_u32_e32 vcc, s45, v13
	v_cndmask_b32_e32 v9, v9, v14, vcc
	v_mul_lo_u32 v13, v9, s45
	v_sub_u32_e32 v11, v11, v13
	v_mad_u64_u32 v[10:11], s[46:47], s46, v11, v[10:11]
	s_cbranch_scc1 .LBB40_20
.LBB40_21:                              ;   in Loop: Header=BB40_3 Depth=1
	v_mad_u64_u32 v[10:11], s[42:43], s57, v9, v[10:11]
	v_mov_b32_e32 v11, v3
.LBB40_22:                              ;   in Loop: Header=BB40_3 Depth=1
	s_or_b64 exec, exec, s[40:41]
	v_pk_mov_b32 v[14:15], 0, 0
	v_pk_mov_b32 v[16:17], v[14:15], v[14:15] op_sel:[0,1]
	s_and_saveexec_b64 s[40:41], s[2:3]
	s_cbranch_execz .LBB40_24
; %bb.23:                               ;   in Loop: Header=BB40_3 Depth=1
	s_waitcnt vmcnt(1)
	v_mul_hi_u32 v9, v7, v1
	v_mul_lo_u32 v13, v9, s56
	v_sub_u32_e32 v13, v7, v13
	v_add_u32_e32 v16, 1, v9
	v_cmp_le_u32_e32 vcc, s56, v13
	v_cndmask_b32_e32 v9, v9, v16, vcc
	v_subrev_u32_e32 v16, s56, v13
	v_cndmask_b32_e32 v13, v13, v16, vcc
	v_add_u32_e32 v16, 1, v9
	v_cmp_le_u32_e32 vcc, s56, v13
	v_cndmask_b32_e32 v9, v9, v16, vcc
	v_mul_lo_u32 v13, v9, s56
	v_sub_u32_e32 v7, v7, v13
	v_mul_lo_u32 v16, v7, s7
	v_mad_u64_u32 v[16:17], s[2:3], v9, s6, v[16:17]
	v_mov_b32_e32 v17, v3
.LBB40_24:                              ;   in Loop: Header=BB40_3 Depth=1
	s_or_b64 exec, exec, s[40:41]
	v_or_b32_e32 v7, 3, v30
	v_cmp_lt_i32_e64 s[2:3], 3, v31
	s_and_saveexec_b64 s[40:41], s[2:3]
	s_cbranch_execz .LBB40_29
; %bb.25:                               ;   in Loop: Header=BB40_3 Depth=1
	s_and_b64 vcc, exec, s[0:1]
	v_mov_b32_e32 v14, 0
	s_waitcnt vmcnt(1)
	v_mov_b32_e32 v9, v7
	s_cbranch_vccnz .LBB40_28
; %bb.26:                               ;   in Loop: Header=BB40_3 Depth=1
	v_mov_b32_e32 v14, 0
	s_mov_b64 s[42:43], s[20:21]
	s_mov_b32 s44, s60
	v_mov_b32_e32 v9, v7
.LBB40_27:                              ;   Parent Loop BB40_3 Depth=1
                                        ; =>  This Inner Loop Header: Depth=2
	s_load_dword s45, s[42:43], 0x0
	s_load_dword s46, s[42:43], 0x64
	v_mov_b32_e32 v13, v9
	s_add_i32 s44, s44, -1
	s_waitcnt lgkmcnt(0)
	v_cvt_f32_u32_e32 v9, s45
	s_sub_i32 s47, 0, s45
	s_add_u32 s42, s42, -4
	s_addc_u32 s43, s43, -1
	v_rcp_iflag_f32_e32 v9, v9
	s_cmp_gt_u32 s44, 2
	v_mul_f32_e32 v9, 0x4f7ffffe, v9
	v_cvt_u32_f32_e32 v9, v9
	v_mul_lo_u32 v15, s47, v9
	v_mul_hi_u32 v15, v9, v15
	v_add_u32_e32 v9, v9, v15
	v_mul_hi_u32 v9, v13, v9
	v_mul_lo_u32 v15, v9, s45
	v_sub_u32_e32 v15, v13, v15
	v_add_u32_e32 v18, 1, v9
	v_cmp_le_u32_e32 vcc, s45, v15
	v_cndmask_b32_e32 v9, v9, v18, vcc
	v_subrev_u32_e32 v18, s45, v15
	v_cndmask_b32_e32 v15, v15, v18, vcc
	v_add_u32_e32 v18, 1, v9
	v_cmp_le_u32_e32 vcc, s45, v15
	v_cndmask_b32_e32 v9, v9, v18, vcc
	v_mul_lo_u32 v15, v9, s45
	v_sub_u32_e32 v13, v13, v15
	v_mad_u64_u32 v[14:15], s[46:47], s46, v13, v[14:15]
	s_cbranch_scc1 .LBB40_27
.LBB40_28:                              ;   in Loop: Header=BB40_3 Depth=1
	v_mad_u64_u32 v[14:15], s[42:43], s57, v9, v[14:15]
	v_mov_b32_e32 v15, v3
.LBB40_29:                              ;   in Loop: Header=BB40_3 Depth=1
	s_or_b64 exec, exec, s[40:41]
	v_pk_mov_b32 v[18:19], 0, 0
	s_and_saveexec_b64 s[40:41], s[2:3]
	s_cbranch_execz .LBB40_31
; %bb.30:                               ;   in Loop: Header=BB40_3 Depth=1
	s_waitcnt vmcnt(1)
	v_mul_hi_u32 v9, v7, v1
	v_mul_lo_u32 v13, v9, s56
	v_sub_u32_e32 v13, v7, v13
	v_add_u32_e32 v18, 1, v9
	v_cmp_le_u32_e32 vcc, s56, v13
	v_cndmask_b32_e32 v9, v9, v18, vcc
	v_subrev_u32_e32 v18, s56, v13
	v_cndmask_b32_e32 v13, v13, v18, vcc
	v_add_u32_e32 v18, 1, v9
	v_cmp_le_u32_e32 vcc, s56, v13
	v_cndmask_b32_e32 v9, v9, v18, vcc
	v_mul_lo_u32 v13, v9, s56
	v_sub_u32_e32 v7, v7, v13
	v_mul_lo_u32 v18, v7, s7
	v_mad_u64_u32 v[18:19], s[2:3], v9, s6, v[18:19]
	v_mov_b32_e32 v19, v3
.LBB40_31:                              ;   in Loop: Header=BB40_3 Depth=1
	s_or_b64 exec, exec, s[40:41]
	v_lshlrev_b64 v[20:21], 2, v[2:3]
	v_mov_b32_e32 v2, s13
	v_add_co_u32_e32 v20, vcc, s12, v20
	v_mov_b32_e32 v13, v3
	v_addc_co_u32_e32 v21, vcc, v2, v21, vcc
	v_lshlrev_b64 v[12:13], 2, v[12:13]
	v_add_co_u32_e32 v12, vcc, s12, v12
	v_addc_co_u32_e32 v13, vcc, v2, v13, vcc
	v_lshlrev_b64 v[16:17], 2, v[16:17]
	v_add_co_u32_e32 v16, vcc, s12, v16
	;; [unrolled: 3-line block ×3, first 2 shown]
	v_addc_co_u32_e32 v19, vcc, v2, v19, vcc
	global_load_dword v2, v[20:21], off
	global_load_dword v7, v[12:13], off
	;; [unrolled: 1-line block ×4, first 2 shown]
	s_andn2_b64 vcc, exec, s[18:19]
	v_pk_mov_b32 v[12:13], s[10:11], s[10:11] op_sel:[0,1]
	v_pk_mov_b32 v[16:17], s[8:9], s[8:9] op_sel:[0,1]
	s_cbranch_vccnz .LBB40_33
; %bb.32:                               ;   in Loop: Header=BB40_3 Depth=1
	v_pk_mov_b32 v[12:13], s[10:11], s[10:11] op_sel:[0,1]
	flat_load_dwordx2 v[12:13], v[12:13]
	v_pk_mov_b32 v[16:17], s[8:9], s[8:9] op_sel:[0,1]
	flat_load_dwordx2 v[16:17], v[16:17]
	v_mov_b32_e32 v18, s15
	s_waitcnt vmcnt(0) lgkmcnt(0)
	v_add_co_u32_e32 v12, vcc, s14, v12
	v_addc_co_u32_e32 v13, vcc, v13, v18, vcc
.LBB40_33:                              ;   in Loop: Header=BB40_3 Depth=1
	v_alignbit_b32 v26, v13, v12, 2
	v_lshrrev_b32_e32 v27, 2, v13
	v_xor_b32_e32 v18, v4, v16
	v_and_b32_e32 v33, 3, v12
	v_mad_u64_u32 v[12:13], s[2:3], v26, s61, 0
	v_xor_b32_e32 v18, v18, v27
	v_xor_b32_e32 v13, v13, v17
	v_add_u32_e32 v38, 0xbb67ae85, v17
	v_mad_u64_u32 v[18:19], s[2:3], v18, s61, 0
	v_mad_u64_u32 v[20:21], s[2:3], v13, s58, 0
	v_xor_b32_e32 v19, v38, v19
	v_add_u32_e32 v37, 0x9e3779b9, v16
	v_xor_b32_e32 v13, v0, v21
	v_xor_b32_e32 v19, v19, v12
	v_xor_b32_e32 v13, v13, v37
	v_add_u32_e32 v39, 0x3c6ef372, v16
	v_mad_u64_u32 v[22:23], s[2:3], v19, s58, 0
	v_add_u32_e32 v40, 0x76cf5d0a, v17
	v_mad_u64_u32 v[12:13], s[2:3], v13, s61, 0
	v_xor_b32_e32 v19, v39, v23
	v_xor_b32_e32 v19, v19, v20
	v_xor_b32_e32 v13, v40, v13
	v_xor_b32_e32 v13, v13, v18
	v_add_u32_e32 v42, 0x32370b8f, v17
	v_mad_u64_u32 v[18:19], s[2:3], v19, s61, 0
	v_add_u32_e32 v41, 0xdaa66d2b, v16
	v_mad_u64_u32 v[20:21], s[2:3], v13, s58, 0
	v_xor_b32_e32 v19, v42, v19
	;; [unrolled: 8-line block ×5, first 2 shown]
	v_xor_b32_e32 v19, v19, v20
	v_xor_b32_e32 v13, v48, v13
	;; [unrolled: 1-line block ×3, first 2 shown]
	v_add_u32_e32 v50, 0x1fd5c5a3, v17
	v_mad_u64_u32 v[18:19], s[2:3], v19, s61, 0
	v_xor_b32_e32 v19, v50, v19
	v_xor_b32_e32 v12, v19, v12
	v_add_u32_e32 v49, 0x5384540f, v16
	v_mad_u64_u32 v[24:25], s[2:3], v13, s58, 0
	v_add_co_u32_e32 v35, vcc, s62, v16
	v_mad_u64_u32 v[20:21], s[2:3], v12, s58, 0
	v_xor_b32_e32 v13, v49, v25
	v_xor_b32_e32 v12, v35, v21
	;; [unrolled: 1-line block ×4, first 2 shown]
	v_mad_u64_u32 v[22:23], s[2:3], v13, s61, 0
	v_mad_u64_u32 v[12:13], s[2:3], v12, s61, 0
	v_add_u32_e32 v36, 0x96a522ad, v17
	v_xor_b32_e32 v13, v13, v22
	v_xor_b32_e32 v34, v36, v13
	v_add_co_u32_e32 v13, vcc, 1, v26
	v_cndmask_b32_e64 v22, 0, 1, vcc
	v_addc_co_u32_e32 v28, vcc, 0, v27, vcc
	v_cmp_eq_u32_e32 vcc, 0, v28
	v_cndmask_b32_e32 v22, 0, v22, vcc
	v_add_u32_e32 v26, v22, v5
	v_cmp_eq_u32_e32 vcc, 0, v26
	v_mad_u64_u32 v[24:25], s[2:3], v13, s61, 0
	v_mad_u64_u32 v[26:27], s[2:3], v26, s58, 0
	v_add_u32_e32 v21, 0x8ff34781, v16
	v_cndmask_b32_e32 v22, 0, v22, vcc
	v_xor_b32_e32 v13, v27, v16
	v_xor_b32_e32 v16, v25, v17
	;; [unrolled: 1-line block ×4, first 2 shown]
	v_mad_u64_u32 v[28:29], s[2:3], v22, s58, 0
	v_add_u32_e32 v19, 0xdb3d7428, v17
	v_mad_u64_u32 v[16:17], s[2:3], v13, s61, 0
	v_xor_b32_e32 v13, v37, v29
	v_xor_b32_e32 v13, v13, v26
	v_xor_b32_e32 v17, v38, v17
	v_xor_b32_e32 v17, v17, v24
	v_mad_u64_u32 v[24:25], s[2:3], v13, s61, 0
	v_mad_u64_u32 v[26:27], s[2:3], v17, s58, 0
	v_xor_b32_e32 v17, v40, v25
	v_xor_b32_e32 v13, v39, v27
	v_xor_b32_e32 v22, v17, v16
	v_xor_b32_e32 v13, v13, v28
	v_mad_u64_u32 v[28:29], s[2:3], v22, s58, 0
	;; [unrolled: 6-line block ×7, first 2 shown]
	v_xor_b32_e32 v13, v19, v27
	v_xor_b32_e32 v13, v13, v16
	v_mad_u64_u32 v[28:29], s[2:3], v17, s58, 0
	v_mad_u64_u32 v[16:17], s[2:3], v13, s58, 0
	v_xor_b32_e32 v13, v17, v28
	v_xor_b32_e32 v13, v21, v13
	v_cmp_lt_i32_e32 vcc, 1, v33
                                        ; implicit-def: $vgpr25
	s_and_saveexec_b64 s[2:3], vcc
	s_xor_b64 s[2:3], exec, s[2:3]
	s_cbranch_execz .LBB40_39
; %bb.34:                               ;   in Loop: Header=BB40_3 Depth=1
	v_cmp_lt_i32_e32 vcc, 2, v33
                                        ; implicit-def: $vgpr25
	s_and_saveexec_b64 s[40:41], vcc
	s_xor_b64 s[40:41], exec, s[40:41]
; %bb.35:                               ;   in Loop: Header=BB40_3 Depth=1
	v_xor_b32_e32 v17, v35, v29
	v_xor_b32_e32 v17, v17, v24
	v_mul_hi_u32 v17, v17, s61
	v_xor_b32_e32 v17, v17, v26
	v_xor_b32_e32 v25, v36, v17
                                        ; implicit-def: $vgpr34
; %bb.36:                               ;   in Loop: Header=BB40_3 Depth=1
	s_andn2_saveexec_b64 s[40:41], s[40:41]
; %bb.37:                               ;   in Loop: Header=BB40_3 Depth=1
	v_mov_b32_e32 v25, v16
	v_mov_b32_e32 v16, v13
	;; [unrolled: 1-line block ×4, first 2 shown]
; %bb.38:                               ;   in Loop: Header=BB40_3 Depth=1
	s_or_b64 exec, exec, s[40:41]
                                        ; implicit-def: $vgpr18_vgpr19
                                        ; implicit-def: $vgpr20_vgpr21
                                        ; implicit-def: $vgpr33
                                        ; implicit-def: $vgpr34
                                        ; implicit-def: $vgpr22_vgpr23
                                        ; implicit-def: $vgpr19
                                        ; implicit-def: $vgpr21
.LBB40_39:                              ;   in Loop: Header=BB40_3 Depth=1
	s_andn2_saveexec_b64 s[2:3], s[2:3]
	s_cbranch_execz .LBB40_43
; %bb.40:                               ;   in Loop: Header=BB40_3 Depth=1
	v_xor_b32_e32 v16, v19, v23
	v_xor_b32_e32 v16, v16, v18
	v_mad_u64_u32 v[18:19], s[40:41], v16, s58, 0
	v_xor_b32_e32 v16, v19, v20
	v_xor_b32_e32 v17, v21, v16
	v_cmp_eq_u32_e32 vcc, 1, v33
	v_mov_b32_e32 v25, v12
	v_mov_b32_e32 v16, v34
	;; [unrolled: 1-line block ×3, first 2 shown]
	s_and_saveexec_b64 s[40:41], vcc
; %bb.41:                               ;   in Loop: Header=BB40_3 Depth=1
	v_mov_b32_e32 v25, v13
	v_mov_b32_e32 v16, v12
	;; [unrolled: 1-line block ×4, first 2 shown]
; %bb.42:                               ;   in Loop: Header=BB40_3 Depth=1
	s_or_b64 exec, exec, s[40:41]
	v_mov_b32_e32 v12, v17
	v_mov_b32_e32 v13, v19
.LBB40_43:                              ;   in Loop: Header=BB40_3 Depth=1
	s_or_b64 exec, exec, s[2:3]
	v_min_i32_e32 v17, 4, v31
	v_cmp_lt_i32_e32 vcc, 2, v17
	s_mov_b64 s[40:41], 0
	s_mov_b64 s[52:53], 0
	;; [unrolled: 1-line block ×3, first 2 shown]
                                        ; implicit-def: $sgpr44_sgpr45
                                        ; implicit-def: $sgpr46_sgpr47
                                        ; implicit-def: $sgpr48_sgpr49
	s_and_saveexec_b64 s[2:3], vcc
	s_xor_b64 s[50:51], exec, s[2:3]
	s_cbranch_execz .LBB40_55
; %bb.44:                               ;   in Loop: Header=BB40_3 Depth=1
	v_cmp_lt_i32_e32 vcc, 3, v17
	s_mov_b64 s[2:3], -1
	s_mov_b64 s[54:55], 0
                                        ; implicit-def: $sgpr42_sgpr43
                                        ; implicit-def: $sgpr44_sgpr45
	s_and_saveexec_b64 s[46:47], vcc
	s_cbranch_execz .LBB40_50
; %bb.45:                               ;   in Loop: Header=BB40_3 Depth=1
	v_cmp_eq_u32_e32 vcc, 4, v17
	s_mov_b64 s[2:3], 0
	s_mov_b64 s[54:55], -1
                                        ; implicit-def: $sgpr42_sgpr43
                                        ; implicit-def: $sgpr44_sgpr45
	s_and_saveexec_b64 s[48:49], vcc
	s_cbranch_execz .LBB40_49
; %bb.46:                               ;   in Loop: Header=BB40_3 Depth=1
	s_waitcnt vmcnt(0)
	v_cmp_le_f32_e32 vcc, 0, v32
	v_cmp_ge_f32_e64 s[2:3], 1.0, v32
	s_and_b64 s[54:55], vcc, s[2:3]
	s_mov_b64 s[42:43], 0
	s_mov_b64 s[2:3], 0
	s_and_saveexec_b64 s[44:45], s[54:55]
	s_cbranch_execz .LBB40_48
; %bb.47:                               ;   in Loop: Header=BB40_3 Depth=1
	v_cvt_f32_u32_e32 v18, v25
	v_mov_b32_e32 v19, 0x2f800000
	v_lshlrev_b64 v[14:15], 2, v[14:15]
	s_waitcnt lgkmcnt(0)
	v_add_co_u32_e32 v14, vcc, s16, v14
	v_fmac_f32_e32 v19, 0x2f800000, v18
	v_mov_b32_e32 v18, s17
	v_addc_co_u32_e32 v15, vcc, v18, v15, vcc
	v_cmp_le_f32_e32 vcc, v19, v32
	s_mov_b64 s[2:3], exec
	v_cndmask_b32_e64 v18, 0, 1, vcc
	global_store_dword v[14:15], v18, off
.LBB40_48:                              ;   in Loop: Header=BB40_3 Depth=1
	s_or_b64 exec, exec, s[44:45]
	s_mov_b64 s[44:45], -1
	s_xor_b64 s[54:55], exec, -1
	s_and_b64 s[2:3], s[2:3], exec
.LBB40_49:                              ;   in Loop: Header=BB40_3 Depth=1
	s_or_b64 exec, exec, s[48:49]
	s_and_b64 s[54:55], s[54:55], exec
	s_orn2_b64 s[2:3], s[2:3], exec
.LBB40_50:                              ;   in Loop: Header=BB40_3 Depth=1
	s_or_b64 exec, exec, s[46:47]
	s_mov_b64 s[48:49], s[42:43]
	s_and_saveexec_b64 s[46:47], s[2:3]
	s_cbranch_execz .LBB40_54
; %bb.51:                               ;   in Loop: Header=BB40_3 Depth=1
	s_waitcnt vmcnt(1)
	v_cmp_le_f32_e32 vcc, 0, v9
	v_cmp_ge_f32_e64 s[2:3], 1.0, v9
	s_and_b64 s[48:49], vcc, s[2:3]
	s_mov_b64 s[2:3], 0
	s_and_saveexec_b64 s[52:53], s[48:49]
	s_xor_b64 s[48:49], exec, s[52:53]
	s_cbranch_execz .LBB40_53
; %bb.52:                               ;   in Loop: Header=BB40_3 Depth=1
	v_cvt_f32_u32_e32 v14, v16
	v_mov_b32_e32 v15, 0x2f800000
	v_lshlrev_b64 v[10:11], 2, v[10:11]
	s_waitcnt lgkmcnt(0)
	v_add_co_u32_e32 v10, vcc, s16, v10
	v_fmac_f32_e32 v15, 0x2f800000, v14
	v_mov_b32_e32 v14, s17
	v_addc_co_u32_e32 v11, vcc, v14, v11, vcc
	v_cmp_le_f32_e32 vcc, v15, v9
	v_cndmask_b32_e64 v9, 0, 1, vcc
	s_mov_b64 s[2:3], exec
	global_store_dword v[10:11], v9, off
.LBB40_53:                              ;   in Loop: Header=BB40_3 Depth=1
	s_or_b64 exec, exec, s[48:49]
	s_andn2_b64 s[48:49], s[42:43], exec
	s_or_b64 s[42:43], s[42:43], exec
	s_andn2_b64 s[44:45], s[44:45], exec
	s_and_b64 s[52:53], s[2:3], exec
.LBB40_54:                              ;   in Loop: Header=BB40_3 Depth=1
	s_or_b64 exec, exec, s[46:47]
	s_and_b64 s[48:49], s[48:49], exec
	s_and_b64 s[46:47], s[42:43], exec
	;; [unrolled: 1-line block ×5, first 2 shown]
.LBB40_55:                              ;   in Loop: Header=BB40_3 Depth=1
	s_andn2_saveexec_b64 s[2:3], s[50:51]
; %bb.56:                               ;   in Loop: Header=BB40_3 Depth=1
	v_cmp_lt_i32_e32 vcc, 1, v17
	s_andn2_b64 s[50:51], s[52:53], exec
	s_and_b64 s[52:53], vcc, exec
	s_mov_b64 s[40:41], exec
	s_andn2_b64 s[48:49], s[48:49], exec
	s_andn2_b64 s[46:47], s[46:47], exec
	;; [unrolled: 1-line block ×3, first 2 shown]
	s_or_b64 s[52:53], s[50:51], s[52:53]
; %bb.57:                               ;   in Loop: Header=BB40_3 Depth=1
	s_or_b64 exec, exec, s[2:3]
	s_mov_b64 s[2:3], 0
	s_mov_b64 s[50:51], s[48:49]
	s_and_saveexec_b64 s[54:55], s[52:53]
	s_cbranch_execnz .LBB40_60
; %bb.58:                               ;   in Loop: Header=BB40_3 Depth=1
	s_or_b64 exec, exec, s[54:55]
	s_and_saveexec_b64 s[52:53], s[40:41]
	s_cbranch_execnz .LBB40_63
.LBB40_59:                              ;   in Loop: Header=BB40_3 Depth=1
	s_or_b64 exec, exec, s[52:53]
	s_and_saveexec_b64 s[40:41], s[2:3]
	s_cbranch_execnz .LBB40_64
	s_branch .LBB40_67
.LBB40_60:                              ;   in Loop: Header=BB40_3 Depth=1
	s_waitcnt vmcnt(2)
	v_cmp_le_f32_e32 vcc, 0, v7
	v_cmp_ge_f32_e64 s[2:3], 1.0, v7
	s_and_b64 s[50:51], vcc, s[2:3]
	s_mov_b64 s[2:3], 0
	s_and_saveexec_b64 s[52:53], s[50:51]
	s_xor_b64 s[50:51], exec, s[52:53]
	s_cbranch_execz .LBB40_62
; %bb.61:                               ;   in Loop: Header=BB40_3 Depth=1
	v_cvt_f32_u32_e32 v10, v13
	s_waitcnt vmcnt(1)
	v_mov_b32_e32 v9, v3
	v_mov_b32_e32 v11, 0x2f800000
	v_lshlrev_b64 v[8:9], 2, v[8:9]
	v_fmac_f32_e32 v11, 0x2f800000, v10
	s_waitcnt lgkmcnt(0)
	v_mov_b32_e32 v10, s17
	v_add_co_u32_e32 v8, vcc, s16, v8
	v_addc_co_u32_e32 v9, vcc, v10, v9, vcc
	v_cmp_le_f32_e32 vcc, v11, v7
	v_cndmask_b32_e64 v7, 0, 1, vcc
	s_mov_b64 s[2:3], exec
	global_store_dword v[8:9], v7, off
.LBB40_62:                              ;   in Loop: Header=BB40_3 Depth=1
	s_or_b64 exec, exec, s[50:51]
	s_andn2_b64 s[50:51], s[48:49], exec
	s_or_b64 s[48:49], s[48:49], exec
	s_andn2_b64 s[46:47], s[46:47], exec
	s_andn2_b64 s[44:45], s[44:45], exec
	s_and_b64 s[2:3], s[2:3], exec
	s_andn2_b64 s[40:41], s[40:41], exec
	s_or_b64 exec, exec, s[54:55]
	s_and_saveexec_b64 s[52:53], s[40:41]
	s_cbranch_execz .LBB40_59
.LBB40_63:                              ;   in Loop: Header=BB40_3 Depth=1
	v_cmp_eq_u32_e32 vcc, 1, v17
	s_andn2_b64 s[2:3], s[2:3], exec
	s_and_b64 s[40:41], vcc, exec
	s_andn2_b64 s[50:51], s[50:51], exec
	s_andn2_b64 s[48:49], s[48:49], exec
	;; [unrolled: 1-line block ×4, first 2 shown]
	s_or_b64 s[42:43], s[42:43], exec
	s_or_b64 s[2:3], s[2:3], s[40:41]
	s_or_b64 exec, exec, s[52:53]
	s_and_saveexec_b64 s[40:41], s[2:3]
	s_cbranch_execz .LBB40_67
.LBB40_64:                              ;   in Loop: Header=BB40_3 Depth=1
	s_waitcnt vmcnt(3)
	v_cmp_le_f32_e32 vcc, 0, v2
	v_cmp_ge_f32_e64 s[2:3], 1.0, v2
	s_and_b64 s[54:55], vcc, s[2:3]
	s_mov_b64 s[2:3], 0
	s_and_saveexec_b64 s[52:53], s[54:55]
	s_cbranch_execz .LBB40_66
; %bb.65:                               ;   in Loop: Header=BB40_3 Depth=1
	v_cvt_f32_u32_e32 v8, v12
	s_waitcnt vmcnt(2)
	v_mov_b32_e32 v7, v3
	s_waitcnt vmcnt(1)
	v_mov_b32_e32 v9, 0x2f800000
	v_lshlrev_b64 v[6:7], 2, v[6:7]
	v_fmac_f32_e32 v9, 0x2f800000, v8
	s_waitcnt lgkmcnt(0)
	v_mov_b32_e32 v8, s17
	v_add_co_u32_e32 v6, vcc, s16, v6
	v_addc_co_u32_e32 v7, vcc, v8, v7, vcc
	v_cmp_le_f32_e32 vcc, v9, v2
	s_mov_b64 s[2:3], exec
	v_cndmask_b32_e64 v2, 0, 1, vcc
	global_store_dword v[6:7], v2, off
.LBB40_66:                              ;   in Loop: Header=BB40_3 Depth=1
	s_or_b64 exec, exec, s[52:53]
	s_andn2_b64 s[42:43], s[42:43], exec
	s_and_b64 s[2:3], s[2:3], exec
	s_or_b64 s[50:51], s[50:51], exec
	s_andn2_b64 s[48:49], s[48:49], exec
	s_andn2_b64 s[46:47], s[46:47], exec
	s_andn2_b64 s[44:45], s[44:45], exec
	s_or_b64 s[42:43], s[42:43], s[2:3]
.LBB40_67:                              ;   in Loop: Header=BB40_3 Depth=1
	s_or_b64 exec, exec, s[40:41]
	s_andn2_b64 s[38:39], s[38:39], exec
	s_and_b64 s[40:41], s[50:51], exec
	s_or_b64 s[38:39], s[38:39], s[40:41]
	s_andn2_b64 s[36:37], s[36:37], exec
	s_and_b64 s[40:41], s[48:49], exec
	s_or_b64 s[36:37], s[36:37], s[40:41]
	;; [unrolled: 3-line block ×3, first 2 shown]
	s_andn2_b64 s[30:31], s[30:31], exec
	s_and_b64 s[40:41], s[44:45], exec
	s_mov_b64 s[2:3], -1
	s_or_b64 s[30:31], s[30:31], s[40:41]
	s_and_saveexec_b64 s[40:41], s[42:43]
	s_cbranch_execz .LBB40_2
; %bb.68:                               ;   in Loop: Header=BB40_3 Depth=1
	v_add_u32_e32 v30, s59, v30
	v_cmp_le_u32_e32 vcc, s33, v30
	s_andn2_b64 s[38:39], s[38:39], exec
	s_andn2_b64 s[36:37], s[36:37], exec
	;; [unrolled: 1-line block ×4, first 2 shown]
	s_orn2_b64 s[2:3], vcc, exec
	s_branch .LBB40_2
.LBB40_69:
	s_or_b64 exec, exec, s[22:23]
	s_xor_b64 s[8:9], s[28:29], -1
	s_xor_b64 s[10:11], s[26:27], -1
	;; [unrolled: 1-line block ×3, first 2 shown]
	s_mov_b64 s[2:3], 0
	s_and_saveexec_b64 s[6:7], s[0:1]
	s_xor_b64 s[0:1], exec, s[6:7]
	s_cbranch_execnz .LBB40_74
; %bb.70:
	s_andn2_saveexec_b64 s[0:1], s[0:1]
	s_cbranch_execnz .LBB40_82
.LBB40_71:
	s_or_b64 exec, exec, s[0:1]
	s_and_b64 exec, exec, s[2:3]
.LBB40_72:
	; divergent unreachable
.LBB40_73:
	s_endpgm
.LBB40_74:
	s_mov_b64 s[6:7], 0
	s_and_saveexec_b64 s[2:3], s[10:11]
	s_xor_b64 s[2:3], exec, s[2:3]
	s_cbranch_execz .LBB40_80
; %bb.75:
	s_and_saveexec_b64 s[10:11], s[8:9]
	s_xor_b64 s[8:9], exec, s[10:11]
	s_cbranch_execz .LBB40_78
; %bb.76:
	s_and_saveexec_b64 s[10:11], s[4:5]
	s_xor_b64 s[4:5], exec, s[10:11]
	s_cbranch_execnz .LBB40_85
.LBB40_77:
	s_or_b64 exec, exec, s[4:5]
	s_and_b64 s[6:7], s[6:7], exec
.LBB40_78:
	s_andn2_saveexec_b64 s[4:5], s[8:9]
	s_cbranch_execnz .LBB40_84
.LBB40_79:
	s_or_b64 exec, exec, s[4:5]
	s_and_b64 s[6:7], s[6:7], exec
.LBB40_80:
	s_andn2_saveexec_b64 s[2:3], s[2:3]
	s_cbranch_execnz .LBB40_83
.LBB40_81:
	s_or_b64 exec, exec, s[2:3]
	s_and_b64 s[2:3], s[6:7], exec
	s_andn2_saveexec_b64 s[0:1], s[0:1]
	s_cbranch_execz .LBB40_71
.LBB40_82:
	s_or_b64 s[2:3], s[2:3], exec
	s_trap 2
	s_or_b64 exec, exec, s[0:1]
	s_and_b64 exec, exec, s[2:3]
	s_cbranch_execnz .LBB40_72
	s_branch .LBB40_73
.LBB40_83:
	s_or_b64 s[6:7], s[6:7], exec
	s_trap 2
	s_branch .LBB40_81
.LBB40_84:
	s_trap 2
	s_or_b64 s[6:7], s[6:7], exec
	s_branch .LBB40_79
.LBB40_85:
	s_mov_b64 s[6:7], exec
	s_trap 2
	s_branch .LBB40_77
	.section	.rodata,"a",@progbits
	.p2align	6, 0x0
	.amdhsa_kernel _ZN2at4cuda12_GLOBAL__N_121kernelPointwiseApply2IZNS_6native9templates4cuda28bernoulli_tensor_cuda_kernelIifEEvRKNS_10TensorBaseES9_NS_15PhiloxCudaStateEEUliRiSB_SB_SB_RKfSD_SD_SD_E_iSC_jLin1ELi2ELi4ELi512ELi2EEEvNS0_6detail10TensorInfoIT0_T2_EENSG_IT1_SI_EESI_T_
		.amdhsa_group_segment_fixed_size 0
		.amdhsa_private_segment_fixed_size 0
		.amdhsa_kernarg_size 728
		.amdhsa_user_sgpr_count 6
		.amdhsa_user_sgpr_private_segment_buffer 1
		.amdhsa_user_sgpr_dispatch_ptr 0
		.amdhsa_user_sgpr_queue_ptr 0
		.amdhsa_user_sgpr_kernarg_segment_ptr 1
		.amdhsa_user_sgpr_dispatch_id 0
		.amdhsa_user_sgpr_flat_scratch_init 0
		.amdhsa_user_sgpr_kernarg_preload_length 0
		.amdhsa_user_sgpr_kernarg_preload_offset 0
		.amdhsa_user_sgpr_private_segment_size 0
		.amdhsa_uses_dynamic_stack 0
		.amdhsa_system_sgpr_private_segment_wavefront_offset 0
		.amdhsa_system_sgpr_workgroup_id_x 1
		.amdhsa_system_sgpr_workgroup_id_y 0
		.amdhsa_system_sgpr_workgroup_id_z 0
		.amdhsa_system_sgpr_workgroup_info 0
		.amdhsa_system_vgpr_workitem_id 0
		.amdhsa_next_free_vgpr 51
		.amdhsa_next_free_sgpr 63
		.amdhsa_accum_offset 52
		.amdhsa_reserve_vcc 1
		.amdhsa_reserve_flat_scratch 0
		.amdhsa_float_round_mode_32 0
		.amdhsa_float_round_mode_16_64 0
		.amdhsa_float_denorm_mode_32 3
		.amdhsa_float_denorm_mode_16_64 3
		.amdhsa_dx10_clamp 1
		.amdhsa_ieee_mode 1
		.amdhsa_fp16_overflow 0
		.amdhsa_tg_split 0
		.amdhsa_exception_fp_ieee_invalid_op 0
		.amdhsa_exception_fp_denorm_src 0
		.amdhsa_exception_fp_ieee_div_zero 0
		.amdhsa_exception_fp_ieee_overflow 0
		.amdhsa_exception_fp_ieee_underflow 0
		.amdhsa_exception_fp_ieee_inexact 0
		.amdhsa_exception_int_div_zero 0
	.end_amdhsa_kernel
	.section	.text._ZN2at4cuda12_GLOBAL__N_121kernelPointwiseApply2IZNS_6native9templates4cuda28bernoulli_tensor_cuda_kernelIifEEvRKNS_10TensorBaseES9_NS_15PhiloxCudaStateEEUliRiSB_SB_SB_RKfSD_SD_SD_E_iSC_jLin1ELi2ELi4ELi512ELi2EEEvNS0_6detail10TensorInfoIT0_T2_EENSG_IT1_SI_EESI_T_,"axG",@progbits,_ZN2at4cuda12_GLOBAL__N_121kernelPointwiseApply2IZNS_6native9templates4cuda28bernoulli_tensor_cuda_kernelIifEEvRKNS_10TensorBaseES9_NS_15PhiloxCudaStateEEUliRiSB_SB_SB_RKfSD_SD_SD_E_iSC_jLin1ELi2ELi4ELi512ELi2EEEvNS0_6detail10TensorInfoIT0_T2_EENSG_IT1_SI_EESI_T_,comdat
.Lfunc_end40:
	.size	_ZN2at4cuda12_GLOBAL__N_121kernelPointwiseApply2IZNS_6native9templates4cuda28bernoulli_tensor_cuda_kernelIifEEvRKNS_10TensorBaseES9_NS_15PhiloxCudaStateEEUliRiSB_SB_SB_RKfSD_SD_SD_E_iSC_jLin1ELi2ELi4ELi512ELi2EEEvNS0_6detail10TensorInfoIT0_T2_EENSG_IT1_SI_EESI_T_, .Lfunc_end40-_ZN2at4cuda12_GLOBAL__N_121kernelPointwiseApply2IZNS_6native9templates4cuda28bernoulli_tensor_cuda_kernelIifEEvRKNS_10TensorBaseES9_NS_15PhiloxCudaStateEEUliRiSB_SB_SB_RKfSD_SD_SD_E_iSC_jLin1ELi2ELi4ELi512ELi2EEEvNS0_6detail10TensorInfoIT0_T2_EENSG_IT1_SI_EESI_T_
                                        ; -- End function
	.section	.AMDGPU.csdata,"",@progbits
; Kernel info:
; codeLenInByte = 3976
; NumSgprs: 67
; NumVgprs: 51
; NumAgprs: 0
; TotalNumVgprs: 51
; ScratchSize: 0
; MemoryBound: 0
; FloatMode: 240
; IeeeMode: 1
; LDSByteSize: 0 bytes/workgroup (compile time only)
; SGPRBlocks: 8
; VGPRBlocks: 6
; NumSGPRsForWavesPerEU: 67
; NumVGPRsForWavesPerEU: 51
; AccumOffset: 52
; Occupancy: 8
; WaveLimiterHint : 1
; COMPUTE_PGM_RSRC2:SCRATCH_EN: 0
; COMPUTE_PGM_RSRC2:USER_SGPR: 6
; COMPUTE_PGM_RSRC2:TRAP_HANDLER: 0
; COMPUTE_PGM_RSRC2:TGID_X_EN: 1
; COMPUTE_PGM_RSRC2:TGID_Y_EN: 0
; COMPUTE_PGM_RSRC2:TGID_Z_EN: 0
; COMPUTE_PGM_RSRC2:TIDIG_COMP_CNT: 0
; COMPUTE_PGM_RSRC3_GFX90A:ACCUM_OFFSET: 12
; COMPUTE_PGM_RSRC3_GFX90A:TG_SPLIT: 0
	.section	.text._ZN2at4cuda12_GLOBAL__N_121kernelPointwiseApply2IZNS_6native9templates4cuda28bernoulli_tensor_cuda_kernelIifEEvRKNS_10TensorBaseES9_NS_15PhiloxCudaStateEEUliRiSB_SB_SB_RKfSD_SD_SD_E_iSC_jLin1ELin1ELi4ELi512ELi2EEEvNS0_6detail10TensorInfoIT0_T2_EENSG_IT1_SI_EESI_T_,"axG",@progbits,_ZN2at4cuda12_GLOBAL__N_121kernelPointwiseApply2IZNS_6native9templates4cuda28bernoulli_tensor_cuda_kernelIifEEvRKNS_10TensorBaseES9_NS_15PhiloxCudaStateEEUliRiSB_SB_SB_RKfSD_SD_SD_E_iSC_jLin1ELin1ELi4ELi512ELi2EEEvNS0_6detail10TensorInfoIT0_T2_EENSG_IT1_SI_EESI_T_,comdat
	.globl	_ZN2at4cuda12_GLOBAL__N_121kernelPointwiseApply2IZNS_6native9templates4cuda28bernoulli_tensor_cuda_kernelIifEEvRKNS_10TensorBaseES9_NS_15PhiloxCudaStateEEUliRiSB_SB_SB_RKfSD_SD_SD_E_iSC_jLin1ELin1ELi4ELi512ELi2EEEvNS0_6detail10TensorInfoIT0_T2_EENSG_IT1_SI_EESI_T_ ; -- Begin function _ZN2at4cuda12_GLOBAL__N_121kernelPointwiseApply2IZNS_6native9templates4cuda28bernoulli_tensor_cuda_kernelIifEEvRKNS_10TensorBaseES9_NS_15PhiloxCudaStateEEUliRiSB_SB_SB_RKfSD_SD_SD_E_iSC_jLin1ELin1ELi4ELi512ELi2EEEvNS0_6detail10TensorInfoIT0_T2_EENSG_IT1_SI_EESI_T_
	.p2align	8
	.type	_ZN2at4cuda12_GLOBAL__N_121kernelPointwiseApply2IZNS_6native9templates4cuda28bernoulli_tensor_cuda_kernelIifEEvRKNS_10TensorBaseES9_NS_15PhiloxCudaStateEEUliRiSB_SB_SB_RKfSD_SD_SD_E_iSC_jLin1ELin1ELi4ELi512ELi2EEEvNS0_6detail10TensorInfoIT0_T2_EENSG_IT1_SI_EESI_T_,@function
_ZN2at4cuda12_GLOBAL__N_121kernelPointwiseApply2IZNS_6native9templates4cuda28bernoulli_tensor_cuda_kernelIifEEvRKNS_10TensorBaseES9_NS_15PhiloxCudaStateEEUliRiSB_SB_SB_RKfSD_SD_SD_E_iSC_jLin1ELin1ELi4ELi512ELi2EEEvNS0_6detail10TensorInfoIT0_T2_EENSG_IT1_SI_EESI_T_: ; @_ZN2at4cuda12_GLOBAL__N_121kernelPointwiseApply2IZNS_6native9templates4cuda28bernoulli_tensor_cuda_kernelIifEEvRKNS_10TensorBaseES9_NS_15PhiloxCudaStateEEUliRiSB_SB_SB_RKfSD_SD_SD_E_iSC_jLin1ELin1ELi4ELi512ELi2EEEvNS0_6detail10TensorInfoIT0_T2_EENSG_IT1_SI_EESI_T_
; %bb.0:
	s_load_dword s2, s[4:5], 0x1e4
	s_load_dword s33, s[4:5], 0x1b0
	s_add_u32 s0, s4, 0x1d8
	s_addc_u32 s1, s5, 0
	s_waitcnt lgkmcnt(0)
	s_and_b32 s2, s2, 0xffff
	s_mul_i32 s6, s6, s2
	v_add_u32_e32 v5, s6, v0
	v_lshlrev_b32_e32 v30, 2, v5
	v_cmp_gt_u32_e32 vcc, s33, v30
	s_and_saveexec_b64 s[6:7], vcc
	s_cbranch_execz .LBB41_85
; %bb.1:
	s_load_dword s0, s[0:1], 0x0
	s_nop 0
	s_load_dword s16, s[4:5], 0x1d0
	s_load_dword s20, s[4:5], 0xd0
	s_add_u32 s22, s4, 0xd8
	s_load_dwordx2 s[6:7], s[4:5], 0x1c8
	s_load_dwordx4 s[8:11], s[4:5], 0x1b8
	s_load_dword s24, s[4:5], 0x1a8
	s_load_dwordx2 s[12:13], s[4:5], 0xd8
	s_load_dword s56, s[4:5], 0x6c
	s_addc_u32 s23, s5, 0
	s_waitcnt lgkmcnt(0)
	s_mul_i32 s21, s0, s2
	s_cmp_gt_i32 s20, 1
	s_cselect_b64 s[0:1], -1, 0
	s_cmp_gt_i32 s24, 1
	s_mov_b32 s58, 0xcd9e8d57
	s_cselect_b64 s[2:3], -1, 0
	s_bitcmp1_b32 s16, 0
	v_mad_u64_u32 v[0:1], s[18:19], v5, s58, 0
	s_cselect_b64 s[16:17], -1, 0
	s_add_i32 s18, s20, -1
	s_mov_b32 s19, 0
	s_lshl_b32 s59, s21, 2
	s_add_i32 s60, s20, 1
	s_lshl_b64 s[20:21], s[18:19], 2
	s_load_dword s57, s[4:5], 0x144
	s_load_dwordx2 s[14:15], s[4:5], 0x0
	s_add_u32 s4, s20, s4
	s_addc_u32 s5, s21, s5
	s_add_u32 s20, s4, 8
	s_addc_u32 s21, s5, 0
	s_add_i32 s18, s24, -1
	s_add_i32 s61, s24, 1
	s_lshl_b64 s[4:5], s[18:19], 2
	s_add_u32 s4, s4, s22
	s_addc_u32 s5, s5, s23
	s_add_u32 s22, s4, 8
	v_cndmask_b32_e64 v2, 0, 1, s[0:1]
	v_mov_b32_e32 v3, 0
	v_mov_b32_e32 v4, v1
	s_addc_u32 s23, s5, 0
	s_mov_b64 s[24:25], 0
	v_cndmask_b32_e64 v1, 0, 1, s[2:3]
	s_mov_b32 s62, 0xd2511f53
	v_cmp_ne_u32_e64 s[0:1], 1, v2
	s_mov_b32 s63, 0xf1bbcdc8
                                        ; implicit-def: $sgpr26_sgpr27
                                        ; implicit-def: $sgpr28_sgpr29
                                        ; implicit-def: $sgpr30_sgpr31
                                        ; implicit-def: $sgpr18_sgpr19
                                        ; implicit-def: $sgpr34_sgpr35
                                        ; implicit-def: $sgpr36_sgpr37
                                        ; implicit-def: $sgpr38_sgpr39
                                        ; implicit-def: $sgpr40_sgpr41
	s_branch .LBB41_3
.LBB41_2:                               ;   in Loop: Header=BB41_3 Depth=1
	s_or_b64 exec, exec, s[4:5]
	s_and_b64 s[2:3], exec, s[2:3]
	s_or_b64 s[24:25], s[2:3], s[24:25]
	s_andn2_b64 s[2:3], s[18:19], exec
	s_and_b64 s[4:5], s[40:41], exec
	s_or_b64 s[18:19], s[2:3], s[4:5]
	s_andn2_b64 s[2:3], s[30:31], exec
	s_and_b64 s[4:5], s[38:39], exec
	;; [unrolled: 3-line block ×4, first 2 shown]
	s_or_b64 s[26:27], s[2:3], s[4:5]
	s_andn2_b64 exec, exec, s[24:25]
	s_cbranch_execz .LBB41_81
.LBB41_3:                               ; =>This Loop Header: Depth=1
                                        ;     Child Loop BB41_6 Depth 2
                                        ;     Child Loop BB41_11 Depth 2
	;; [unrolled: 1-line block ×8, first 2 shown]
	v_sub_u32_e32 v31, s33, v30
	v_cmp_lt_i32_e64 s[4:5], 0, v31
	v_mov_b32_e32 v6, 0
	s_and_saveexec_b64 s[2:3], s[4:5]
	s_cbranch_execz .LBB41_8
; %bb.4:                                ;   in Loop: Header=BB41_3 Depth=1
	s_and_b64 vcc, exec, s[0:1]
	v_mov_b32_e32 v6, 0
	s_waitcnt vmcnt(3)
	v_mov_b32_e32 v2, v30
	s_cbranch_vccnz .LBB41_7
; %bb.5:                                ;   in Loop: Header=BB41_3 Depth=1
	v_mov_b32_e32 v6, 0
	s_mov_b64 s[42:43], s[20:21]
	s_mov_b32 s44, s60
	v_mov_b32_e32 v2, v30
.LBB41_6:                               ;   Parent Loop BB41_3 Depth=1
                                        ; =>  This Inner Loop Header: Depth=2
	s_load_dword s45, s[42:43], 0x0
	s_load_dword s46, s[42:43], 0x64
	s_waitcnt vmcnt(2)
	v_mov_b32_e32 v7, v2
	s_add_i32 s44, s44, -1
	s_waitcnt lgkmcnt(0)
	v_cvt_f32_u32_e32 v2, s45
	s_sub_i32 s47, 0, s45
	s_add_u32 s42, s42, -4
	s_addc_u32 s43, s43, -1
	v_rcp_iflag_f32_e32 v2, v2
	s_cmp_gt_u32 s44, 2
	v_mul_f32_e32 v2, 0x4f7ffffe, v2
	v_cvt_u32_f32_e32 v2, v2
	v_mul_lo_u32 v8, s47, v2
	v_mul_hi_u32 v8, v2, v8
	v_add_u32_e32 v2, v2, v8
	v_mul_hi_u32 v2, v7, v2
	v_mul_lo_u32 v8, v2, s45
	v_sub_u32_e32 v8, v7, v8
	s_waitcnt vmcnt(1)
	v_add_u32_e32 v9, 1, v2
	v_cmp_le_u32_e32 vcc, s45, v8
	v_cndmask_b32_e32 v2, v2, v9, vcc
	v_subrev_u32_e32 v9, s45, v8
	v_cndmask_b32_e32 v8, v8, v9, vcc
	v_add_u32_e32 v9, 1, v2
	v_cmp_le_u32_e32 vcc, s45, v8
	v_cndmask_b32_e32 v2, v2, v9, vcc
	v_mul_lo_u32 v8, v2, s45
	v_sub_u32_e32 v7, v7, v8
	v_mad_u64_u32 v[6:7], s[46:47], s46, v7, v[6:7]
	s_cbranch_scc1 .LBB41_6
.LBB41_7:                               ;   in Loop: Header=BB41_3 Depth=1
	s_waitcnt vmcnt(2)
	v_mad_u64_u32 v[6:7], s[42:43], s56, v2, v[6:7]
.LBB41_8:                               ;   in Loop: Header=BB41_3 Depth=1
	s_or_b64 exec, exec, s[2:3]
	s_waitcnt vmcnt(3)
	v_mov_b32_e32 v2, 0
	v_cmp_ne_u32_e64 s[2:3], 1, v1
	s_and_saveexec_b64 s[42:43], s[4:5]
	s_cbranch_execz .LBB41_13
; %bb.9:                                ;   in Loop: Header=BB41_3 Depth=1
	s_and_b64 vcc, exec, s[2:3]
	v_mov_b32_e32 v8, 0
	v_mov_b32_e32 v2, v30
	s_cbranch_vccnz .LBB41_12
; %bb.10:                               ;   in Loop: Header=BB41_3 Depth=1
	v_mov_b32_e32 v8, 0
	s_mov_b64 s[4:5], s[22:23]
	s_mov_b32 s44, s61
	v_mov_b32_e32 v2, v30
.LBB41_11:                              ;   Parent Loop BB41_3 Depth=1
                                        ; =>  This Inner Loop Header: Depth=2
	s_load_dword s45, s[4:5], 0x0
	s_load_dword s46, s[4:5], 0x64
	s_waitcnt vmcnt(2)
	v_mov_b32_e32 v7, v2
	s_add_i32 s44, s44, -1
	s_waitcnt lgkmcnt(0)
	v_cvt_f32_u32_e32 v2, s45
	s_sub_i32 s47, 0, s45
	s_add_u32 s4, s4, -4
	s_addc_u32 s5, s5, -1
	v_rcp_iflag_f32_e32 v2, v2
	s_cmp_gt_u32 s44, 2
	v_mul_f32_e32 v2, 0x4f7ffffe, v2
	v_cvt_u32_f32_e32 v2, v2
	s_waitcnt vmcnt(1)
	v_mul_lo_u32 v9, s47, v2
	v_mul_hi_u32 v9, v2, v9
	v_add_u32_e32 v2, v2, v9
	v_mul_hi_u32 v2, v7, v2
	v_mul_lo_u32 v9, v2, s45
	v_sub_u32_e32 v9, v7, v9
	v_add_u32_e32 v10, 1, v2
	v_cmp_le_u32_e32 vcc, s45, v9
	v_cndmask_b32_e32 v2, v2, v10, vcc
	v_subrev_u32_e32 v10, s45, v9
	v_cndmask_b32_e32 v9, v9, v10, vcc
	v_add_u32_e32 v10, 1, v2
	v_cmp_le_u32_e32 vcc, s45, v9
	v_cndmask_b32_e32 v2, v2, v10, vcc
	v_mul_lo_u32 v9, v2, s45
	v_sub_u32_e32 v7, v7, v9
	v_mad_u64_u32 v[8:9], s[46:47], s46, v7, v[8:9]
	s_cbranch_scc1 .LBB41_11
.LBB41_12:                              ;   in Loop: Header=BB41_3 Depth=1
	s_waitcnt vmcnt(1) lgkmcnt(0)
	v_mad_u64_u32 v[8:9], s[4:5], s57, v2, v[8:9]
	v_mov_b32_e32 v2, v8
.LBB41_13:                              ;   in Loop: Header=BB41_3 Depth=1
	s_or_b64 exec, exec, s[42:43]
	s_waitcnt vmcnt(2)
	v_or_b32_e32 v7, 1, v30
	v_cmp_lt_i32_e64 s[4:5], 1, v31
	v_mov_b32_e32 v8, 0
	s_and_saveexec_b64 s[42:43], s[4:5]
	s_cbranch_execz .LBB41_18
; %bb.14:                               ;   in Loop: Header=BB41_3 Depth=1
	s_and_b64 vcc, exec, s[0:1]
	v_mov_b32_e32 v8, 0
	v_mov_b32_e32 v10, v7
	s_cbranch_vccnz .LBB41_17
; %bb.15:                               ;   in Loop: Header=BB41_3 Depth=1
	v_mov_b32_e32 v8, 0
	s_mov_b64 s[44:45], s[20:21]
	s_mov_b32 s46, s60
	v_mov_b32_e32 v10, v7
.LBB41_16:                              ;   Parent Loop BB41_3 Depth=1
                                        ; =>  This Inner Loop Header: Depth=2
	s_load_dword s47, s[44:45], 0x0
	s_load_dword s48, s[44:45], 0x64
	s_waitcnt vmcnt(1)
	v_mov_b32_e32 v9, v10
	s_add_i32 s46, s46, -1
	s_waitcnt lgkmcnt(0)
	v_cvt_f32_u32_e32 v10, s47
	s_sub_i32 s49, 0, s47
	s_add_u32 s44, s44, -4
	s_addc_u32 s45, s45, -1
	v_rcp_iflag_f32_e32 v10, v10
	s_cmp_gt_u32 s46, 2
	v_mul_f32_e32 v10, 0x4f7ffffe, v10
	v_cvt_u32_f32_e32 v10, v10
	s_waitcnt vmcnt(0)
	v_mul_lo_u32 v11, s49, v10
	v_mul_hi_u32 v11, v10, v11
	v_add_u32_e32 v10, v10, v11
	v_mul_hi_u32 v10, v9, v10
	v_mul_lo_u32 v11, v10, s47
	v_sub_u32_e32 v11, v9, v11
	v_add_u32_e32 v12, 1, v10
	v_cmp_le_u32_e32 vcc, s47, v11
	v_cndmask_b32_e32 v10, v10, v12, vcc
	v_subrev_u32_e32 v12, s47, v11
	v_cndmask_b32_e32 v11, v11, v12, vcc
	v_add_u32_e32 v12, 1, v10
	v_cmp_le_u32_e32 vcc, s47, v11
	v_cndmask_b32_e32 v10, v10, v12, vcc
	v_mul_lo_u32 v11, v10, s47
	v_sub_u32_e32 v9, v9, v11
	v_mad_u64_u32 v[8:9], s[48:49], s48, v9, v[8:9]
	s_cbranch_scc1 .LBB41_16
.LBB41_17:                              ;   in Loop: Header=BB41_3 Depth=1
	s_waitcnt vmcnt(1)
	v_mad_u64_u32 v[8:9], s[44:45], s56, v10, v[8:9]
.LBB41_18:                              ;   in Loop: Header=BB41_3 Depth=1
	s_or_b64 exec, exec, s[42:43]
	v_mov_b32_e32 v12, 0
	s_and_saveexec_b64 s[42:43], s[4:5]
	s_cbranch_execz .LBB41_23
; %bb.19:                               ;   in Loop: Header=BB41_3 Depth=1
	s_and_b64 vcc, exec, s[2:3]
	v_mov_b32_e32 v10, 0
	s_cbranch_vccnz .LBB41_22
; %bb.20:                               ;   in Loop: Header=BB41_3 Depth=1
	v_mov_b32_e32 v10, 0
	s_mov_b64 s[4:5], s[22:23]
	s_mov_b32 s44, s61
.LBB41_21:                              ;   Parent Loop BB41_3 Depth=1
                                        ; =>  This Inner Loop Header: Depth=2
	s_load_dword s45, s[4:5], 0x0
	s_load_dword s46, s[4:5], 0x64
	s_waitcnt vmcnt(1)
	v_mov_b32_e32 v9, v7
	s_add_i32 s44, s44, -1
	s_waitcnt lgkmcnt(0)
	v_cvt_f32_u32_e32 v7, s45
	s_sub_i32 s47, 0, s45
	s_add_u32 s4, s4, -4
	s_addc_u32 s5, s5, -1
	v_rcp_iflag_f32_e32 v7, v7
	s_cmp_gt_u32 s44, 2
	v_mul_f32_e32 v7, 0x4f7ffffe, v7
	v_cvt_u32_f32_e32 v7, v7
	s_waitcnt vmcnt(0)
	v_mul_lo_u32 v11, s47, v7
	v_mul_hi_u32 v11, v7, v11
	v_add_u32_e32 v7, v7, v11
	v_mul_hi_u32 v7, v9, v7
	v_mul_lo_u32 v11, v7, s45
	v_sub_u32_e32 v11, v9, v11
	v_add_u32_e32 v12, 1, v7
	v_cmp_le_u32_e32 vcc, s45, v11
	v_cndmask_b32_e32 v7, v7, v12, vcc
	v_subrev_u32_e32 v12, s45, v11
	v_cndmask_b32_e32 v11, v11, v12, vcc
	v_add_u32_e32 v12, 1, v7
	v_cmp_le_u32_e32 vcc, s45, v11
	v_cndmask_b32_e32 v7, v7, v12, vcc
	v_mul_lo_u32 v11, v7, s45
	v_sub_u32_e32 v9, v9, v11
	v_mad_u64_u32 v[10:11], s[46:47], s46, v9, v[10:11]
	s_cbranch_scc1 .LBB41_21
.LBB41_22:                              ;   in Loop: Header=BB41_3 Depth=1
	s_waitcnt vmcnt(0) lgkmcnt(0)
	v_mad_u64_u32 v[12:13], s[4:5], s57, v7, v[10:11]
.LBB41_23:                              ;   in Loop: Header=BB41_3 Depth=1
	s_or_b64 exec, exec, s[42:43]
	v_or_b32_e32 v7, 2, v30
	v_cmp_lt_i32_e64 s[4:5], 2, v31
	v_mov_b32_e32 v10, 0
	s_and_saveexec_b64 s[42:43], s[4:5]
	s_cbranch_execz .LBB41_28
; %bb.24:                               ;   in Loop: Header=BB41_3 Depth=1
	s_and_b64 vcc, exec, s[0:1]
	v_mov_b32_e32 v10, 0
	s_waitcnt vmcnt(1)
	v_mov_b32_e32 v9, v7
	s_cbranch_vccnz .LBB41_27
; %bb.25:                               ;   in Loop: Header=BB41_3 Depth=1
	v_mov_b32_e32 v10, 0
	s_mov_b64 s[44:45], s[20:21]
	s_mov_b32 s46, s60
	v_mov_b32_e32 v9, v7
.LBB41_26:                              ;   Parent Loop BB41_3 Depth=1
                                        ; =>  This Inner Loop Header: Depth=2
	s_load_dword s47, s[44:45], 0x0
	s_load_dword s48, s[44:45], 0x64
	s_waitcnt vmcnt(0)
	v_mov_b32_e32 v11, v9
	s_add_i32 s46, s46, -1
	s_waitcnt lgkmcnt(0)
	v_cvt_f32_u32_e32 v9, s47
	s_sub_i32 s49, 0, s47
	s_add_u32 s44, s44, -4
	s_addc_u32 s45, s45, -1
	v_rcp_iflag_f32_e32 v9, v9
	s_cmp_gt_u32 s46, 2
	v_mul_f32_e32 v9, 0x4f7ffffe, v9
	v_cvt_u32_f32_e32 v9, v9
	v_mul_lo_u32 v13, s49, v9
	v_mul_hi_u32 v13, v9, v13
	v_add_u32_e32 v9, v9, v13
	v_mul_hi_u32 v9, v11, v9
	v_mul_lo_u32 v13, v9, s47
	v_sub_u32_e32 v13, v11, v13
	v_add_u32_e32 v14, 1, v9
	v_cmp_le_u32_e32 vcc, s47, v13
	v_cndmask_b32_e32 v9, v9, v14, vcc
	v_subrev_u32_e32 v14, s47, v13
	v_cndmask_b32_e32 v13, v13, v14, vcc
	v_add_u32_e32 v14, 1, v9
	v_cmp_le_u32_e32 vcc, s47, v13
	v_cndmask_b32_e32 v9, v9, v14, vcc
	v_mul_lo_u32 v13, v9, s47
	v_sub_u32_e32 v11, v11, v13
	v_mad_u64_u32 v[10:11], s[48:49], s48, v11, v[10:11]
	s_cbranch_scc1 .LBB41_26
.LBB41_27:                              ;   in Loop: Header=BB41_3 Depth=1
	s_waitcnt vmcnt(0)
	v_mad_u64_u32 v[10:11], s[44:45], s56, v9, v[10:11]
.LBB41_28:                              ;   in Loop: Header=BB41_3 Depth=1
	s_or_b64 exec, exec, s[42:43]
	v_pk_mov_b32 v[16:17], 0, 0
	s_and_saveexec_b64 s[42:43], s[4:5]
	s_cbranch_execz .LBB41_33
; %bb.29:                               ;   in Loop: Header=BB41_3 Depth=1
	s_and_b64 vcc, exec, s[2:3]
	v_mov_b32_e32 v14, 0
	s_cbranch_vccnz .LBB41_32
; %bb.30:                               ;   in Loop: Header=BB41_3 Depth=1
	v_mov_b32_e32 v14, 0
	s_mov_b64 s[4:5], s[22:23]
	s_mov_b32 s44, s61
.LBB41_31:                              ;   Parent Loop BB41_3 Depth=1
                                        ; =>  This Inner Loop Header: Depth=2
	s_load_dword s45, s[4:5], 0x0
	s_load_dword s46, s[4:5], 0x64
	s_waitcnt vmcnt(1)
	v_mov_b32_e32 v9, v7
	s_add_i32 s44, s44, -1
	s_waitcnt lgkmcnt(0)
	v_cvt_f32_u32_e32 v7, s45
	s_sub_i32 s47, 0, s45
	s_add_u32 s4, s4, -4
	s_addc_u32 s5, s5, -1
	v_rcp_iflag_f32_e32 v7, v7
	s_cmp_gt_u32 s44, 2
	v_mul_f32_e32 v7, 0x4f7ffffe, v7
	v_cvt_u32_f32_e32 v7, v7
	s_waitcnt vmcnt(0)
	v_mul_lo_u32 v11, s47, v7
	v_mul_hi_u32 v11, v7, v11
	v_add_u32_e32 v7, v7, v11
	v_mul_hi_u32 v7, v9, v7
	v_mul_lo_u32 v11, v7, s45
	v_sub_u32_e32 v11, v9, v11
	v_add_u32_e32 v13, 1, v7
	v_cmp_le_u32_e32 vcc, s45, v11
	v_cndmask_b32_e32 v7, v7, v13, vcc
	v_subrev_u32_e32 v13, s45, v11
	v_cndmask_b32_e32 v11, v11, v13, vcc
	v_add_u32_e32 v13, 1, v7
	v_cmp_le_u32_e32 vcc, s45, v11
	v_cndmask_b32_e32 v7, v7, v13, vcc
	v_mul_lo_u32 v11, v7, s45
	v_sub_u32_e32 v9, v9, v11
	v_mad_u64_u32 v[14:15], s[46:47], s46, v9, v[14:15]
	s_cbranch_scc1 .LBB41_31
.LBB41_32:                              ;   in Loop: Header=BB41_3 Depth=1
	s_waitcnt lgkmcnt(0)
	v_mad_u64_u32 v[16:17], s[4:5], s57, v7, v[14:15]
	v_mov_b32_e32 v17, v3
.LBB41_33:                              ;   in Loop: Header=BB41_3 Depth=1
	s_or_b64 exec, exec, s[42:43]
	v_or_b32_e32 v7, 3, v30
	v_cmp_lt_i32_e64 s[4:5], 3, v31
	v_pk_mov_b32 v[14:15], 0, 0
	s_and_saveexec_b64 s[42:43], s[4:5]
	s_cbranch_execz .LBB41_38
; %bb.34:                               ;   in Loop: Header=BB41_3 Depth=1
	s_and_b64 vcc, exec, s[0:1]
	v_mov_b32_e32 v14, 0
	s_waitcnt vmcnt(1)
	v_mov_b32_e32 v9, v7
	s_cbranch_vccnz .LBB41_37
; %bb.35:                               ;   in Loop: Header=BB41_3 Depth=1
	v_mov_b32_e32 v14, 0
	s_mov_b64 s[44:45], s[20:21]
	s_mov_b32 s46, s60
	v_mov_b32_e32 v9, v7
.LBB41_36:                              ;   Parent Loop BB41_3 Depth=1
                                        ; =>  This Inner Loop Header: Depth=2
	s_load_dword s47, s[44:45], 0x0
	s_load_dword s48, s[44:45], 0x64
	s_waitcnt vmcnt(0)
	v_mov_b32_e32 v11, v9
	s_add_i32 s46, s46, -1
	s_waitcnt lgkmcnt(0)
	v_cvt_f32_u32_e32 v9, s47
	s_sub_i32 s49, 0, s47
	s_add_u32 s44, s44, -4
	s_addc_u32 s45, s45, -1
	v_rcp_iflag_f32_e32 v9, v9
	s_cmp_gt_u32 s46, 2
	v_mul_f32_e32 v9, 0x4f7ffffe, v9
	v_cvt_u32_f32_e32 v9, v9
	v_mul_lo_u32 v13, s49, v9
	v_mul_hi_u32 v13, v9, v13
	v_add_u32_e32 v9, v9, v13
	v_mul_hi_u32 v9, v11, v9
	v_mul_lo_u32 v13, v9, s47
	v_sub_u32_e32 v13, v11, v13
	v_add_u32_e32 v15, 1, v9
	v_cmp_le_u32_e32 vcc, s47, v13
	v_cndmask_b32_e32 v9, v9, v15, vcc
	v_subrev_u32_e32 v15, s47, v13
	v_cndmask_b32_e32 v13, v13, v15, vcc
	v_add_u32_e32 v15, 1, v9
	v_cmp_le_u32_e32 vcc, s47, v13
	v_cndmask_b32_e32 v9, v9, v15, vcc
	v_mul_lo_u32 v13, v9, s47
	v_sub_u32_e32 v11, v11, v13
	v_mad_u64_u32 v[14:15], s[48:49], s48, v11, v[14:15]
	s_cbranch_scc1 .LBB41_36
.LBB41_37:                              ;   in Loop: Header=BB41_3 Depth=1
	v_mad_u64_u32 v[14:15], s[44:45], s56, v9, v[14:15]
	v_mov_b32_e32 v15, v3
.LBB41_38:                              ;   in Loop: Header=BB41_3 Depth=1
	s_or_b64 exec, exec, s[42:43]
	v_pk_mov_b32 v[18:19], 0, 0
	s_and_saveexec_b64 s[42:43], s[4:5]
	s_cbranch_execz .LBB41_43
; %bb.39:                               ;   in Loop: Header=BB41_3 Depth=1
	s_and_b64 vcc, exec, s[2:3]
	v_mov_b32_e32 v18, 0
	s_cbranch_vccnz .LBB41_42
; %bb.40:                               ;   in Loop: Header=BB41_3 Depth=1
	v_mov_b32_e32 v18, 0
	s_mov_b64 s[2:3], s[22:23]
	s_mov_b32 s4, s61
.LBB41_41:                              ;   Parent Loop BB41_3 Depth=1
                                        ; =>  This Inner Loop Header: Depth=2
	s_load_dword s5, s[2:3], 0x0
	s_load_dword s44, s[2:3], 0x64
	s_waitcnt vmcnt(1)
	v_mov_b32_e32 v9, v7
	s_add_i32 s4, s4, -1
	s_waitcnt lgkmcnt(0)
	v_cvt_f32_u32_e32 v7, s5
	s_sub_i32 s45, 0, s5
	s_add_u32 s2, s2, -4
	s_addc_u32 s3, s3, -1
	v_rcp_iflag_f32_e32 v7, v7
	s_cmp_gt_u32 s4, 2
	v_mul_f32_e32 v7, 0x4f7ffffe, v7
	v_cvt_u32_f32_e32 v7, v7
	s_waitcnt vmcnt(0)
	v_mul_lo_u32 v11, s45, v7
	v_mul_hi_u32 v11, v7, v11
	v_add_u32_e32 v7, v7, v11
	v_mul_hi_u32 v7, v9, v7
	v_mul_lo_u32 v11, v7, s5
	v_sub_u32_e32 v11, v9, v11
	v_add_u32_e32 v13, 1, v7
	v_cmp_le_u32_e32 vcc, s5, v11
	v_cndmask_b32_e32 v7, v7, v13, vcc
	v_subrev_u32_e32 v13, s5, v11
	v_cndmask_b32_e32 v11, v11, v13, vcc
	v_add_u32_e32 v13, 1, v7
	v_cmp_le_u32_e32 vcc, s5, v11
	v_cndmask_b32_e32 v7, v7, v13, vcc
	v_mul_lo_u32 v11, v7, s5
	v_sub_u32_e32 v9, v9, v11
	v_mad_u64_u32 v[18:19], s[44:45], s44, v9, v[18:19]
	s_cbranch_scc1 .LBB41_41
.LBB41_42:                              ;   in Loop: Header=BB41_3 Depth=1
	s_waitcnt lgkmcnt(0)
	v_mad_u64_u32 v[18:19], s[2:3], s57, v7, v[18:19]
	v_mov_b32_e32 v19, v3
.LBB41_43:                              ;   in Loop: Header=BB41_3 Depth=1
	s_or_b64 exec, exec, s[42:43]
	v_lshlrev_b64 v[20:21], 2, v[2:3]
	v_mov_b32_e32 v2, s13
	v_add_co_u32_e32 v20, vcc, s12, v20
	v_mov_b32_e32 v13, v3
	v_addc_co_u32_e32 v21, vcc, v2, v21, vcc
	v_lshlrev_b64 v[12:13], 2, v[12:13]
	v_add_co_u32_e32 v12, vcc, s12, v12
	v_addc_co_u32_e32 v13, vcc, v2, v13, vcc
	v_lshlrev_b64 v[16:17], 2, v[16:17]
	v_add_co_u32_e32 v16, vcc, s12, v16
	;; [unrolled: 3-line block ×3, first 2 shown]
	v_addc_co_u32_e32 v19, vcc, v2, v19, vcc
	global_load_dword v2, v[20:21], off
	global_load_dword v7, v[12:13], off
	;; [unrolled: 1-line block ×4, first 2 shown]
	s_andn2_b64 vcc, exec, s[16:17]
	v_pk_mov_b32 v[12:13], s[10:11], s[10:11] op_sel:[0,1]
	v_pk_mov_b32 v[16:17], s[8:9], s[8:9] op_sel:[0,1]
	s_cbranch_vccnz .LBB41_45
; %bb.44:                               ;   in Loop: Header=BB41_3 Depth=1
	v_pk_mov_b32 v[12:13], s[10:11], s[10:11] op_sel:[0,1]
	flat_load_dwordx2 v[12:13], v[12:13]
	v_pk_mov_b32 v[16:17], s[8:9], s[8:9] op_sel:[0,1]
	flat_load_dwordx2 v[16:17], v[16:17]
	v_mov_b32_e32 v18, s7
	s_waitcnt vmcnt(0) lgkmcnt(0)
	v_add_co_u32_e32 v12, vcc, s6, v12
	v_addc_co_u32_e32 v13, vcc, v13, v18, vcc
.LBB41_45:                              ;   in Loop: Header=BB41_3 Depth=1
	v_alignbit_b32 v26, v13, v12, 2
	v_lshrrev_b32_e32 v27, 2, v13
	v_xor_b32_e32 v18, v4, v16
	v_and_b32_e32 v32, 3, v12
	v_mad_u64_u32 v[12:13], s[2:3], v26, s62, 0
	v_xor_b32_e32 v18, v18, v27
	v_xor_b32_e32 v13, v13, v17
	v_add_u32_e32 v37, 0xbb67ae85, v17
	v_mad_u64_u32 v[18:19], s[2:3], v18, s62, 0
	v_mad_u64_u32 v[20:21], s[2:3], v13, s58, 0
	v_xor_b32_e32 v19, v37, v19
	v_add_u32_e32 v36, 0x9e3779b9, v16
	v_xor_b32_e32 v13, v0, v21
	v_xor_b32_e32 v19, v19, v12
	v_xor_b32_e32 v13, v13, v36
	v_add_u32_e32 v38, 0x3c6ef372, v16
	v_mad_u64_u32 v[22:23], s[2:3], v19, s58, 0
	v_add_u32_e32 v39, 0x76cf5d0a, v17
	v_mad_u64_u32 v[12:13], s[2:3], v13, s62, 0
	v_xor_b32_e32 v19, v38, v23
	v_xor_b32_e32 v19, v19, v20
	v_xor_b32_e32 v13, v39, v13
	v_xor_b32_e32 v13, v13, v18
	v_add_u32_e32 v41, 0x32370b8f, v17
	v_mad_u64_u32 v[18:19], s[2:3], v19, s62, 0
	v_add_u32_e32 v40, 0xdaa66d2b, v16
	v_mad_u64_u32 v[20:21], s[2:3], v13, s58, 0
	v_xor_b32_e32 v19, v41, v19
	;; [unrolled: 8-line block ×5, first 2 shown]
	v_xor_b32_e32 v19, v19, v20
	v_xor_b32_e32 v13, v47, v13
	;; [unrolled: 1-line block ×3, first 2 shown]
	v_add_u32_e32 v49, 0x1fd5c5a3, v17
	v_mad_u64_u32 v[18:19], s[2:3], v19, s62, 0
	v_xor_b32_e32 v19, v49, v19
	v_xor_b32_e32 v12, v19, v12
	v_add_u32_e32 v48, 0x5384540f, v16
	v_mad_u64_u32 v[24:25], s[2:3], v13, s58, 0
	v_add_co_u32_e32 v34, vcc, s63, v16
	v_mad_u64_u32 v[20:21], s[2:3], v12, s58, 0
	v_xor_b32_e32 v13, v48, v25
	v_xor_b32_e32 v12, v34, v21
	;; [unrolled: 1-line block ×4, first 2 shown]
	v_mad_u64_u32 v[22:23], s[2:3], v13, s62, 0
	v_mad_u64_u32 v[12:13], s[2:3], v12, s62, 0
	v_add_u32_e32 v35, 0x96a522ad, v17
	v_xor_b32_e32 v13, v13, v22
	v_xor_b32_e32 v33, v35, v13
	v_add_co_u32_e32 v13, vcc, 1, v26
	v_cndmask_b32_e64 v22, 0, 1, vcc
	v_addc_co_u32_e32 v28, vcc, 0, v27, vcc
	v_cmp_eq_u32_e32 vcc, 0, v28
	v_cndmask_b32_e32 v22, 0, v22, vcc
	v_add_u32_e32 v26, v22, v5
	v_cmp_eq_u32_e32 vcc, 0, v26
	v_mad_u64_u32 v[24:25], s[2:3], v13, s62, 0
	v_mad_u64_u32 v[26:27], s[2:3], v26, s58, 0
	v_add_u32_e32 v21, 0x8ff34781, v16
	v_cndmask_b32_e32 v22, 0, v22, vcc
	v_xor_b32_e32 v13, v27, v16
	v_xor_b32_e32 v16, v25, v17
	;; [unrolled: 1-line block ×4, first 2 shown]
	v_mad_u64_u32 v[28:29], s[2:3], v22, s58, 0
	v_add_u32_e32 v19, 0xdb3d7428, v17
	v_mad_u64_u32 v[16:17], s[2:3], v13, s62, 0
	v_xor_b32_e32 v13, v36, v29
	v_xor_b32_e32 v13, v13, v26
	v_xor_b32_e32 v17, v37, v17
	v_xor_b32_e32 v17, v17, v24
	v_mad_u64_u32 v[24:25], s[2:3], v13, s62, 0
	v_mad_u64_u32 v[26:27], s[2:3], v17, s58, 0
	v_xor_b32_e32 v17, v39, v25
	v_xor_b32_e32 v13, v38, v27
	v_xor_b32_e32 v22, v17, v16
	v_xor_b32_e32 v13, v13, v28
	v_mad_u64_u32 v[28:29], s[2:3], v22, s58, 0
	;; [unrolled: 6-line block ×7, first 2 shown]
	v_xor_b32_e32 v13, v19, v27
	v_xor_b32_e32 v13, v13, v16
	v_mad_u64_u32 v[28:29], s[2:3], v17, s58, 0
	v_mad_u64_u32 v[16:17], s[2:3], v13, s58, 0
	v_xor_b32_e32 v13, v17, v28
	v_xor_b32_e32 v13, v21, v13
	v_cmp_lt_i32_e32 vcc, 1, v32
                                        ; implicit-def: $vgpr25
	s_and_saveexec_b64 s[2:3], vcc
	s_xor_b64 s[2:3], exec, s[2:3]
	s_cbranch_execz .LBB41_51
; %bb.46:                               ;   in Loop: Header=BB41_3 Depth=1
	v_cmp_lt_i32_e32 vcc, 2, v32
                                        ; implicit-def: $vgpr25
	s_and_saveexec_b64 s[4:5], vcc
	s_xor_b64 s[4:5], exec, s[4:5]
; %bb.47:                               ;   in Loop: Header=BB41_3 Depth=1
	v_xor_b32_e32 v17, v34, v29
	v_xor_b32_e32 v17, v17, v24
	v_mul_hi_u32 v17, v17, s62
	v_xor_b32_e32 v17, v17, v26
	v_xor_b32_e32 v25, v35, v17
                                        ; implicit-def: $vgpr33
; %bb.48:                               ;   in Loop: Header=BB41_3 Depth=1
	s_andn2_saveexec_b64 s[4:5], s[4:5]
; %bb.49:                               ;   in Loop: Header=BB41_3 Depth=1
	v_mov_b32_e32 v25, v16
	v_mov_b32_e32 v16, v13
	;; [unrolled: 1-line block ×4, first 2 shown]
; %bb.50:                               ;   in Loop: Header=BB41_3 Depth=1
	s_or_b64 exec, exec, s[4:5]
                                        ; implicit-def: $vgpr18_vgpr19
                                        ; implicit-def: $vgpr20_vgpr21
                                        ; implicit-def: $vgpr32
                                        ; implicit-def: $vgpr33
                                        ; implicit-def: $vgpr22_vgpr23
                                        ; implicit-def: $vgpr19
                                        ; implicit-def: $vgpr21
.LBB41_51:                              ;   in Loop: Header=BB41_3 Depth=1
	s_andn2_saveexec_b64 s[2:3], s[2:3]
	s_cbranch_execz .LBB41_55
; %bb.52:                               ;   in Loop: Header=BB41_3 Depth=1
	v_xor_b32_e32 v16, v19, v23
	v_xor_b32_e32 v16, v16, v18
	v_mad_u64_u32 v[18:19], s[4:5], v16, s58, 0
	v_xor_b32_e32 v16, v19, v20
	v_xor_b32_e32 v17, v21, v16
	v_cmp_eq_u32_e32 vcc, 1, v32
	v_mov_b32_e32 v25, v12
	v_mov_b32_e32 v16, v33
	;; [unrolled: 1-line block ×3, first 2 shown]
	s_and_saveexec_b64 s[4:5], vcc
; %bb.53:                               ;   in Loop: Header=BB41_3 Depth=1
	v_mov_b32_e32 v25, v13
	v_mov_b32_e32 v16, v12
	;; [unrolled: 1-line block ×4, first 2 shown]
; %bb.54:                               ;   in Loop: Header=BB41_3 Depth=1
	s_or_b64 exec, exec, s[4:5]
	v_mov_b32_e32 v12, v17
	v_mov_b32_e32 v13, v19
.LBB41_55:                              ;   in Loop: Header=BB41_3 Depth=1
	s_or_b64 exec, exec, s[2:3]
	v_min_i32_e32 v17, 4, v31
	v_cmp_lt_i32_e32 vcc, 2, v17
	s_mov_b64 s[4:5], 0
	s_mov_b64 s[52:53], 0
	;; [unrolled: 1-line block ×3, first 2 shown]
                                        ; implicit-def: $sgpr44_sgpr45
                                        ; implicit-def: $sgpr46_sgpr47
                                        ; implicit-def: $sgpr48_sgpr49
	s_and_saveexec_b64 s[2:3], vcc
	s_xor_b64 s[50:51], exec, s[2:3]
	s_cbranch_execz .LBB41_67
; %bb.56:                               ;   in Loop: Header=BB41_3 Depth=1
	v_cmp_lt_i32_e32 vcc, 3, v17
	s_mov_b64 s[2:3], -1
	s_mov_b64 s[54:55], 0
                                        ; implicit-def: $sgpr42_sgpr43
                                        ; implicit-def: $sgpr44_sgpr45
	s_and_saveexec_b64 s[46:47], vcc
	s_cbranch_execz .LBB41_62
; %bb.57:                               ;   in Loop: Header=BB41_3 Depth=1
	v_cmp_eq_u32_e32 vcc, 4, v17
	s_mov_b64 s[2:3], 0
	s_mov_b64 s[54:55], -1
                                        ; implicit-def: $sgpr42_sgpr43
                                        ; implicit-def: $sgpr44_sgpr45
	s_and_saveexec_b64 s[48:49], vcc
	s_cbranch_execz .LBB41_61
; %bb.58:                               ;   in Loop: Header=BB41_3 Depth=1
	s_waitcnt vmcnt(0)
	v_cmp_le_f32_e32 vcc, 0, v11
	v_cmp_ge_f32_e64 s[2:3], 1.0, v11
	s_and_b64 s[54:55], vcc, s[2:3]
	s_mov_b64 s[42:43], 0
	s_mov_b64 s[2:3], 0
	s_and_saveexec_b64 s[44:45], s[54:55]
	s_cbranch_execz .LBB41_60
; %bb.59:                               ;   in Loop: Header=BB41_3 Depth=1
	v_cvt_f32_u32_e32 v18, v25
	v_mov_b32_e32 v19, 0x2f800000
	v_lshlrev_b64 v[14:15], 2, v[14:15]
	s_waitcnt lgkmcnt(0)
	v_add_co_u32_e32 v14, vcc, s14, v14
	v_fmac_f32_e32 v19, 0x2f800000, v18
	v_mov_b32_e32 v18, s15
	v_addc_co_u32_e32 v15, vcc, v18, v15, vcc
	v_cmp_le_f32_e32 vcc, v19, v11
	s_mov_b64 s[2:3], exec
	v_cndmask_b32_e64 v11, 0, 1, vcc
	global_store_dword v[14:15], v11, off
.LBB41_60:                              ;   in Loop: Header=BB41_3 Depth=1
	s_or_b64 exec, exec, s[44:45]
	s_mov_b64 s[44:45], -1
	s_xor_b64 s[54:55], exec, -1
	s_and_b64 s[2:3], s[2:3], exec
.LBB41_61:                              ;   in Loop: Header=BB41_3 Depth=1
	s_or_b64 exec, exec, s[48:49]
	s_and_b64 s[54:55], s[54:55], exec
	s_orn2_b64 s[2:3], s[2:3], exec
.LBB41_62:                              ;   in Loop: Header=BB41_3 Depth=1
	s_or_b64 exec, exec, s[46:47]
	s_mov_b64 s[48:49], s[42:43]
	s_and_saveexec_b64 s[46:47], s[2:3]
	s_cbranch_execz .LBB41_66
; %bb.63:                               ;   in Loop: Header=BB41_3 Depth=1
	s_waitcnt vmcnt(1)
	v_cmp_le_f32_e32 vcc, 0, v9
	v_cmp_ge_f32_e64 s[2:3], 1.0, v9
	s_and_b64 s[48:49], vcc, s[2:3]
	s_mov_b64 s[2:3], 0
	s_and_saveexec_b64 s[52:53], s[48:49]
	s_xor_b64 s[48:49], exec, s[52:53]
	s_cbranch_execz .LBB41_65
; %bb.64:                               ;   in Loop: Header=BB41_3 Depth=1
	v_cvt_f32_u32_e32 v14, v16
	s_waitcnt vmcnt(0)
	v_mov_b32_e32 v11, v3
	v_mov_b32_e32 v15, 0x2f800000
	v_lshlrev_b64 v[10:11], 2, v[10:11]
	v_fmac_f32_e32 v15, 0x2f800000, v14
	s_waitcnt lgkmcnt(0)
	v_mov_b32_e32 v14, s15
	v_add_co_u32_e32 v10, vcc, s14, v10
	v_addc_co_u32_e32 v11, vcc, v14, v11, vcc
	v_cmp_le_f32_e32 vcc, v15, v9
	v_cndmask_b32_e64 v9, 0, 1, vcc
	s_mov_b64 s[2:3], exec
	global_store_dword v[10:11], v9, off
.LBB41_65:                              ;   in Loop: Header=BB41_3 Depth=1
	s_or_b64 exec, exec, s[48:49]
	s_andn2_b64 s[48:49], s[42:43], exec
	s_or_b64 s[42:43], s[42:43], exec
	s_andn2_b64 s[44:45], s[44:45], exec
	s_and_b64 s[52:53], s[2:3], exec
.LBB41_66:                              ;   in Loop: Header=BB41_3 Depth=1
	s_or_b64 exec, exec, s[46:47]
	s_and_b64 s[48:49], s[48:49], exec
	s_and_b64 s[46:47], s[42:43], exec
	;; [unrolled: 1-line block ×5, first 2 shown]
.LBB41_67:                              ;   in Loop: Header=BB41_3 Depth=1
	s_andn2_saveexec_b64 s[2:3], s[50:51]
; %bb.68:                               ;   in Loop: Header=BB41_3 Depth=1
	v_cmp_lt_i32_e32 vcc, 1, v17
	s_andn2_b64 s[50:51], s[52:53], exec
	s_and_b64 s[52:53], vcc, exec
	s_mov_b64 s[4:5], exec
	s_andn2_b64 s[48:49], s[48:49], exec
	s_andn2_b64 s[46:47], s[46:47], exec
	s_andn2_b64 s[44:45], s[44:45], exec
	s_or_b64 s[52:53], s[50:51], s[52:53]
; %bb.69:                               ;   in Loop: Header=BB41_3 Depth=1
	s_or_b64 exec, exec, s[2:3]
	s_mov_b64 s[2:3], 0
	s_mov_b64 s[50:51], s[48:49]
	s_and_saveexec_b64 s[54:55], s[52:53]
	s_cbranch_execnz .LBB41_72
; %bb.70:                               ;   in Loop: Header=BB41_3 Depth=1
	s_or_b64 exec, exec, s[54:55]
	s_and_saveexec_b64 s[52:53], s[4:5]
	s_cbranch_execnz .LBB41_75
.LBB41_71:                              ;   in Loop: Header=BB41_3 Depth=1
	s_or_b64 exec, exec, s[52:53]
	s_and_saveexec_b64 s[4:5], s[2:3]
	s_cbranch_execnz .LBB41_76
	s_branch .LBB41_79
.LBB41_72:                              ;   in Loop: Header=BB41_3 Depth=1
	s_waitcnt vmcnt(2)
	v_cmp_le_f32_e32 vcc, 0, v7
	v_cmp_ge_f32_e64 s[2:3], 1.0, v7
	s_and_b64 s[50:51], vcc, s[2:3]
	s_mov_b64 s[2:3], 0
	s_and_saveexec_b64 s[52:53], s[50:51]
	s_xor_b64 s[50:51], exec, s[52:53]
	s_cbranch_execz .LBB41_74
; %bb.73:                               ;   in Loop: Header=BB41_3 Depth=1
	v_cvt_f32_u32_e32 v10, v13
	s_waitcnt vmcnt(1)
	v_mov_b32_e32 v9, v3
	s_waitcnt vmcnt(0)
	v_mov_b32_e32 v11, 0x2f800000
	v_lshlrev_b64 v[8:9], 2, v[8:9]
	v_fmac_f32_e32 v11, 0x2f800000, v10
	s_waitcnt lgkmcnt(0)
	v_mov_b32_e32 v10, s15
	v_add_co_u32_e32 v8, vcc, s14, v8
	v_addc_co_u32_e32 v9, vcc, v10, v9, vcc
	v_cmp_le_f32_e32 vcc, v11, v7
	v_cndmask_b32_e64 v7, 0, 1, vcc
	s_mov_b64 s[2:3], exec
	global_store_dword v[8:9], v7, off
.LBB41_74:                              ;   in Loop: Header=BB41_3 Depth=1
	s_or_b64 exec, exec, s[50:51]
	s_andn2_b64 s[50:51], s[48:49], exec
	s_or_b64 s[48:49], s[48:49], exec
	s_andn2_b64 s[46:47], s[46:47], exec
	s_andn2_b64 s[44:45], s[44:45], exec
	s_and_b64 s[2:3], s[2:3], exec
	s_andn2_b64 s[4:5], s[4:5], exec
	s_or_b64 exec, exec, s[54:55]
	s_and_saveexec_b64 s[52:53], s[4:5]
	s_cbranch_execz .LBB41_71
.LBB41_75:                              ;   in Loop: Header=BB41_3 Depth=1
	v_cmp_eq_u32_e32 vcc, 1, v17
	s_andn2_b64 s[2:3], s[2:3], exec
	s_and_b64 s[4:5], vcc, exec
	s_andn2_b64 s[50:51], s[50:51], exec
	s_andn2_b64 s[48:49], s[48:49], exec
	;; [unrolled: 1-line block ×4, first 2 shown]
	s_or_b64 s[42:43], s[42:43], exec
	s_or_b64 s[2:3], s[2:3], s[4:5]
	s_or_b64 exec, exec, s[52:53]
	s_and_saveexec_b64 s[4:5], s[2:3]
	s_cbranch_execz .LBB41_79
.LBB41_76:                              ;   in Loop: Header=BB41_3 Depth=1
	s_waitcnt vmcnt(3)
	v_cmp_le_f32_e32 vcc, 0, v2
	v_cmp_ge_f32_e64 s[2:3], 1.0, v2
	s_and_b64 s[54:55], vcc, s[2:3]
	s_mov_b64 s[2:3], 0
	s_and_saveexec_b64 s[52:53], s[54:55]
	s_cbranch_execz .LBB41_78
; %bb.77:                               ;   in Loop: Header=BB41_3 Depth=1
	v_cvt_f32_u32_e32 v8, v12
	s_waitcnt vmcnt(2)
	v_mov_b32_e32 v7, v3
	s_waitcnt vmcnt(1)
	v_mov_b32_e32 v9, 0x2f800000
	v_lshlrev_b64 v[6:7], 2, v[6:7]
	v_fmac_f32_e32 v9, 0x2f800000, v8
	s_waitcnt lgkmcnt(0)
	v_mov_b32_e32 v8, s15
	v_add_co_u32_e32 v6, vcc, s14, v6
	v_addc_co_u32_e32 v7, vcc, v8, v7, vcc
	v_cmp_le_f32_e32 vcc, v9, v2
	s_mov_b64 s[2:3], exec
	v_cndmask_b32_e64 v2, 0, 1, vcc
	global_store_dword v[6:7], v2, off
.LBB41_78:                              ;   in Loop: Header=BB41_3 Depth=1
	s_or_b64 exec, exec, s[52:53]
	s_andn2_b64 s[42:43], s[42:43], exec
	s_and_b64 s[2:3], s[2:3], exec
	s_or_b64 s[50:51], s[50:51], exec
	s_andn2_b64 s[48:49], s[48:49], exec
	s_andn2_b64 s[46:47], s[46:47], exec
	;; [unrolled: 1-line block ×3, first 2 shown]
	s_or_b64 s[42:43], s[42:43], s[2:3]
.LBB41_79:                              ;   in Loop: Header=BB41_3 Depth=1
	s_or_b64 exec, exec, s[4:5]
	s_andn2_b64 s[4:5], s[40:41], exec
	s_and_b64 s[40:41], s[50:51], exec
	s_or_b64 s[40:41], s[4:5], s[40:41]
	s_andn2_b64 s[4:5], s[38:39], exec
	s_and_b64 s[38:39], s[48:49], exec
	s_or_b64 s[38:39], s[4:5], s[38:39]
	;; [unrolled: 3-line block ×3, first 2 shown]
	s_andn2_b64 s[4:5], s[34:35], exec
	s_and_b64 s[34:35], s[44:45], exec
	s_mov_b64 s[2:3], -1
	s_or_b64 s[34:35], s[4:5], s[34:35]
	s_and_saveexec_b64 s[4:5], s[42:43]
	s_cbranch_execz .LBB41_2
; %bb.80:                               ;   in Loop: Header=BB41_3 Depth=1
	v_add_u32_e32 v30, s59, v30
	v_cmp_le_u32_e32 vcc, s33, v30
	s_andn2_b64 s[40:41], s[40:41], exec
	s_andn2_b64 s[38:39], s[38:39], exec
	;; [unrolled: 1-line block ×4, first 2 shown]
	s_orn2_b64 s[2:3], vcc, exec
	s_branch .LBB41_2
.LBB41_81:
	s_or_b64 exec, exec, s[24:25]
	s_xor_b64 s[6:7], s[30:31], -1
	s_xor_b64 s[8:9], s[28:29], -1
	s_xor_b64 s[0:1], s[26:27], -1
	s_mov_b64 s[2:3], 0
	s_and_saveexec_b64 s[4:5], s[0:1]
	s_xor_b64 s[0:1], exec, s[4:5]
	s_cbranch_execnz .LBB41_86
; %bb.82:
	s_andn2_saveexec_b64 s[0:1], s[0:1]
	s_cbranch_execnz .LBB41_94
.LBB41_83:
	s_or_b64 exec, exec, s[0:1]
	s_and_b64 exec, exec, s[2:3]
.LBB41_84:
	; divergent unreachable
.LBB41_85:
	s_endpgm
.LBB41_86:
	s_mov_b64 s[4:5], 0
	s_and_saveexec_b64 s[2:3], s[8:9]
	s_xor_b64 s[2:3], exec, s[2:3]
	s_cbranch_execz .LBB41_92
; %bb.87:
	s_and_saveexec_b64 s[8:9], s[6:7]
	s_xor_b64 s[6:7], exec, s[8:9]
	s_cbranch_execz .LBB41_90
; %bb.88:
	s_and_saveexec_b64 s[8:9], s[18:19]
	s_xor_b64 s[8:9], exec, s[8:9]
	s_cbranch_execnz .LBB41_97
.LBB41_89:
	s_or_b64 exec, exec, s[8:9]
	s_and_b64 s[4:5], s[4:5], exec
.LBB41_90:
	s_andn2_saveexec_b64 s[6:7], s[6:7]
	s_cbranch_execnz .LBB41_96
.LBB41_91:
	s_or_b64 exec, exec, s[6:7]
	s_and_b64 s[4:5], s[4:5], exec
.LBB41_92:
	s_andn2_saveexec_b64 s[2:3], s[2:3]
	s_cbranch_execnz .LBB41_95
.LBB41_93:
	s_or_b64 exec, exec, s[2:3]
	s_and_b64 s[2:3], s[4:5], exec
	s_andn2_saveexec_b64 s[0:1], s[0:1]
	s_cbranch_execz .LBB41_83
.LBB41_94:
	s_or_b64 s[2:3], s[2:3], exec
	s_trap 2
	s_or_b64 exec, exec, s[0:1]
	s_and_b64 exec, exec, s[2:3]
	s_cbranch_execnz .LBB41_84
	s_branch .LBB41_85
.LBB41_95:
	s_or_b64 s[4:5], s[4:5], exec
	s_trap 2
	s_branch .LBB41_93
.LBB41_96:
	s_trap 2
	s_or_b64 s[4:5], s[4:5], exec
	s_branch .LBB41_91
.LBB41_97:
	s_mov_b64 s[4:5], exec
	s_trap 2
	s_branch .LBB41_89
	.section	.rodata,"a",@progbits
	.p2align	6, 0x0
	.amdhsa_kernel _ZN2at4cuda12_GLOBAL__N_121kernelPointwiseApply2IZNS_6native9templates4cuda28bernoulli_tensor_cuda_kernelIifEEvRKNS_10TensorBaseES9_NS_15PhiloxCudaStateEEUliRiSB_SB_SB_RKfSD_SD_SD_E_iSC_jLin1ELin1ELi4ELi512ELi2EEEvNS0_6detail10TensorInfoIT0_T2_EENSG_IT1_SI_EESI_T_
		.amdhsa_group_segment_fixed_size 0
		.amdhsa_private_segment_fixed_size 0
		.amdhsa_kernarg_size 728
		.amdhsa_user_sgpr_count 6
		.amdhsa_user_sgpr_private_segment_buffer 1
		.amdhsa_user_sgpr_dispatch_ptr 0
		.amdhsa_user_sgpr_queue_ptr 0
		.amdhsa_user_sgpr_kernarg_segment_ptr 1
		.amdhsa_user_sgpr_dispatch_id 0
		.amdhsa_user_sgpr_flat_scratch_init 0
		.amdhsa_user_sgpr_kernarg_preload_length 0
		.amdhsa_user_sgpr_kernarg_preload_offset 0
		.amdhsa_user_sgpr_private_segment_size 0
		.amdhsa_uses_dynamic_stack 0
		.amdhsa_system_sgpr_private_segment_wavefront_offset 0
		.amdhsa_system_sgpr_workgroup_id_x 1
		.amdhsa_system_sgpr_workgroup_id_y 0
		.amdhsa_system_sgpr_workgroup_id_z 0
		.amdhsa_system_sgpr_workgroup_info 0
		.amdhsa_system_vgpr_workitem_id 0
		.amdhsa_next_free_vgpr 50
		.amdhsa_next_free_sgpr 64
		.amdhsa_accum_offset 52
		.amdhsa_reserve_vcc 1
		.amdhsa_reserve_flat_scratch 0
		.amdhsa_float_round_mode_32 0
		.amdhsa_float_round_mode_16_64 0
		.amdhsa_float_denorm_mode_32 3
		.amdhsa_float_denorm_mode_16_64 3
		.amdhsa_dx10_clamp 1
		.amdhsa_ieee_mode 1
		.amdhsa_fp16_overflow 0
		.amdhsa_tg_split 0
		.amdhsa_exception_fp_ieee_invalid_op 0
		.amdhsa_exception_fp_denorm_src 0
		.amdhsa_exception_fp_ieee_div_zero 0
		.amdhsa_exception_fp_ieee_overflow 0
		.amdhsa_exception_fp_ieee_underflow 0
		.amdhsa_exception_fp_ieee_inexact 0
		.amdhsa_exception_int_div_zero 0
	.end_amdhsa_kernel
	.section	.text._ZN2at4cuda12_GLOBAL__N_121kernelPointwiseApply2IZNS_6native9templates4cuda28bernoulli_tensor_cuda_kernelIifEEvRKNS_10TensorBaseES9_NS_15PhiloxCudaStateEEUliRiSB_SB_SB_RKfSD_SD_SD_E_iSC_jLin1ELin1ELi4ELi512ELi2EEEvNS0_6detail10TensorInfoIT0_T2_EENSG_IT1_SI_EESI_T_,"axG",@progbits,_ZN2at4cuda12_GLOBAL__N_121kernelPointwiseApply2IZNS_6native9templates4cuda28bernoulli_tensor_cuda_kernelIifEEvRKNS_10TensorBaseES9_NS_15PhiloxCudaStateEEUliRiSB_SB_SB_RKfSD_SD_SD_E_iSC_jLin1ELin1ELi4ELi512ELi2EEEvNS0_6detail10TensorInfoIT0_T2_EENSG_IT1_SI_EESI_T_,comdat
.Lfunc_end41:
	.size	_ZN2at4cuda12_GLOBAL__N_121kernelPointwiseApply2IZNS_6native9templates4cuda28bernoulli_tensor_cuda_kernelIifEEvRKNS_10TensorBaseES9_NS_15PhiloxCudaStateEEUliRiSB_SB_SB_RKfSD_SD_SD_E_iSC_jLin1ELin1ELi4ELi512ELi2EEEvNS0_6detail10TensorInfoIT0_T2_EENSG_IT1_SI_EESI_T_, .Lfunc_end41-_ZN2at4cuda12_GLOBAL__N_121kernelPointwiseApply2IZNS_6native9templates4cuda28bernoulli_tensor_cuda_kernelIifEEvRKNS_10TensorBaseES9_NS_15PhiloxCudaStateEEUliRiSB_SB_SB_RKfSD_SD_SD_E_iSC_jLin1ELin1ELi4ELi512ELi2EEEvNS0_6detail10TensorInfoIT0_T2_EENSG_IT1_SI_EESI_T_
                                        ; -- End function
	.section	.AMDGPU.csdata,"",@progbits
; Kernel info:
; codeLenInByte = 4500
; NumSgprs: 68
; NumVgprs: 50
; NumAgprs: 0
; TotalNumVgprs: 50
; ScratchSize: 0
; MemoryBound: 0
; FloatMode: 240
; IeeeMode: 1
; LDSByteSize: 0 bytes/workgroup (compile time only)
; SGPRBlocks: 8
; VGPRBlocks: 6
; NumSGPRsForWavesPerEU: 68
; NumVGPRsForWavesPerEU: 50
; AccumOffset: 52
; Occupancy: 8
; WaveLimiterHint : 1
; COMPUTE_PGM_RSRC2:SCRATCH_EN: 0
; COMPUTE_PGM_RSRC2:USER_SGPR: 6
; COMPUTE_PGM_RSRC2:TRAP_HANDLER: 0
; COMPUTE_PGM_RSRC2:TGID_X_EN: 1
; COMPUTE_PGM_RSRC2:TGID_Y_EN: 0
; COMPUTE_PGM_RSRC2:TGID_Z_EN: 0
; COMPUTE_PGM_RSRC2:TIDIG_COMP_CNT: 0
; COMPUTE_PGM_RSRC3_GFX90A:ACCUM_OFFSET: 12
; COMPUTE_PGM_RSRC3_GFX90A:TG_SPLIT: 0
	.section	.text._ZN2at4cuda12_GLOBAL__N_121kernelPointwiseApply2IZNS_6native9templates4cuda28bernoulli_tensor_cuda_kernelIifEEvRKNS_10TensorBaseES9_NS_15PhiloxCudaStateEEUliRiSB_SB_SB_RKfSD_SD_SD_E_iSC_mLi1ELi1ELi4ELi512ELi2EEEvNS0_6detail10TensorInfoIT0_T2_EENSG_IT1_SI_EESI_T_,"axG",@progbits,_ZN2at4cuda12_GLOBAL__N_121kernelPointwiseApply2IZNS_6native9templates4cuda28bernoulli_tensor_cuda_kernelIifEEvRKNS_10TensorBaseES9_NS_15PhiloxCudaStateEEUliRiSB_SB_SB_RKfSD_SD_SD_E_iSC_mLi1ELi1ELi4ELi512ELi2EEEvNS0_6detail10TensorInfoIT0_T2_EENSG_IT1_SI_EESI_T_,comdat
	.globl	_ZN2at4cuda12_GLOBAL__N_121kernelPointwiseApply2IZNS_6native9templates4cuda28bernoulli_tensor_cuda_kernelIifEEvRKNS_10TensorBaseES9_NS_15PhiloxCudaStateEEUliRiSB_SB_SB_RKfSD_SD_SD_E_iSC_mLi1ELi1ELi4ELi512ELi2EEEvNS0_6detail10TensorInfoIT0_T2_EENSG_IT1_SI_EESI_T_ ; -- Begin function _ZN2at4cuda12_GLOBAL__N_121kernelPointwiseApply2IZNS_6native9templates4cuda28bernoulli_tensor_cuda_kernelIifEEvRKNS_10TensorBaseES9_NS_15PhiloxCudaStateEEUliRiSB_SB_SB_RKfSD_SD_SD_E_iSC_mLi1ELi1ELi4ELi512ELi2EEEvNS0_6detail10TensorInfoIT0_T2_EENSG_IT1_SI_EESI_T_
	.p2align	8
	.type	_ZN2at4cuda12_GLOBAL__N_121kernelPointwiseApply2IZNS_6native9templates4cuda28bernoulli_tensor_cuda_kernelIifEEvRKNS_10TensorBaseES9_NS_15PhiloxCudaStateEEUliRiSB_SB_SB_RKfSD_SD_SD_E_iSC_mLi1ELi1ELi4ELi512ELi2EEEvNS0_6detail10TensorInfoIT0_T2_EENSG_IT1_SI_EESI_T_,@function
_ZN2at4cuda12_GLOBAL__N_121kernelPointwiseApply2IZNS_6native9templates4cuda28bernoulli_tensor_cuda_kernelIifEEvRKNS_10TensorBaseES9_NS_15PhiloxCudaStateEEUliRiSB_SB_SB_RKfSD_SD_SD_E_iSC_mLi1ELi1ELi4ELi512ELi2EEEvNS0_6detail10TensorInfoIT0_T2_EENSG_IT1_SI_EESI_T_: ; @_ZN2at4cuda12_GLOBAL__N_121kernelPointwiseApply2IZNS_6native9templates4cuda28bernoulli_tensor_cuda_kernelIifEEvRKNS_10TensorBaseES9_NS_15PhiloxCudaStateEEUliRiSB_SB_SB_RKfSD_SD_SD_E_iSC_mLi1ELi1ELi4ELi512ELi2EEEvNS0_6detail10TensorInfoIT0_T2_EENSG_IT1_SI_EESI_T_
; %bb.0:
	s_load_dword s2, s[4:5], 0x374
	s_load_dwordx8 s[12:19], s[4:5], 0x340
	s_add_u32 s0, s4, 0x368
	s_addc_u32 s1, s5, 0
	v_mov_b32_e32 v1, 0
	s_waitcnt lgkmcnt(0)
	s_and_b32 s2, s2, 0xffff
	s_mul_i32 s6, s6, s2
	v_add_u32_e32 v5, s6, v0
	v_lshlrev_b32_e32 v0, 2, v5
	v_cmp_gt_u64_e32 vcc, s[12:13], v[0:1]
	s_and_saveexec_b64 s[6:7], vcc
	s_cbranch_execz .LBB42_43
; %bb.1:
	s_load_dword s3, s[0:1], 0x0
	s_load_dword s22, s[4:5], 0x360
	s_load_dwordx2 s[10:11], s[4:5], 0x0
	s_load_dwordx2 s[6:7], s[4:5], 0xd0
	;; [unrolled: 1-line block ×4, first 2 shown]
	s_waitcnt lgkmcnt(0)
	s_mul_i32 s3, s3, s2
	s_bitcmp1_b32 s22, 0
	s_mov_b32 s33, 0xcd9e8d57
	v_pk_mov_b32 v[6:7], s[6:7], s[6:7] op_sel:[0,1]
	s_cselect_b64 s[22:23], -1, 0
	v_mad_u64_u32 v[2:3], s[0:1], v5, s33, 0
	s_lshl_b32 s60, s3, 2
	v_mad_u64_u32 v[6:7], s[0:1], s6, v0, v[6:7]
	s_mul_i32 s0, s7, s60
	s_mul_hi_u32 s1, s6, s60
	v_add_co_u32_e32 v16, vcc, 2, v0
	s_add_i32 s62, s1, s0
	v_addc_co_u32_e64 v17, s[0:1], 0, 0, vcc
	v_add_co_u32_e32 v18, vcc, 3, v0
	v_mul_lo_u32 v10, s7, v16
	v_mul_lo_u32 v11, s6, v17
	v_mad_u64_u32 v[8:9], s[0:1], s6, v16, 0
	v_addc_co_u32_e64 v19, s[0:1], 0, 0, vcc
	v_add3_u32 v9, v9, v11, v10
	v_mul_lo_u32 v12, s7, v18
	v_mul_lo_u32 v13, s6, v19
	v_mad_u64_u32 v[10:11], s[0:1], s6, v18, 0
	v_mul_lo_u32 v14, s7, v0
	v_add3_u32 v11, v11, v13, v12
	v_mad_u64_u32 v[12:13], s[0:1], s6, v0, 0
	v_add_u32_e32 v7, v14, v7
	v_add_u32_e32 v13, v13, v14
	v_pk_mov_b32 v[14:15], s[8:9], s[8:9] op_sel:[0,1]
	v_mad_u64_u32 v[14:15], s[0:1], s8, v0, v[14:15]
	s_mul_i32 s0, s9, s60
	s_mul_hi_u32 s1, s8, s60
	s_add_i32 s64, s1, s0
	v_mul_lo_u32 v20, s9, v16
	v_mul_lo_u32 v21, s8, v17
	v_mad_u64_u32 v[16:17], s[0:1], s8, v16, 0
	v_add3_u32 v17, v17, v21, v20
	v_mul_lo_u32 v20, s9, v18
	v_mul_lo_u32 v21, s8, v19
	v_mad_u64_u32 v[18:19], s[0:1], s8, v18, 0
	v_mul_lo_u32 v22, s9, v0
	v_add3_u32 v19, v19, v21, v20
	v_mad_u64_u32 v[20:21], s[0:1], s8, v0, 0
	v_mov_b32_e32 v4, v3
	s_mov_b32 s61, 0
	v_sub_u32_e32 v3, s12, v0
	s_mul_i32 s63, s6, s60
	v_add_u32_e32 v15, v22, v15
	s_mul_i32 s65, s8, s60
	v_add_u32_e32 v21, v21, v22
	s_mov_b64 s[26:27], 0
	s_mov_b32 s66, 0xd2511f53
	v_mov_b32_e32 v38, s21
	s_mov_b32 s21, 0xf1bbcdc8
	s_mov_b64 s[42:43], 0
	s_mov_b64 s[46:47], 0
                                        ; implicit-def: $sgpr28_sgpr29
                                        ; implicit-def: $sgpr30_sgpr31
                                        ; implicit-def: $sgpr34_sgpr35
                                        ; implicit-def: $sgpr24_sgpr25
                                        ; implicit-def: $sgpr36_sgpr37
                                        ; implicit-def: $sgpr38_sgpr39
                                        ; implicit-def: $sgpr40_sgpr41
                                        ; implicit-def: $sgpr44_sgpr45
	s_branch .LBB42_3
.LBB42_2:                               ;   in Loop: Header=BB42_3 Depth=1
	s_or_b64 exec, exec, s[2:3]
	s_and_b64 s[0:1], exec, s[0:1]
	s_or_b64 s[26:27], s[0:1], s[26:27]
	s_andn2_b64 s[0:1], s[24:25], exec
	s_and_b64 s[2:3], s[44:45], exec
	s_or_b64 s[24:25], s[0:1], s[2:3]
	s_andn2_b64 s[0:1], s[34:35], exec
	s_and_b64 s[2:3], s[40:41], exec
	;; [unrolled: 3-line block ×4, first 2 shown]
	s_or_b64 s[28:29], s[0:1], s[2:3]
	s_andn2_b64 exec, exec, s[26:27]
	s_cbranch_execz .LBB42_39
.LBB42_3:                               ; =>This Inner Loop Header: Depth=1
	v_mov_b32_e32 v28, s43
	v_add_co_u32_e32 v22, vcc, s42, v20
	v_addc_co_u32_e32 v23, vcc, v21, v28, vcc
	v_add_co_u32_e32 v24, vcc, s42, v14
	v_addc_co_u32_e32 v25, vcc, v15, v28, vcc
	v_add_co_u32_e32 v26, vcc, s42, v16
	v_cmp_lt_i32_e64 s[0:1], 0, v3
	v_addc_co_u32_e32 v27, vcc, v17, v28, vcc
	v_cndmask_b32_e64 v23, 0, v23, s[0:1]
	v_cndmask_b32_e64 v22, 0, v22, s[0:1]
	v_add_co_u32_e32 v30, vcc, s42, v18
	v_cmp_lt_i32_e64 s[2:3], 1, v3
	v_addc_co_u32_e32 v28, vcc, v19, v28, vcc
	v_lshlrev_b64 v[22:23], 2, v[22:23]
	v_cndmask_b32_e64 v25, 0, v25, s[2:3]
	v_cndmask_b32_e64 v24, 0, v24, s[2:3]
	v_add_co_u32_e32 v22, vcc, s20, v22
	v_cmp_lt_i32_e64 s[4:5], 2, v3
	v_addc_co_u32_e32 v23, vcc, v38, v23, vcc
	v_lshlrev_b64 v[24:25], 2, v[24:25]
	;; [unrolled: 6-line block ×3, first 2 shown]
	v_cndmask_b32_e64 v29, 0, v28, s[6:7]
	v_cndmask_b32_e64 v28, 0, v30, s[6:7]
	v_add_co_u32_e32 v26, vcc, s20, v26
	v_addc_co_u32_e32 v27, vcc, v38, v27, vcc
	v_lshlrev_b64 v[28:29], 2, v[28:29]
	v_add_co_u32_e32 v28, vcc, s20, v28
	v_addc_co_u32_e32 v29, vcc, v38, v29, vcc
	global_load_dword v39, v[22:23], off
	global_load_dword v40, v[24:25], off
	;; [unrolled: 1-line block ×4, first 2 shown]
	s_andn2_b64 vcc, exec, s[22:23]
	v_pk_mov_b32 v[22:23], s[16:17], s[16:17] op_sel:[0,1]
	v_pk_mov_b32 v[24:25], s[14:15], s[14:15] op_sel:[0,1]
	s_cbranch_vccnz .LBB42_5
; %bb.4:                                ;   in Loop: Header=BB42_3 Depth=1
	v_pk_mov_b32 v[22:23], s[16:17], s[16:17] op_sel:[0,1]
	flat_load_dwordx2 v[22:23], v[22:23]
	v_pk_mov_b32 v[24:25], s[14:15], s[14:15] op_sel:[0,1]
	flat_load_dwordx2 v[24:25], v[24:25]
	v_mov_b32_e32 v26, s19
	s_waitcnt vmcnt(0) lgkmcnt(0)
	v_add_co_u32_e32 v22, vcc, s18, v22
	v_addc_co_u32_e32 v23, vcc, v23, v26, vcc
.LBB42_5:                               ;   in Loop: Header=BB42_3 Depth=1
	v_alignbit_b32 v34, v23, v22, 2
	v_lshrrev_b32_e32 v35, 2, v23
	v_xor_b32_e32 v26, v4, v24
	v_and_b32_e32 v43, 3, v22
	v_mad_u64_u32 v[22:23], s[8:9], v34, s66, 0
	v_xor_b32_e32 v26, v26, v35
	v_xor_b32_e32 v23, v23, v25
	v_add_u32_e32 v48, 0xbb67ae85, v25
	v_mad_u64_u32 v[26:27], s[8:9], v26, s66, 0
	v_mad_u64_u32 v[28:29], s[8:9], v23, s33, 0
	v_xor_b32_e32 v27, v48, v27
	v_add_u32_e32 v47, 0x9e3779b9, v24
	v_xor_b32_e32 v23, v2, v29
	v_xor_b32_e32 v27, v27, v22
	v_xor_b32_e32 v23, v23, v47
	v_add_u32_e32 v49, 0x3c6ef372, v24
	v_mad_u64_u32 v[30:31], s[8:9], v27, s33, 0
	v_add_u32_e32 v50, 0x76cf5d0a, v25
	v_mad_u64_u32 v[22:23], s[8:9], v23, s66, 0
	v_xor_b32_e32 v27, v49, v31
	v_xor_b32_e32 v27, v27, v28
	v_xor_b32_e32 v23, v50, v23
	v_xor_b32_e32 v23, v23, v26
	v_add_u32_e32 v52, 0x32370b8f, v25
	v_mad_u64_u32 v[26:27], s[8:9], v27, s66, 0
	v_add_u32_e32 v51, 0xdaa66d2b, v24
	v_mad_u64_u32 v[28:29], s[8:9], v23, s33, 0
	v_xor_b32_e32 v27, v52, v27
	v_xor_b32_e32 v23, v51, v29
	v_xor_b32_e32 v27, v27, v22
	v_xor_b32_e32 v23, v23, v30
	v_add_u32_e32 v53, 0x78dde6e4, v24
	v_mad_u64_u32 v[30:31], s[8:9], v27, s33, 0
	v_add_u32_e32 v54, 0xed9eba14, v25
	v_mad_u64_u32 v[22:23], s[8:9], v23, s66, 0
	v_xor_b32_e32 v27, v53, v31
	v_xor_b32_e32 v27, v27, v28
	v_xor_b32_e32 v23, v54, v23
	v_xor_b32_e32 v23, v23, v26
	v_add_u32_e32 v56, 0xa9066899, v25
	v_mad_u64_u32 v[26:27], s[8:9], v27, s66, 0
	v_add_u32_e32 v55, 0x1715609d, v24
	v_mad_u64_u32 v[28:29], s[8:9], v23, s33, 0
	v_xor_b32_e32 v27, v56, v27
	v_xor_b32_e32 v23, v55, v29
	v_xor_b32_e32 v27, v27, v22
	v_xor_b32_e32 v23, v23, v30
	v_add_u32_e32 v57, 0xb54cda56, v24
	v_mad_u64_u32 v[30:31], s[8:9], v27, s33, 0
	v_add_u32_e32 v58, 0x646e171e, v25
	v_mad_u64_u32 v[22:23], s[8:9], v23, s66, 0
	v_xor_b32_e32 v27, v57, v31
	v_xor_b32_e32 v27, v27, v28
	v_xor_b32_e32 v23, v58, v23
	;; [unrolled: 1-line block ×3, first 2 shown]
	v_add_u32_e32 v60, 0x1fd5c5a3, v25
	v_mad_u64_u32 v[26:27], s[8:9], v27, s66, 0
	v_xor_b32_e32 v27, v60, v27
	v_xor_b32_e32 v22, v27, v22
	v_add_u32_e32 v59, 0x5384540f, v24
	v_mad_u64_u32 v[32:33], s[8:9], v23, s33, 0
	v_add_co_u32_e32 v45, vcc, s21, v24
	v_mad_u64_u32 v[28:29], s[8:9], v22, s33, 0
	v_xor_b32_e32 v23, v59, v33
	v_xor_b32_e32 v22, v45, v29
	;; [unrolled: 1-line block ×4, first 2 shown]
	v_mad_u64_u32 v[30:31], s[8:9], v23, s66, 0
	v_mad_u64_u32 v[22:23], s[8:9], v22, s66, 0
	v_add_u32_e32 v46, 0x96a522ad, v25
	v_xor_b32_e32 v23, v23, v30
	v_xor_b32_e32 v44, v46, v23
	v_add_co_u32_e32 v23, vcc, 1, v34
	v_cndmask_b32_e64 v30, 0, 1, vcc
	v_addc_co_u32_e32 v36, vcc, 0, v35, vcc
	v_cmp_eq_u32_e32 vcc, 0, v36
	v_cndmask_b32_e32 v30, 0, v30, vcc
	v_add_u32_e32 v34, v30, v5
	v_cmp_eq_u32_e32 vcc, 0, v34
	v_mad_u64_u32 v[32:33], s[8:9], v23, s66, 0
	v_mad_u64_u32 v[34:35], s[8:9], v34, s33, 0
	v_add_u32_e32 v29, 0x8ff34781, v24
	v_cndmask_b32_e32 v30, 0, v30, vcc
	v_xor_b32_e32 v23, v35, v24
	v_xor_b32_e32 v24, v33, v25
	;; [unrolled: 1-line block ×4, first 2 shown]
	v_mad_u64_u32 v[36:37], s[8:9], v30, s33, 0
	v_add_u32_e32 v27, 0xdb3d7428, v25
	v_mad_u64_u32 v[24:25], s[8:9], v23, s66, 0
	v_xor_b32_e32 v23, v47, v37
	v_xor_b32_e32 v23, v23, v34
	v_xor_b32_e32 v25, v48, v25
	v_xor_b32_e32 v25, v25, v32
	v_mad_u64_u32 v[32:33], s[8:9], v23, s66, 0
	v_mad_u64_u32 v[34:35], s[8:9], v25, s33, 0
	v_xor_b32_e32 v25, v50, v33
	v_xor_b32_e32 v23, v49, v35
	v_xor_b32_e32 v30, v25, v24
	v_xor_b32_e32 v23, v23, v36
	v_mad_u64_u32 v[36:37], s[8:9], v30, s33, 0
	;; [unrolled: 6-line block ×7, first 2 shown]
	v_xor_b32_e32 v23, v27, v35
	v_xor_b32_e32 v23, v23, v24
	v_mad_u64_u32 v[36:37], s[8:9], v25, s33, 0
	v_mad_u64_u32 v[24:25], s[8:9], v23, s33, 0
	v_xor_b32_e32 v23, v25, v36
	v_xor_b32_e32 v23, v29, v23
	v_cmp_lt_i32_e32 vcc, 1, v43
                                        ; implicit-def: $vgpr33
	s_and_saveexec_b64 s[8:9], vcc
	s_xor_b64 s[8:9], exec, s[8:9]
	s_cbranch_execz .LBB42_11
; %bb.6:                                ;   in Loop: Header=BB42_3 Depth=1
	v_cmp_lt_i32_e32 vcc, 2, v43
                                        ; implicit-def: $vgpr33
	s_and_saveexec_b64 s[48:49], vcc
	s_xor_b64 s[48:49], exec, s[48:49]
; %bb.7:                                ;   in Loop: Header=BB42_3 Depth=1
	v_xor_b32_e32 v25, v45, v37
	v_xor_b32_e32 v25, v25, v32
	v_mul_hi_u32 v25, v25, s66
	v_xor_b32_e32 v25, v25, v34
	v_xor_b32_e32 v33, v46, v25
                                        ; implicit-def: $vgpr44
; %bb.8:                                ;   in Loop: Header=BB42_3 Depth=1
	s_andn2_saveexec_b64 s[48:49], s[48:49]
; %bb.9:                                ;   in Loop: Header=BB42_3 Depth=1
	v_mov_b32_e32 v33, v24
	v_mov_b32_e32 v24, v23
	;; [unrolled: 1-line block ×4, first 2 shown]
; %bb.10:                               ;   in Loop: Header=BB42_3 Depth=1
	s_or_b64 exec, exec, s[48:49]
                                        ; implicit-def: $vgpr26_vgpr27
                                        ; implicit-def: $vgpr28_vgpr29
                                        ; implicit-def: $vgpr43
                                        ; implicit-def: $vgpr44
                                        ; implicit-def: $vgpr30_vgpr31
                                        ; implicit-def: $vgpr27
                                        ; implicit-def: $vgpr29
.LBB42_11:                              ;   in Loop: Header=BB42_3 Depth=1
	s_andn2_saveexec_b64 s[8:9], s[8:9]
	s_cbranch_execz .LBB42_15
; %bb.12:                               ;   in Loop: Header=BB42_3 Depth=1
	v_xor_b32_e32 v24, v27, v31
	v_xor_b32_e32 v24, v24, v26
	v_mad_u64_u32 v[26:27], s[48:49], v24, s33, 0
	v_xor_b32_e32 v24, v27, v28
	v_xor_b32_e32 v25, v29, v24
	v_cmp_eq_u32_e32 vcc, 1, v43
	v_mov_b32_e32 v33, v22
	v_mov_b32_e32 v24, v44
	;; [unrolled: 1-line block ×3, first 2 shown]
	s_and_saveexec_b64 s[48:49], vcc
; %bb.13:                               ;   in Loop: Header=BB42_3 Depth=1
	v_mov_b32_e32 v33, v23
	v_mov_b32_e32 v24, v22
	;; [unrolled: 1-line block ×4, first 2 shown]
; %bb.14:                               ;   in Loop: Header=BB42_3 Depth=1
	s_or_b64 exec, exec, s[48:49]
	v_mov_b32_e32 v22, v25
	v_mov_b32_e32 v23, v27
.LBB42_15:                              ;   in Loop: Header=BB42_3 Depth=1
	s_or_b64 exec, exec, s[8:9]
	v_min_i32_e32 v25, 4, v3
	v_cmp_lt_i32_e32 vcc, 2, v25
	s_mov_b64 s[48:49], 0
	s_mov_b64 s[58:59], 0
                                        ; implicit-def: $sgpr8_sgpr9
                                        ; implicit-def: $sgpr50_sgpr51
                                        ; implicit-def: $sgpr52_sgpr53
	s_and_saveexec_b64 s[54:55], vcc
	s_xor_b64 s[54:55], exec, s[54:55]
	s_cbranch_execz .LBB42_25
; %bb.16:                               ;   in Loop: Header=BB42_3 Depth=1
	v_cmp_lt_i32_e32 vcc, 3, v25
	s_mov_b64 s[52:53], -1
                                        ; implicit-def: $sgpr8_sgpr9
                                        ; implicit-def: $sgpr56_sgpr57
	s_and_saveexec_b64 s[50:51], vcc
	s_cbranch_execz .LBB42_20
; %bb.17:                               ;   in Loop: Header=BB42_3 Depth=1
	s_waitcnt vmcnt(0)
	v_cmp_le_f32_e32 vcc, 0, v42
	v_cmp_ge_f32_e64 s[8:9], 1.0, v42
	s_and_b64 s[58:59], vcc, s[8:9]
	s_mov_b64 s[8:9], 0
	s_mov_b64 s[52:53], 0
	s_and_saveexec_b64 s[56:57], s[58:59]
	s_cbranch_execz .LBB42_19
; %bb.18:                               ;   in Loop: Header=BB42_3 Depth=1
	v_cvt_f32_u32_e32 v26, v33
	v_mov_b32_e32 v28, 0x2f800000
	v_mov_b32_e32 v27, s47
	;; [unrolled: 1-line block ×3, first 2 shown]
	v_fmac_f32_e32 v28, 0x2f800000, v26
	v_add_co_u32_e32 v26, vcc, s46, v10
	v_addc_co_u32_e32 v27, vcc, v11, v27, vcc
	v_cndmask_b32_e64 v27, 0, v27, s[6:7]
	v_cndmask_b32_e64 v26, 0, v26, s[6:7]
	v_lshlrev_b64 v[26:27], 2, v[26:27]
	v_add_co_u32_e32 v26, vcc, s10, v26
	v_addc_co_u32_e32 v27, vcc, v29, v27, vcc
	v_cmp_le_f32_e32 vcc, v28, v42
	s_mov_b64 s[52:53], exec
	v_cndmask_b32_e64 v28, 0, 1, vcc
	global_store_dword v[26:27], v28, off
.LBB42_19:                              ;   in Loop: Header=BB42_3 Depth=1
	s_or_b64 exec, exec, s[56:57]
	s_mov_b64 s[56:57], -1
	s_orn2_b64 s[52:53], s[52:53], exec
.LBB42_20:                              ;   in Loop: Header=BB42_3 Depth=1
	s_or_b64 exec, exec, s[50:51]
	s_mov_b64 s[6:7], 0
	s_mov_b64 s[58:59], s[8:9]
	s_and_saveexec_b64 s[50:51], s[52:53]
	s_cbranch_execz .LBB42_24
; %bb.21:                               ;   in Loop: Header=BB42_3 Depth=1
	s_waitcnt vmcnt(1)
	v_cmp_le_f32_e32 vcc, 0, v41
	v_cmp_ge_f32_e64 s[6:7], 1.0, v41
	s_and_b64 s[52:53], vcc, s[6:7]
	s_mov_b64 s[6:7], 0
	s_and_saveexec_b64 s[58:59], s[52:53]
	s_xor_b64 s[52:53], exec, s[58:59]
	s_cbranch_execz .LBB42_23
; %bb.22:                               ;   in Loop: Header=BB42_3 Depth=1
	v_cvt_f32_u32_e32 v24, v24
	v_mov_b32_e32 v28, 0x2f800000
	v_mov_b32_e32 v26, s47
	s_mov_b64 s[6:7], exec
	v_fmac_f32_e32 v28, 0x2f800000, v24
	v_add_co_u32_e32 v24, vcc, s46, v8
	v_addc_co_u32_e32 v26, vcc, v9, v26, vcc
	v_cndmask_b32_e64 v27, 0, v26, s[4:5]
	v_cndmask_b32_e64 v26, 0, v24, s[4:5]
	v_lshlrev_b64 v[26:27], 2, v[26:27]
	v_mov_b32_e32 v24, s11
	v_add_co_u32_e32 v26, vcc, s10, v26
	v_addc_co_u32_e32 v27, vcc, v24, v27, vcc
	v_cmp_le_f32_e32 vcc, v28, v41
	v_cndmask_b32_e64 v24, 0, 1, vcc
	global_store_dword v[26:27], v24, off
.LBB42_23:                              ;   in Loop: Header=BB42_3 Depth=1
	s_or_b64 exec, exec, s[52:53]
	s_andn2_b64 s[58:59], s[8:9], exec
	s_or_b64 s[8:9], s[8:9], exec
	s_andn2_b64 s[56:57], s[56:57], exec
	s_and_b64 s[6:7], s[6:7], exec
.LBB42_24:                              ;   in Loop: Header=BB42_3 Depth=1
	s_or_b64 exec, exec, s[50:51]
	s_and_b64 s[52:53], s[58:59], exec
	s_and_b64 s[50:51], s[8:9], exec
	;; [unrolled: 1-line block ×4, first 2 shown]
.LBB42_25:                              ;   in Loop: Header=BB42_3 Depth=1
	s_andn2_saveexec_b64 s[4:5], s[54:55]
; %bb.26:                               ;   in Loop: Header=BB42_3 Depth=1
	v_cmp_lt_i32_e32 vcc, 1, v25
	s_andn2_b64 s[6:7], s[58:59], exec
	s_and_b64 s[54:55], vcc, exec
	s_mov_b64 s[48:49], exec
	s_andn2_b64 s[52:53], s[52:53], exec
	s_andn2_b64 s[50:51], s[50:51], exec
	;; [unrolled: 1-line block ×3, first 2 shown]
	s_or_b64 s[58:59], s[6:7], s[54:55]
; %bb.27:                               ;   in Loop: Header=BB42_3 Depth=1
	s_or_b64 exec, exec, s[4:5]
	s_mov_b64 s[6:7], 0
	s_mov_b64 s[54:55], 0
	;; [unrolled: 1-line block ×3, first 2 shown]
	s_and_saveexec_b64 s[56:57], s[58:59]
	s_cbranch_execnz .LBB42_30
; %bb.28:                               ;   in Loop: Header=BB42_3 Depth=1
	s_or_b64 exec, exec, s[56:57]
	s_and_saveexec_b64 s[2:3], s[48:49]
	s_cbranch_execnz .LBB42_33
.LBB42_29:                              ;   in Loop: Header=BB42_3 Depth=1
	s_or_b64 exec, exec, s[2:3]
	s_and_saveexec_b64 s[48:49], s[54:55]
	s_cbranch_execnz .LBB42_34
	s_branch .LBB42_37
.LBB42_30:                              ;   in Loop: Header=BB42_3 Depth=1
	s_waitcnt vmcnt(2)
	v_cmp_le_f32_e32 vcc, 0, v40
	v_cmp_ge_f32_e64 s[4:5], 1.0, v40
	s_and_b64 s[4:5], vcc, s[4:5]
	s_and_saveexec_b64 s[58:59], s[4:5]
	s_xor_b64 s[4:5], exec, s[58:59]
	s_cbranch_execz .LBB42_32
; %bb.31:                               ;   in Loop: Header=BB42_3 Depth=1
	v_cvt_f32_u32_e32 v23, v23
	v_mov_b32_e32 v24, 0x2f800000
	v_mov_b32_e32 v26, s47
	s_mov_b64 s[54:55], exec
	v_fmac_f32_e32 v24, 0x2f800000, v23
	v_add_co_u32_e32 v23, vcc, s46, v6
	v_addc_co_u32_e32 v26, vcc, v7, v26, vcc
	v_cndmask_b32_e64 v27, 0, v26, s[2:3]
	v_cndmask_b32_e64 v26, 0, v23, s[2:3]
	v_lshlrev_b64 v[26:27], 2, v[26:27]
	v_mov_b32_e32 v23, s11
	v_add_co_u32_e32 v26, vcc, s10, v26
	v_addc_co_u32_e32 v27, vcc, v23, v27, vcc
	v_cmp_le_f32_e32 vcc, v24, v40
	v_cndmask_b32_e64 v23, 0, 1, vcc
	global_store_dword v[26:27], v23, off
.LBB42_32:                              ;   in Loop: Header=BB42_3 Depth=1
	s_or_b64 exec, exec, s[4:5]
	s_andn2_b64 s[4:5], s[52:53], exec
	s_or_b64 s[52:53], s[52:53], exec
	s_andn2_b64 s[50:51], s[50:51], exec
	s_andn2_b64 s[8:9], s[8:9], exec
	s_and_b64 s[54:55], s[54:55], exec
	s_andn2_b64 s[48:49], s[48:49], exec
	s_or_b64 exec, exec, s[56:57]
	s_and_saveexec_b64 s[2:3], s[48:49]
	s_cbranch_execz .LBB42_29
.LBB42_33:                              ;   in Loop: Header=BB42_3 Depth=1
	v_cmp_eq_u32_e32 vcc, 1, v25
	s_andn2_b64 s[48:49], s[54:55], exec
	s_and_b64 s[54:55], vcc, exec
	s_mov_b64 s[6:7], exec
	s_andn2_b64 s[4:5], s[4:5], exec
	s_andn2_b64 s[52:53], s[52:53], exec
	;; [unrolled: 1-line block ×4, first 2 shown]
	s_or_b64 s[54:55], s[48:49], s[54:55]
	s_or_b64 exec, exec, s[2:3]
	s_and_saveexec_b64 s[48:49], s[54:55]
	s_cbranch_execz .LBB42_37
.LBB42_34:                              ;   in Loop: Header=BB42_3 Depth=1
	s_waitcnt vmcnt(3)
	v_cmp_le_f32_e32 vcc, 0, v39
	v_cmp_ge_f32_e64 s[2:3], 1.0, v39
	s_and_b64 s[56:57], vcc, s[2:3]
	s_mov_b64 s[2:3], 0
	s_and_saveexec_b64 s[54:55], s[56:57]
	s_cbranch_execz .LBB42_36
; %bb.35:                               ;   in Loop: Header=BB42_3 Depth=1
	v_cvt_f32_u32_e32 v22, v22
	v_mov_b32_e32 v24, 0x2f800000
	v_mov_b32_e32 v23, s47
	;; [unrolled: 1-line block ×3, first 2 shown]
	v_fmac_f32_e32 v24, 0x2f800000, v22
	v_add_co_u32_e32 v22, vcc, s46, v12
	v_addc_co_u32_e32 v23, vcc, v13, v23, vcc
	v_cndmask_b32_e64 v23, 0, v23, s[0:1]
	v_cndmask_b32_e64 v22, 0, v22, s[0:1]
	v_lshlrev_b64 v[22:23], 2, v[22:23]
	v_add_co_u32_e32 v22, vcc, s10, v22
	v_addc_co_u32_e32 v23, vcc, v25, v23, vcc
	v_cmp_le_f32_e32 vcc, v24, v39
	s_mov_b64 s[2:3], exec
	v_cndmask_b32_e64 v24, 0, 1, vcc
	global_store_dword v[22:23], v24, off
.LBB42_36:                              ;   in Loop: Header=BB42_3 Depth=1
	s_or_b64 exec, exec, s[54:55]
	s_andn2_b64 s[0:1], s[6:7], exec
	s_and_b64 s[2:3], s[2:3], exec
	s_or_b64 s[4:5], s[4:5], exec
	s_andn2_b64 s[52:53], s[52:53], exec
	s_andn2_b64 s[50:51], s[50:51], exec
	;; [unrolled: 1-line block ×3, first 2 shown]
	s_or_b64 s[6:7], s[0:1], s[2:3]
.LBB42_37:                              ;   in Loop: Header=BB42_3 Depth=1
	s_or_b64 exec, exec, s[48:49]
	s_andn2_b64 s[2:3], s[44:45], exec
	s_and_b64 s[4:5], s[4:5], exec
	s_or_b64 s[44:45], s[2:3], s[4:5]
	s_andn2_b64 s[2:3], s[40:41], exec
	s_and_b64 s[4:5], s[52:53], exec
	s_or_b64 s[40:41], s[2:3], s[4:5]
	;; [unrolled: 3-line block ×3, first 2 shown]
	s_andn2_b64 s[2:3], s[36:37], exec
	s_and_b64 s[4:5], s[8:9], exec
	s_mov_b64 s[0:1], -1
	s_or_b64 s[36:37], s[2:3], s[4:5]
	s_and_saveexec_b64 s[2:3], s[6:7]
	s_cbranch_execz .LBB42_2
; %bb.38:                               ;   in Loop: Header=BB42_3 Depth=1
	v_mov_b32_e32 v22, s61
	v_add_co_u32_e32 v0, vcc, s60, v0
	s_add_u32 s46, s46, s63
	v_addc_co_u32_e32 v1, vcc, v1, v22, vcc
	s_addc_u32 s47, s47, s62
	s_add_u32 s42, s42, s65
	v_cmp_le_u64_e32 vcc, s[12:13], v[0:1]
	v_subrev_u32_e32 v3, s60, v3
	s_addc_u32 s43, s43, s64
	s_andn2_b64 s[44:45], s[44:45], exec
	s_andn2_b64 s[40:41], s[40:41], exec
	;; [unrolled: 1-line block ×4, first 2 shown]
	s_orn2_b64 s[0:1], vcc, exec
	s_branch .LBB42_2
.LBB42_39:
	s_or_b64 exec, exec, s[26:27]
	s_xor_b64 s[6:7], s[34:35], -1
	s_xor_b64 s[8:9], s[30:31], -1
	s_xor_b64 s[0:1], s[28:29], -1
	s_mov_b64 s[2:3], 0
	s_and_saveexec_b64 s[4:5], s[0:1]
	s_xor_b64 s[0:1], exec, s[4:5]
	s_cbranch_execnz .LBB42_44
; %bb.40:
	s_andn2_saveexec_b64 s[0:1], s[0:1]
	s_cbranch_execnz .LBB42_52
.LBB42_41:
	s_or_b64 exec, exec, s[0:1]
	s_and_b64 exec, exec, s[2:3]
.LBB42_42:
	; divergent unreachable
.LBB42_43:
	s_endpgm
.LBB42_44:
	s_mov_b64 s[4:5], 0
	s_and_saveexec_b64 s[2:3], s[8:9]
	s_xor_b64 s[2:3], exec, s[2:3]
	s_cbranch_execz .LBB42_50
; %bb.45:
	s_and_saveexec_b64 s[8:9], s[6:7]
	s_xor_b64 s[6:7], exec, s[8:9]
	s_cbranch_execz .LBB42_48
; %bb.46:
	s_and_saveexec_b64 s[8:9], s[24:25]
	s_xor_b64 s[8:9], exec, s[8:9]
	s_cbranch_execnz .LBB42_55
.LBB42_47:
	s_or_b64 exec, exec, s[8:9]
	s_and_b64 s[4:5], s[4:5], exec
.LBB42_48:
	s_andn2_saveexec_b64 s[6:7], s[6:7]
	s_cbranch_execnz .LBB42_54
.LBB42_49:
	s_or_b64 exec, exec, s[6:7]
	s_and_b64 s[4:5], s[4:5], exec
.LBB42_50:
	s_andn2_saveexec_b64 s[2:3], s[2:3]
	s_cbranch_execnz .LBB42_53
.LBB42_51:
	s_or_b64 exec, exec, s[2:3]
	s_and_b64 s[2:3], s[4:5], exec
	s_andn2_saveexec_b64 s[0:1], s[0:1]
	s_cbranch_execz .LBB42_41
.LBB42_52:
	s_or_b64 s[2:3], s[2:3], exec
	s_trap 2
	s_or_b64 exec, exec, s[0:1]
	s_and_b64 exec, exec, s[2:3]
	s_cbranch_execnz .LBB42_42
	s_branch .LBB42_43
.LBB42_53:
	s_or_b64 s[4:5], s[4:5], exec
	s_trap 2
	s_branch .LBB42_51
.LBB42_54:
	s_trap 2
	s_or_b64 s[4:5], s[4:5], exec
	s_branch .LBB42_49
.LBB42_55:
	s_mov_b64 s[4:5], exec
	s_trap 2
	s_branch .LBB42_47
	.section	.rodata,"a",@progbits
	.p2align	6, 0x0
	.amdhsa_kernel _ZN2at4cuda12_GLOBAL__N_121kernelPointwiseApply2IZNS_6native9templates4cuda28bernoulli_tensor_cuda_kernelIifEEvRKNS_10TensorBaseES9_NS_15PhiloxCudaStateEEUliRiSB_SB_SB_RKfSD_SD_SD_E_iSC_mLi1ELi1ELi4ELi512ELi2EEEvNS0_6detail10TensorInfoIT0_T2_EENSG_IT1_SI_EESI_T_
		.amdhsa_group_segment_fixed_size 0
		.amdhsa_private_segment_fixed_size 0
		.amdhsa_kernarg_size 1128
		.amdhsa_user_sgpr_count 6
		.amdhsa_user_sgpr_private_segment_buffer 1
		.amdhsa_user_sgpr_dispatch_ptr 0
		.amdhsa_user_sgpr_queue_ptr 0
		.amdhsa_user_sgpr_kernarg_segment_ptr 1
		.amdhsa_user_sgpr_dispatch_id 0
		.amdhsa_user_sgpr_flat_scratch_init 0
		.amdhsa_user_sgpr_kernarg_preload_length 0
		.amdhsa_user_sgpr_kernarg_preload_offset 0
		.amdhsa_user_sgpr_private_segment_size 0
		.amdhsa_uses_dynamic_stack 0
		.amdhsa_system_sgpr_private_segment_wavefront_offset 0
		.amdhsa_system_sgpr_workgroup_id_x 1
		.amdhsa_system_sgpr_workgroup_id_y 0
		.amdhsa_system_sgpr_workgroup_id_z 0
		.amdhsa_system_sgpr_workgroup_info 0
		.amdhsa_system_vgpr_workitem_id 0
		.amdhsa_next_free_vgpr 61
		.amdhsa_next_free_sgpr 67
		.amdhsa_accum_offset 64
		.amdhsa_reserve_vcc 1
		.amdhsa_reserve_flat_scratch 0
		.amdhsa_float_round_mode_32 0
		.amdhsa_float_round_mode_16_64 0
		.amdhsa_float_denorm_mode_32 3
		.amdhsa_float_denorm_mode_16_64 3
		.amdhsa_dx10_clamp 1
		.amdhsa_ieee_mode 1
		.amdhsa_fp16_overflow 0
		.amdhsa_tg_split 0
		.amdhsa_exception_fp_ieee_invalid_op 0
		.amdhsa_exception_fp_denorm_src 0
		.amdhsa_exception_fp_ieee_div_zero 0
		.amdhsa_exception_fp_ieee_overflow 0
		.amdhsa_exception_fp_ieee_underflow 0
		.amdhsa_exception_fp_ieee_inexact 0
		.amdhsa_exception_int_div_zero 0
	.end_amdhsa_kernel
	.section	.text._ZN2at4cuda12_GLOBAL__N_121kernelPointwiseApply2IZNS_6native9templates4cuda28bernoulli_tensor_cuda_kernelIifEEvRKNS_10TensorBaseES9_NS_15PhiloxCudaStateEEUliRiSB_SB_SB_RKfSD_SD_SD_E_iSC_mLi1ELi1ELi4ELi512ELi2EEEvNS0_6detail10TensorInfoIT0_T2_EENSG_IT1_SI_EESI_T_,"axG",@progbits,_ZN2at4cuda12_GLOBAL__N_121kernelPointwiseApply2IZNS_6native9templates4cuda28bernoulli_tensor_cuda_kernelIifEEvRKNS_10TensorBaseES9_NS_15PhiloxCudaStateEEUliRiSB_SB_SB_RKfSD_SD_SD_E_iSC_mLi1ELi1ELi4ELi512ELi2EEEvNS0_6detail10TensorInfoIT0_T2_EENSG_IT1_SI_EESI_T_,comdat
.Lfunc_end42:
	.size	_ZN2at4cuda12_GLOBAL__N_121kernelPointwiseApply2IZNS_6native9templates4cuda28bernoulli_tensor_cuda_kernelIifEEvRKNS_10TensorBaseES9_NS_15PhiloxCudaStateEEUliRiSB_SB_SB_RKfSD_SD_SD_E_iSC_mLi1ELi1ELi4ELi512ELi2EEEvNS0_6detail10TensorInfoIT0_T2_EENSG_IT1_SI_EESI_T_, .Lfunc_end42-_ZN2at4cuda12_GLOBAL__N_121kernelPointwiseApply2IZNS_6native9templates4cuda28bernoulli_tensor_cuda_kernelIifEEvRKNS_10TensorBaseES9_NS_15PhiloxCudaStateEEUliRiSB_SB_SB_RKfSD_SD_SD_E_iSC_mLi1ELi1ELi4ELi512ELi2EEEvNS0_6detail10TensorInfoIT0_T2_EENSG_IT1_SI_EESI_T_
                                        ; -- End function
	.section	.AMDGPU.csdata,"",@progbits
; Kernel info:
; codeLenInByte = 2916
; NumSgprs: 71
; NumVgprs: 61
; NumAgprs: 0
; TotalNumVgprs: 61
; ScratchSize: 0
; MemoryBound: 0
; FloatMode: 240
; IeeeMode: 1
; LDSByteSize: 0 bytes/workgroup (compile time only)
; SGPRBlocks: 8
; VGPRBlocks: 7
; NumSGPRsForWavesPerEU: 71
; NumVGPRsForWavesPerEU: 61
; AccumOffset: 64
; Occupancy: 8
; WaveLimiterHint : 1
; COMPUTE_PGM_RSRC2:SCRATCH_EN: 0
; COMPUTE_PGM_RSRC2:USER_SGPR: 6
; COMPUTE_PGM_RSRC2:TRAP_HANDLER: 0
; COMPUTE_PGM_RSRC2:TGID_X_EN: 1
; COMPUTE_PGM_RSRC2:TGID_Y_EN: 0
; COMPUTE_PGM_RSRC2:TGID_Z_EN: 0
; COMPUTE_PGM_RSRC2:TIDIG_COMP_CNT: 0
; COMPUTE_PGM_RSRC3_GFX90A:ACCUM_OFFSET: 15
; COMPUTE_PGM_RSRC3_GFX90A:TG_SPLIT: 0
	.section	.text._ZN2at4cuda12_GLOBAL__N_121kernelPointwiseApply2IZNS_6native9templates4cuda28bernoulli_tensor_cuda_kernelIifEEvRKNS_10TensorBaseES9_NS_15PhiloxCudaStateEEUliRiSB_SB_SB_RKfSD_SD_SD_E_iSC_mLin1ELin1ELi4ELi512ELi2EEEvNS0_6detail10TensorInfoIT0_T2_EENSG_IT1_SI_EESI_T_,"axG",@progbits,_ZN2at4cuda12_GLOBAL__N_121kernelPointwiseApply2IZNS_6native9templates4cuda28bernoulli_tensor_cuda_kernelIifEEvRKNS_10TensorBaseES9_NS_15PhiloxCudaStateEEUliRiSB_SB_SB_RKfSD_SD_SD_E_iSC_mLin1ELin1ELi4ELi512ELi2EEEvNS0_6detail10TensorInfoIT0_T2_EENSG_IT1_SI_EESI_T_,comdat
	.globl	_ZN2at4cuda12_GLOBAL__N_121kernelPointwiseApply2IZNS_6native9templates4cuda28bernoulli_tensor_cuda_kernelIifEEvRKNS_10TensorBaseES9_NS_15PhiloxCudaStateEEUliRiSB_SB_SB_RKfSD_SD_SD_E_iSC_mLin1ELin1ELi4ELi512ELi2EEEvNS0_6detail10TensorInfoIT0_T2_EENSG_IT1_SI_EESI_T_ ; -- Begin function _ZN2at4cuda12_GLOBAL__N_121kernelPointwiseApply2IZNS_6native9templates4cuda28bernoulli_tensor_cuda_kernelIifEEvRKNS_10TensorBaseES9_NS_15PhiloxCudaStateEEUliRiSB_SB_SB_RKfSD_SD_SD_E_iSC_mLin1ELin1ELi4ELi512ELi2EEEvNS0_6detail10TensorInfoIT0_T2_EENSG_IT1_SI_EESI_T_
	.p2align	8
	.type	_ZN2at4cuda12_GLOBAL__N_121kernelPointwiseApply2IZNS_6native9templates4cuda28bernoulli_tensor_cuda_kernelIifEEvRKNS_10TensorBaseES9_NS_15PhiloxCudaStateEEUliRiSB_SB_SB_RKfSD_SD_SD_E_iSC_mLin1ELin1ELi4ELi512ELi2EEEvNS0_6detail10TensorInfoIT0_T2_EENSG_IT1_SI_EESI_T_,@function
_ZN2at4cuda12_GLOBAL__N_121kernelPointwiseApply2IZNS_6native9templates4cuda28bernoulli_tensor_cuda_kernelIifEEvRKNS_10TensorBaseES9_NS_15PhiloxCudaStateEEUliRiSB_SB_SB_RKfSD_SD_SD_E_iSC_mLin1ELin1ELi4ELi512ELi2EEEvNS0_6detail10TensorInfoIT0_T2_EENSG_IT1_SI_EESI_T_: ; @_ZN2at4cuda12_GLOBAL__N_121kernelPointwiseApply2IZNS_6native9templates4cuda28bernoulli_tensor_cuda_kernelIifEEvRKNS_10TensorBaseES9_NS_15PhiloxCudaStateEEUliRiSB_SB_SB_RKfSD_SD_SD_E_iSC_mLin1ELin1ELi4ELi512ELi2EEEvNS0_6detail10TensorInfoIT0_T2_EENSG_IT1_SI_EESI_T_
; %bb.0:
	s_load_dword s2, s[4:5], 0x374
	s_load_dwordx8 s[8:15], s[4:5], 0x340
	s_add_u32 s0, s4, 0x368
	s_addc_u32 s1, s5, 0
	v_mov_b32_e32 v2, 0
	s_waitcnt lgkmcnt(0)
	s_and_b32 s2, s2, 0xffff
	s_mul_i32 s6, s6, s2
	v_add_u32_e32 v7, s6, v0
	v_lshlrev_b32_e32 v0, 2, v7
	v_mov_b32_e32 v1, v2
	v_cmp_gt_u64_e32 vcc, s[8:9], v[0:1]
	s_and_saveexec_b64 s[6:7], vcc
	s_cbranch_execz .LBB43_114
; %bb.1:
	s_load_dword s0, s[0:1], 0x0
	s_add_u32 s6, s4, 0x1a0
	s_load_dword s7, s[4:5], 0x198
	s_load_dwordx2 s[20:21], s[4:5], 0x270
	s_addc_u32 s28, s5, 0
	s_waitcnt lgkmcnt(0)
	s_mul_i32 s29, s0, s2
	s_load_dword s2, s[4:5], 0x360
	s_load_dword s34, s[4:5], 0x338
	s_load_dwordx2 s[16:17], s[4:5], 0x1a0
	s_load_dwordx2 s[18:19], s[4:5], 0xd0
	;; [unrolled: 1-line block ×3, first 2 shown]
	s_cmp_gt_i32 s7, 1
	s_cselect_b64 s[0:1], -1, 0
	s_waitcnt lgkmcnt(0)
	s_cmp_gt_i32 s34, 1
	s_mov_b32 s33, 0xcd9e8d57
	s_cselect_b64 s[22:23], -1, 0
	s_bitcmp1_b32 s2, 0
	v_mad_u64_u32 v[4:5], s[2:3], v7, s33, 0
	s_mov_b32 s63, 0
	s_cselect_b64 s[26:27], -1, 0
	s_add_i32 s2, s7, -1
	s_mov_b32 s3, s63
	s_lshl_b32 s62, s29, 2
	s_add_i32 s64, s7, 1
	s_lshl_b64 s[2:3], s[2:3], 3
	s_add_u32 s2, s2, s4
	s_addc_u32 s3, s3, s5
	s_add_u32 s30, s2, 8
	s_addc_u32 s31, s3, 0
	s_add_i32 s2, s34, -1
	s_mov_b32 s3, s63
	s_add_i32 s65, s34, 1
	s_lshl_b64 s[2:3], s[2:3], 3
	s_add_u32 s2, s2, s6
	s_addc_u32 s3, s3, s28
	s_add_u32 s34, s2, 8
	v_mov_b32_e32 v6, v5
	s_addc_u32 s35, s3, 0
	s_mov_b64 s[36:37], 0
	v_cndmask_b32_e64 v5, 0, 1, s[0:1]
	s_mov_b32 s66, 0xd2511f53
	s_mov_b32 s67, 0xf1bbcdc8
                                        ; implicit-def: $sgpr38_sgpr39
                                        ; implicit-def: $sgpr40_sgpr41
                                        ; implicit-def: $sgpr42_sgpr43
                                        ; implicit-def: $sgpr28_sgpr29
                                        ; implicit-def: $sgpr44_sgpr45
                                        ; implicit-def: $sgpr46_sgpr47
                                        ; implicit-def: $sgpr48_sgpr49
                                        ; implicit-def: $sgpr50_sgpr51
	s_branch .LBB43_3
.LBB43_2:                               ;   in Loop: Header=BB43_3 Depth=1
	s_or_b64 exec, exec, s[2:3]
	s_and_b64 s[0:1], exec, s[0:1]
	s_or_b64 s[36:37], s[0:1], s[36:37]
	s_andn2_b64 s[0:1], s[28:29], exec
	s_and_b64 s[2:3], s[50:51], exec
	s_or_b64 s[28:29], s[0:1], s[2:3]
	s_andn2_b64 s[0:1], s[42:43], exec
	s_and_b64 s[2:3], s[48:49], exec
	;; [unrolled: 3-line block ×4, first 2 shown]
	s_or_b64 s[38:39], s[0:1], s[2:3]
	s_andn2_b64 exec, exec, s[36:37]
	s_cbranch_execz .LBB43_110
.LBB43_3:                               ; =>This Loop Header: Depth=1
                                        ;     Child Loop BB43_5 Depth 2
                                        ;     Child Loop BB43_14 Depth 2
	;; [unrolled: 1-line block ×8, first 2 shown]
	v_sub_u32_e32 v32, s8, v0
	v_cmp_lt_i32_e64 s[4:5], 0, v32
	v_pk_mov_b32 v[8:9], 0, 0
	v_cmp_ne_u32_e64 s[0:1], 1, v5
	s_and_saveexec_b64 s[6:7], s[4:5]
	s_cbranch_execz .LBB43_12
; %bb.4:                                ;   in Loop: Header=BB43_3 Depth=1
	s_and_b64 vcc, exec, s[0:1]
	v_pk_mov_b32 v[8:9], 0, 0
	s_mov_b64 s[52:53], s[30:31]
	s_mov_b32 s58, s64
	v_pk_mov_b32 v[10:11], v[0:1], v[0:1] op_sel:[0,1]
	v_pk_mov_b32 v[12:13], v[0:1], v[0:1] op_sel:[0,1]
	s_cbranch_vccnz .LBB43_11
.LBB43_5:                               ;   Parent Loop BB43_3 Depth=1
                                        ; =>  This Inner Loop Header: Depth=2
	s_load_dwordx2 s[54:55], s[52:53], 0x0
                                        ; implicit-def: $vgpr12_vgpr13
	s_waitcnt vmcnt(3) lgkmcnt(0)
	v_or_b32_e32 v3, s55, v11
	v_cmp_ne_u64_e32 vcc, 0, v[2:3]
	s_and_saveexec_b64 s[2:3], vcc
	s_xor_b64 s[56:57], exec, s[2:3]
	s_cbranch_execz .LBB43_7
; %bb.6:                                ;   in Loop: Header=BB43_5 Depth=2
	v_cvt_f32_u32_e32 v3, s54
	v_cvt_f32_u32_e32 v12, s55
	s_sub_u32 s2, 0, s54
	s_subb_u32 s3, 0, s55
	v_mac_f32_e32 v3, 0x4f800000, v12
	v_rcp_f32_e32 v3, v3
	v_mul_f32_e32 v3, 0x5f7ffffc, v3
	v_mul_f32_e32 v12, 0x2f800000, v3
	v_trunc_f32_e32 v12, v12
	v_mac_f32_e32 v3, 0xcf800000, v12
	v_cvt_u32_f32_e32 v12, v12
	v_cvt_u32_f32_e32 v3, v3
	v_mul_lo_u32 v13, s2, v12
	v_mul_hi_u32 v15, s2, v3
	v_mul_lo_u32 v14, s3, v3
	v_add_u32_e32 v13, v15, v13
	v_mul_lo_u32 v16, s2, v3
	v_add_u32_e32 v13, v13, v14
	v_mul_hi_u32 v15, v3, v16
	v_mul_lo_u32 v17, v3, v13
	v_mul_hi_u32 v14, v3, v13
	v_add_co_u32_e32 v15, vcc, v15, v17
	v_addc_co_u32_e32 v14, vcc, 0, v14, vcc
	v_mul_hi_u32 v18, v12, v16
	v_mul_lo_u32 v16, v12, v16
	v_add_co_u32_e32 v15, vcc, v15, v16
	v_mul_hi_u32 v17, v12, v13
	v_addc_co_u32_e32 v14, vcc, v14, v18, vcc
	v_addc_co_u32_e32 v15, vcc, 0, v17, vcc
	v_mul_lo_u32 v13, v12, v13
	v_add_co_u32_e32 v13, vcc, v14, v13
	v_addc_co_u32_e32 v14, vcc, 0, v15, vcc
	v_add_co_u32_e32 v3, vcc, v3, v13
	v_addc_co_u32_e32 v12, vcc, v12, v14, vcc
	v_mul_lo_u32 v13, s2, v12
	v_mul_hi_u32 v14, s2, v3
	v_add_u32_e32 v13, v14, v13
	v_mul_lo_u32 v14, s3, v3
	v_add_u32_e32 v13, v13, v14
	v_mul_lo_u32 v15, s2, v3
	v_mul_hi_u32 v16, v12, v15
	v_mul_lo_u32 v17, v12, v15
	v_mul_lo_u32 v19, v3, v13
	v_mul_hi_u32 v15, v3, v15
	v_mul_hi_u32 v18, v3, v13
	v_add_co_u32_e32 v15, vcc, v15, v19
	v_addc_co_u32_e32 v18, vcc, 0, v18, vcc
	v_add_co_u32_e32 v15, vcc, v15, v17
	v_mul_hi_u32 v14, v12, v13
	v_addc_co_u32_e32 v15, vcc, v18, v16, vcc
	v_addc_co_u32_e32 v14, vcc, 0, v14, vcc
	v_mul_lo_u32 v13, v12, v13
	v_add_co_u32_e32 v13, vcc, v15, v13
	v_addc_co_u32_e32 v14, vcc, 0, v14, vcc
	v_add_co_u32_e32 v3, vcc, v3, v13
	v_addc_co_u32_e32 v14, vcc, v12, v14, vcc
	v_mad_u64_u32 v[12:13], s[2:3], v10, v14, 0
	v_mul_hi_u32 v15, v10, v3
	v_add_co_u32_e32 v16, vcc, v15, v12
	v_addc_co_u32_e32 v17, vcc, 0, v13, vcc
	v_mad_u64_u32 v[12:13], s[2:3], v11, v14, 0
	v_mad_u64_u32 v[14:15], s[2:3], v11, v3, 0
	v_add_co_u32_e32 v3, vcc, v16, v14
	v_addc_co_u32_e32 v3, vcc, v17, v15, vcc
	v_addc_co_u32_e32 v13, vcc, 0, v13, vcc
	v_add_co_u32_e32 v3, vcc, v3, v12
	v_addc_co_u32_e32 v14, vcc, 0, v13, vcc
	v_mul_lo_u32 v15, s55, v3
	v_mul_lo_u32 v16, s54, v14
	v_mad_u64_u32 v[12:13], s[2:3], s54, v3, 0
	v_add3_u32 v13, v13, v16, v15
	v_sub_u32_e32 v15, v11, v13
	v_mov_b32_e32 v16, s55
	v_sub_co_u32_e32 v12, vcc, v10, v12
	v_subb_co_u32_e64 v15, s[2:3], v15, v16, vcc
	v_subrev_co_u32_e64 v16, s[2:3], s54, v12
	v_subbrev_co_u32_e64 v15, s[2:3], 0, v15, s[2:3]
	v_cmp_le_u32_e64 s[2:3], s55, v15
	v_cndmask_b32_e64 v17, 0, -1, s[2:3]
	v_cmp_le_u32_e64 s[2:3], s54, v16
	v_cndmask_b32_e64 v16, 0, -1, s[2:3]
	v_cmp_eq_u32_e64 s[2:3], s55, v15
	v_cndmask_b32_e64 v15, v17, v16, s[2:3]
	v_add_co_u32_e64 v16, s[2:3], 2, v3
	v_addc_co_u32_e64 v17, s[2:3], 0, v14, s[2:3]
	v_add_co_u32_e64 v18, s[2:3], 1, v3
	v_addc_co_u32_e64 v19, s[2:3], 0, v14, s[2:3]
	v_subb_co_u32_e32 v13, vcc, v11, v13, vcc
	v_cmp_ne_u32_e64 s[2:3], 0, v15
	v_cmp_le_u32_e32 vcc, s55, v13
	v_cndmask_b32_e64 v15, v19, v17, s[2:3]
	v_cndmask_b32_e64 v17, 0, -1, vcc
	v_cmp_le_u32_e32 vcc, s54, v12
	v_cndmask_b32_e64 v12, 0, -1, vcc
	v_cmp_eq_u32_e32 vcc, s55, v13
	v_cndmask_b32_e32 v12, v17, v12, vcc
	v_cmp_ne_u32_e32 vcc, 0, v12
	v_cndmask_b32_e64 v12, v18, v16, s[2:3]
	v_cndmask_b32_e32 v13, v14, v15, vcc
	v_cndmask_b32_e32 v12, v3, v12, vcc
.LBB43_7:                               ;   in Loop: Header=BB43_5 Depth=2
	s_andn2_saveexec_b64 s[2:3], s[56:57]
	s_cbranch_execz .LBB43_9
; %bb.8:                                ;   in Loop: Header=BB43_5 Depth=2
	v_cvt_f32_u32_e32 v3, s54
	s_sub_i32 s56, 0, s54
	v_rcp_iflag_f32_e32 v3, v3
	v_mul_f32_e32 v3, 0x4f7ffffe, v3
	v_cvt_u32_f32_e32 v3, v3
	v_mul_lo_u32 v12, s56, v3
	v_mul_hi_u32 v12, v3, v12
	v_add_u32_e32 v3, v3, v12
	v_mul_hi_u32 v3, v10, v3
	v_mul_lo_u32 v12, v3, s54
	v_sub_u32_e32 v12, v10, v12
	v_add_u32_e32 v13, 1, v3
	v_subrev_u32_e32 v14, s54, v12
	v_cmp_le_u32_e32 vcc, s54, v12
	v_cndmask_b32_e32 v12, v12, v14, vcc
	v_cndmask_b32_e32 v3, v3, v13, vcc
	v_add_u32_e32 v13, 1, v3
	v_cmp_le_u32_e32 vcc, s54, v12
	v_cndmask_b32_e32 v12, v3, v13, vcc
	v_mov_b32_e32 v13, v2
.LBB43_9:                               ;   in Loop: Header=BB43_5 Depth=2
	s_or_b64 exec, exec, s[2:3]
	v_mad_u64_u32 v[14:15], s[2:3], v12, s54, 0
	s_load_dwordx2 s[2:3], s[52:53], 0xc8
	v_mul_lo_u32 v3, v13, s54
	v_mul_lo_u32 v16, v12, s55
	v_add3_u32 v3, v15, v16, v3
	v_sub_co_u32_e32 v10, vcc, v10, v14
	s_add_i32 s58, s58, -1
	v_subb_co_u32_e32 v3, vcc, v11, v3, vcc
	s_add_u32 s52, s52, -8
	s_waitcnt lgkmcnt(0)
	v_mul_lo_u32 v3, s2, v3
	v_mul_lo_u32 v11, s3, v10
	v_mad_u64_u32 v[8:9], s[2:3], s2, v10, v[8:9]
	s_addc_u32 s53, s53, -1
	s_cmp_gt_u32 s58, 2
	v_add3_u32 v9, v11, v9, v3
	s_cbranch_scc0 .LBB43_11
; %bb.10:                               ;   in Loop: Header=BB43_5 Depth=2
	v_pk_mov_b32 v[10:11], v[12:13], v[12:13] op_sel:[0,1]
	s_branch .LBB43_5
.LBB43_11:                              ;   in Loop: Header=BB43_3 Depth=1
	v_mad_u64_u32 v[8:9], s[2:3], s18, v12, v[8:9]
	s_waitcnt vmcnt(3)
	v_mul_lo_u32 v3, s18, v13
	v_mul_lo_u32 v10, s19, v12
	v_add3_u32 v9, v10, v9, v3
.LBB43_12:                              ;   in Loop: Header=BB43_3 Depth=1
	s_or_b64 exec, exec, s[6:7]
	s_waitcnt vmcnt(3)
	v_cndmask_b32_e64 v3, 0, 1, s[22:23]
	v_pk_mov_b32 v[12:13], 0, 0
	v_cmp_ne_u32_e64 s[2:3], 1, v3
	s_and_saveexec_b64 s[6:7], s[4:5]
	s_cbranch_execz .LBB43_21
; %bb.13:                               ;   in Loop: Header=BB43_3 Depth=1
	s_and_b64 vcc, exec, s[2:3]
	v_pk_mov_b32 v[10:11], 0, 0
	s_mov_b64 s[52:53], s[34:35]
	s_mov_b32 s58, s65
	v_pk_mov_b32 v[12:13], v[0:1], v[0:1] op_sel:[0,1]
	v_pk_mov_b32 v[14:15], v[0:1], v[0:1] op_sel:[0,1]
	s_cbranch_vccnz .LBB43_20
.LBB43_14:                              ;   Parent Loop BB43_3 Depth=1
                                        ; =>  This Inner Loop Header: Depth=2
	s_load_dwordx2 s[54:55], s[52:53], 0x0
                                        ; implicit-def: $vgpr14_vgpr15
	s_waitcnt lgkmcnt(0)
	v_or_b32_e32 v3, s55, v13
	v_cmp_ne_u64_e32 vcc, 0, v[2:3]
	s_and_saveexec_b64 s[4:5], vcc
	s_xor_b64 s[56:57], exec, s[4:5]
	s_cbranch_execz .LBB43_16
; %bb.15:                               ;   in Loop: Header=BB43_14 Depth=2
	v_cvt_f32_u32_e32 v3, s54
	v_cvt_f32_u32_e32 v14, s55
	s_sub_u32 s4, 0, s54
	s_subb_u32 s5, 0, s55
	v_mac_f32_e32 v3, 0x4f800000, v14
	v_rcp_f32_e32 v3, v3
	v_mul_f32_e32 v3, 0x5f7ffffc, v3
	v_mul_f32_e32 v14, 0x2f800000, v3
	v_trunc_f32_e32 v14, v14
	v_mac_f32_e32 v3, 0xcf800000, v14
	v_cvt_u32_f32_e32 v14, v14
	v_cvt_u32_f32_e32 v3, v3
	v_mul_lo_u32 v15, s4, v14
	v_mul_hi_u32 v17, s4, v3
	v_mul_lo_u32 v16, s5, v3
	v_add_u32_e32 v15, v17, v15
	v_mul_lo_u32 v18, s4, v3
	v_add_u32_e32 v15, v15, v16
	v_mul_hi_u32 v17, v3, v18
	v_mul_lo_u32 v19, v3, v15
	v_mul_hi_u32 v16, v3, v15
	v_add_co_u32_e32 v17, vcc, v17, v19
	v_addc_co_u32_e32 v16, vcc, 0, v16, vcc
	v_mul_hi_u32 v20, v14, v18
	v_mul_lo_u32 v18, v14, v18
	v_add_co_u32_e32 v17, vcc, v17, v18
	v_mul_hi_u32 v19, v14, v15
	v_addc_co_u32_e32 v16, vcc, v16, v20, vcc
	v_addc_co_u32_e32 v17, vcc, 0, v19, vcc
	v_mul_lo_u32 v15, v14, v15
	v_add_co_u32_e32 v15, vcc, v16, v15
	v_addc_co_u32_e32 v16, vcc, 0, v17, vcc
	v_add_co_u32_e32 v3, vcc, v3, v15
	v_addc_co_u32_e32 v14, vcc, v14, v16, vcc
	v_mul_lo_u32 v15, s4, v14
	v_mul_hi_u32 v16, s4, v3
	v_add_u32_e32 v15, v16, v15
	v_mul_lo_u32 v16, s5, v3
	v_add_u32_e32 v15, v15, v16
	v_mul_lo_u32 v17, s4, v3
	v_mul_hi_u32 v18, v14, v17
	v_mul_lo_u32 v19, v14, v17
	v_mul_lo_u32 v21, v3, v15
	v_mul_hi_u32 v17, v3, v17
	v_mul_hi_u32 v20, v3, v15
	v_add_co_u32_e32 v17, vcc, v17, v21
	v_addc_co_u32_e32 v20, vcc, 0, v20, vcc
	v_add_co_u32_e32 v17, vcc, v17, v19
	v_mul_hi_u32 v16, v14, v15
	v_addc_co_u32_e32 v17, vcc, v20, v18, vcc
	v_addc_co_u32_e32 v16, vcc, 0, v16, vcc
	v_mul_lo_u32 v15, v14, v15
	v_add_co_u32_e32 v15, vcc, v17, v15
	v_addc_co_u32_e32 v16, vcc, 0, v16, vcc
	v_add_co_u32_e32 v3, vcc, v3, v15
	v_addc_co_u32_e32 v16, vcc, v14, v16, vcc
	v_mad_u64_u32 v[14:15], s[4:5], v12, v16, 0
	v_mul_hi_u32 v17, v12, v3
	v_add_co_u32_e32 v18, vcc, v17, v14
	v_addc_co_u32_e32 v19, vcc, 0, v15, vcc
	v_mad_u64_u32 v[14:15], s[4:5], v13, v16, 0
	v_mad_u64_u32 v[16:17], s[4:5], v13, v3, 0
	v_add_co_u32_e32 v3, vcc, v18, v16
	v_addc_co_u32_e32 v3, vcc, v19, v17, vcc
	v_addc_co_u32_e32 v15, vcc, 0, v15, vcc
	v_add_co_u32_e32 v3, vcc, v3, v14
	v_addc_co_u32_e32 v16, vcc, 0, v15, vcc
	v_mul_lo_u32 v17, s55, v3
	v_mul_lo_u32 v18, s54, v16
	v_mad_u64_u32 v[14:15], s[4:5], s54, v3, 0
	v_add3_u32 v15, v15, v18, v17
	v_sub_u32_e32 v17, v13, v15
	v_mov_b32_e32 v18, s55
	v_sub_co_u32_e32 v14, vcc, v12, v14
	v_subb_co_u32_e64 v17, s[4:5], v17, v18, vcc
	v_subrev_co_u32_e64 v18, s[4:5], s54, v14
	v_subbrev_co_u32_e64 v17, s[4:5], 0, v17, s[4:5]
	v_cmp_le_u32_e64 s[4:5], s55, v17
	v_cndmask_b32_e64 v19, 0, -1, s[4:5]
	v_cmp_le_u32_e64 s[4:5], s54, v18
	v_cndmask_b32_e64 v18, 0, -1, s[4:5]
	v_cmp_eq_u32_e64 s[4:5], s55, v17
	v_cndmask_b32_e64 v17, v19, v18, s[4:5]
	v_add_co_u32_e64 v18, s[4:5], 2, v3
	v_addc_co_u32_e64 v19, s[4:5], 0, v16, s[4:5]
	v_add_co_u32_e64 v20, s[4:5], 1, v3
	v_addc_co_u32_e64 v21, s[4:5], 0, v16, s[4:5]
	v_subb_co_u32_e32 v15, vcc, v13, v15, vcc
	v_cmp_ne_u32_e64 s[4:5], 0, v17
	v_cmp_le_u32_e32 vcc, s55, v15
	v_cndmask_b32_e64 v17, v21, v19, s[4:5]
	v_cndmask_b32_e64 v19, 0, -1, vcc
	v_cmp_le_u32_e32 vcc, s54, v14
	v_cndmask_b32_e64 v14, 0, -1, vcc
	v_cmp_eq_u32_e32 vcc, s55, v15
	v_cndmask_b32_e32 v14, v19, v14, vcc
	v_cmp_ne_u32_e32 vcc, 0, v14
	v_cndmask_b32_e64 v14, v20, v18, s[4:5]
	v_cndmask_b32_e32 v15, v16, v17, vcc
	v_cndmask_b32_e32 v14, v3, v14, vcc
.LBB43_16:                              ;   in Loop: Header=BB43_14 Depth=2
	s_andn2_saveexec_b64 s[4:5], s[56:57]
	s_cbranch_execz .LBB43_18
; %bb.17:                               ;   in Loop: Header=BB43_14 Depth=2
	v_cvt_f32_u32_e32 v3, s54
	s_sub_i32 s56, 0, s54
	v_rcp_iflag_f32_e32 v3, v3
	v_mul_f32_e32 v3, 0x4f7ffffe, v3
	v_cvt_u32_f32_e32 v3, v3
	v_mul_lo_u32 v14, s56, v3
	v_mul_hi_u32 v14, v3, v14
	v_add_u32_e32 v3, v3, v14
	v_mul_hi_u32 v3, v12, v3
	v_mul_lo_u32 v14, v3, s54
	v_sub_u32_e32 v14, v12, v14
	v_add_u32_e32 v15, 1, v3
	v_subrev_u32_e32 v16, s54, v14
	v_cmp_le_u32_e32 vcc, s54, v14
	v_cndmask_b32_e32 v14, v14, v16, vcc
	v_cndmask_b32_e32 v3, v3, v15, vcc
	v_add_u32_e32 v15, 1, v3
	v_cmp_le_u32_e32 vcc, s54, v14
	v_cndmask_b32_e32 v14, v3, v15, vcc
	v_mov_b32_e32 v15, v2
.LBB43_18:                              ;   in Loop: Header=BB43_14 Depth=2
	s_or_b64 exec, exec, s[4:5]
	v_mad_u64_u32 v[16:17], s[4:5], v14, s54, 0
	s_load_dwordx2 s[4:5], s[52:53], 0xc8
	v_mul_lo_u32 v3, v15, s54
	v_mul_lo_u32 v18, v14, s55
	v_add3_u32 v3, v17, v18, v3
	v_sub_co_u32_e32 v12, vcc, v12, v16
	s_add_i32 s58, s58, -1
	v_subb_co_u32_e32 v3, vcc, v13, v3, vcc
	s_add_u32 s52, s52, -8
	s_waitcnt lgkmcnt(0)
	v_mul_lo_u32 v3, s4, v3
	v_mul_lo_u32 v13, s5, v12
	v_mad_u64_u32 v[10:11], s[4:5], s4, v12, v[10:11]
	s_addc_u32 s53, s53, -1
	s_cmp_gt_u32 s58, 2
	v_add3_u32 v11, v13, v11, v3
	s_cbranch_scc0 .LBB43_20
; %bb.19:                               ;   in Loop: Header=BB43_14 Depth=2
	v_pk_mov_b32 v[12:13], v[14:15], v[14:15] op_sel:[0,1]
	s_branch .LBB43_14
.LBB43_20:                              ;   in Loop: Header=BB43_3 Depth=1
	v_mad_u64_u32 v[12:13], s[4:5], s20, v14, v[10:11]
	v_mul_lo_u32 v3, s20, v15
	v_mul_lo_u32 v10, s21, v14
	v_add3_u32 v13, v10, v13, v3
.LBB43_21:                              ;   in Loop: Header=BB43_3 Depth=1
	s_or_b64 exec, exec, s[6:7]
	v_or_b32_e32 v14, 1, v0
	v_mov_b32_e32 v15, v1
	v_cmp_lt_i32_e64 s[4:5], 1, v32
	v_pk_mov_b32 v[10:11], 0, 0
	s_and_saveexec_b64 s[52:53], s[4:5]
	s_cbranch_execz .LBB43_30
; %bb.22:                               ;   in Loop: Header=BB43_3 Depth=1
	s_and_b64 vcc, exec, s[0:1]
	v_pk_mov_b32 v[10:11], 0, 0
	s_mov_b64 s[54:55], s[30:31]
	s_mov_b32 s60, s64
	v_pk_mov_b32 v[16:17], v[14:15], v[14:15] op_sel:[0,1]
	v_pk_mov_b32 v[18:19], v[14:15], v[14:15] op_sel:[0,1]
	s_cbranch_vccnz .LBB43_29
.LBB43_23:                              ;   Parent Loop BB43_3 Depth=1
                                        ; =>  This Inner Loop Header: Depth=2
	s_load_dwordx2 s[56:57], s[54:55], 0x0
                                        ; implicit-def: $vgpr18_vgpr19
	s_waitcnt lgkmcnt(0)
	v_or_b32_e32 v3, s57, v17
	v_cmp_ne_u64_e32 vcc, 0, v[2:3]
	s_and_saveexec_b64 s[6:7], vcc
	s_xor_b64 s[58:59], exec, s[6:7]
	s_cbranch_execz .LBB43_25
; %bb.24:                               ;   in Loop: Header=BB43_23 Depth=2
	v_cvt_f32_u32_e32 v3, s56
	v_cvt_f32_u32_e32 v18, s57
	s_sub_u32 s6, 0, s56
	s_subb_u32 s7, 0, s57
	v_mac_f32_e32 v3, 0x4f800000, v18
	v_rcp_f32_e32 v3, v3
	v_mul_f32_e32 v3, 0x5f7ffffc, v3
	v_mul_f32_e32 v18, 0x2f800000, v3
	v_trunc_f32_e32 v18, v18
	v_mac_f32_e32 v3, 0xcf800000, v18
	v_cvt_u32_f32_e32 v18, v18
	v_cvt_u32_f32_e32 v3, v3
	v_mul_lo_u32 v19, s6, v18
	v_mul_hi_u32 v21, s6, v3
	v_mul_lo_u32 v20, s7, v3
	v_add_u32_e32 v19, v21, v19
	v_mul_lo_u32 v22, s6, v3
	v_add_u32_e32 v19, v19, v20
	v_mul_hi_u32 v21, v3, v22
	v_mul_lo_u32 v23, v3, v19
	v_mul_hi_u32 v20, v3, v19
	v_add_co_u32_e32 v21, vcc, v21, v23
	v_addc_co_u32_e32 v20, vcc, 0, v20, vcc
	v_mul_hi_u32 v24, v18, v22
	v_mul_lo_u32 v22, v18, v22
	v_add_co_u32_e32 v21, vcc, v21, v22
	v_mul_hi_u32 v23, v18, v19
	v_addc_co_u32_e32 v20, vcc, v20, v24, vcc
	v_addc_co_u32_e32 v21, vcc, 0, v23, vcc
	v_mul_lo_u32 v19, v18, v19
	v_add_co_u32_e32 v19, vcc, v20, v19
	v_addc_co_u32_e32 v20, vcc, 0, v21, vcc
	v_add_co_u32_e32 v3, vcc, v3, v19
	v_addc_co_u32_e32 v18, vcc, v18, v20, vcc
	v_mul_lo_u32 v19, s6, v18
	v_mul_hi_u32 v20, s6, v3
	v_add_u32_e32 v19, v20, v19
	v_mul_lo_u32 v20, s7, v3
	v_add_u32_e32 v19, v19, v20
	v_mul_lo_u32 v21, s6, v3
	v_mul_hi_u32 v22, v18, v21
	v_mul_lo_u32 v23, v18, v21
	v_mul_lo_u32 v25, v3, v19
	v_mul_hi_u32 v21, v3, v21
	v_mul_hi_u32 v24, v3, v19
	v_add_co_u32_e32 v21, vcc, v21, v25
	v_addc_co_u32_e32 v24, vcc, 0, v24, vcc
	v_add_co_u32_e32 v21, vcc, v21, v23
	v_mul_hi_u32 v20, v18, v19
	v_addc_co_u32_e32 v21, vcc, v24, v22, vcc
	v_addc_co_u32_e32 v20, vcc, 0, v20, vcc
	v_mul_lo_u32 v19, v18, v19
	v_add_co_u32_e32 v19, vcc, v21, v19
	v_addc_co_u32_e32 v20, vcc, 0, v20, vcc
	v_add_co_u32_e32 v3, vcc, v3, v19
	v_addc_co_u32_e32 v20, vcc, v18, v20, vcc
	v_mad_u64_u32 v[18:19], s[6:7], v16, v20, 0
	v_mul_hi_u32 v21, v16, v3
	v_add_co_u32_e32 v22, vcc, v21, v18
	v_addc_co_u32_e32 v23, vcc, 0, v19, vcc
	v_mad_u64_u32 v[18:19], s[6:7], v17, v20, 0
	v_mad_u64_u32 v[20:21], s[6:7], v17, v3, 0
	v_add_co_u32_e32 v3, vcc, v22, v20
	v_addc_co_u32_e32 v3, vcc, v23, v21, vcc
	v_addc_co_u32_e32 v19, vcc, 0, v19, vcc
	v_add_co_u32_e32 v3, vcc, v3, v18
	v_addc_co_u32_e32 v20, vcc, 0, v19, vcc
	v_mul_lo_u32 v21, s57, v3
	v_mul_lo_u32 v22, s56, v20
	v_mad_u64_u32 v[18:19], s[6:7], s56, v3, 0
	v_add3_u32 v19, v19, v22, v21
	v_sub_u32_e32 v21, v17, v19
	v_mov_b32_e32 v22, s57
	v_sub_co_u32_e32 v18, vcc, v16, v18
	v_subb_co_u32_e64 v21, s[6:7], v21, v22, vcc
	v_subrev_co_u32_e64 v22, s[6:7], s56, v18
	v_subbrev_co_u32_e64 v21, s[6:7], 0, v21, s[6:7]
	v_cmp_le_u32_e64 s[6:7], s57, v21
	v_cndmask_b32_e64 v23, 0, -1, s[6:7]
	v_cmp_le_u32_e64 s[6:7], s56, v22
	v_cndmask_b32_e64 v22, 0, -1, s[6:7]
	v_cmp_eq_u32_e64 s[6:7], s57, v21
	v_cndmask_b32_e64 v21, v23, v22, s[6:7]
	v_add_co_u32_e64 v22, s[6:7], 2, v3
	v_addc_co_u32_e64 v23, s[6:7], 0, v20, s[6:7]
	v_add_co_u32_e64 v24, s[6:7], 1, v3
	v_addc_co_u32_e64 v25, s[6:7], 0, v20, s[6:7]
	v_subb_co_u32_e32 v19, vcc, v17, v19, vcc
	v_cmp_ne_u32_e64 s[6:7], 0, v21
	v_cmp_le_u32_e32 vcc, s57, v19
	v_cndmask_b32_e64 v21, v25, v23, s[6:7]
	v_cndmask_b32_e64 v23, 0, -1, vcc
	v_cmp_le_u32_e32 vcc, s56, v18
	v_cndmask_b32_e64 v18, 0, -1, vcc
	v_cmp_eq_u32_e32 vcc, s57, v19
	v_cndmask_b32_e32 v18, v23, v18, vcc
	v_cmp_ne_u32_e32 vcc, 0, v18
	v_cndmask_b32_e64 v18, v24, v22, s[6:7]
	v_cndmask_b32_e32 v19, v20, v21, vcc
	v_cndmask_b32_e32 v18, v3, v18, vcc
.LBB43_25:                              ;   in Loop: Header=BB43_23 Depth=2
	s_andn2_saveexec_b64 s[6:7], s[58:59]
	s_cbranch_execz .LBB43_27
; %bb.26:                               ;   in Loop: Header=BB43_23 Depth=2
	v_cvt_f32_u32_e32 v3, s56
	s_sub_i32 s58, 0, s56
	v_rcp_iflag_f32_e32 v3, v3
	v_mul_f32_e32 v3, 0x4f7ffffe, v3
	v_cvt_u32_f32_e32 v3, v3
	v_mul_lo_u32 v18, s58, v3
	v_mul_hi_u32 v18, v3, v18
	v_add_u32_e32 v3, v3, v18
	v_mul_hi_u32 v3, v16, v3
	v_mul_lo_u32 v18, v3, s56
	v_sub_u32_e32 v18, v16, v18
	v_add_u32_e32 v19, 1, v3
	v_subrev_u32_e32 v20, s56, v18
	v_cmp_le_u32_e32 vcc, s56, v18
	v_cndmask_b32_e32 v18, v18, v20, vcc
	v_cndmask_b32_e32 v3, v3, v19, vcc
	v_add_u32_e32 v19, 1, v3
	v_cmp_le_u32_e32 vcc, s56, v18
	v_cndmask_b32_e32 v18, v3, v19, vcc
	v_mov_b32_e32 v19, v2
.LBB43_27:                              ;   in Loop: Header=BB43_23 Depth=2
	s_or_b64 exec, exec, s[6:7]
	v_mad_u64_u32 v[20:21], s[6:7], v18, s56, 0
	s_load_dwordx2 s[6:7], s[54:55], 0xc8
	v_mul_lo_u32 v3, v19, s56
	v_mul_lo_u32 v22, v18, s57
	v_add3_u32 v3, v21, v22, v3
	v_sub_co_u32_e32 v16, vcc, v16, v20
	s_add_i32 s60, s60, -1
	v_subb_co_u32_e32 v3, vcc, v17, v3, vcc
	s_add_u32 s54, s54, -8
	s_waitcnt lgkmcnt(0)
	v_mul_lo_u32 v3, s6, v3
	v_mul_lo_u32 v17, s7, v16
	v_mad_u64_u32 v[10:11], s[6:7], s6, v16, v[10:11]
	s_addc_u32 s55, s55, -1
	s_cmp_gt_u32 s60, 2
	v_add3_u32 v11, v17, v11, v3
	s_cbranch_scc0 .LBB43_29
; %bb.28:                               ;   in Loop: Header=BB43_23 Depth=2
	v_pk_mov_b32 v[16:17], v[18:19], v[18:19] op_sel:[0,1]
	s_branch .LBB43_23
.LBB43_29:                              ;   in Loop: Header=BB43_3 Depth=1
	v_mad_u64_u32 v[10:11], s[6:7], s18, v18, v[10:11]
	v_mul_lo_u32 v3, s18, v19
	v_mul_lo_u32 v16, s19, v18
	v_add3_u32 v11, v16, v11, v3
.LBB43_30:                              ;   in Loop: Header=BB43_3 Depth=1
	s_or_b64 exec, exec, s[52:53]
	v_pk_mov_b32 v[16:17], 0, 0
	s_and_saveexec_b64 s[6:7], s[4:5]
	s_cbranch_execz .LBB43_33
; %bb.31:                               ;   in Loop: Header=BB43_3 Depth=1
	s_and_b64 vcc, exec, s[2:3]
	v_pk_mov_b32 v[16:17], 0, 0
	s_mov_b64 s[52:53], s[34:35]
	s_mov_b32 s58, s65
	s_cbranch_vccz .LBB43_42
.LBB43_32:                              ;   in Loop: Header=BB43_3 Depth=1
	v_mad_u64_u32 v[16:17], s[4:5], s20, v14, v[16:17]
	v_mul_lo_u32 v3, s20, v15
	v_mul_lo_u32 v14, s21, v14
	v_add3_u32 v17, v14, v17, v3
.LBB43_33:                              ;   in Loop: Header=BB43_3 Depth=1
	s_or_b64 exec, exec, s[6:7]
	v_or_b32_e32 v18, 2, v0
	v_mov_b32_e32 v19, v1
	v_cmp_lt_i32_e64 s[4:5], 2, v32
	v_pk_mov_b32 v[14:15], 0, 0
	s_and_saveexec_b64 s[52:53], s[4:5]
	s_cbranch_execz .LBB43_47
; %bb.34:                               ;   in Loop: Header=BB43_3 Depth=1
	s_and_b64 vcc, exec, s[0:1]
	v_pk_mov_b32 v[14:15], 0, 0
	s_mov_b64 s[54:55], s[30:31]
	s_mov_b32 s60, s64
	v_pk_mov_b32 v[20:21], v[18:19], v[18:19] op_sel:[0,1]
	v_pk_mov_b32 v[22:23], v[18:19], v[18:19] op_sel:[0,1]
	s_cbranch_vccnz .LBB43_46
.LBB43_35:                              ;   Parent Loop BB43_3 Depth=1
                                        ; =>  This Inner Loop Header: Depth=2
	s_load_dwordx2 s[56:57], s[54:55], 0x0
                                        ; implicit-def: $vgpr22_vgpr23
	s_waitcnt lgkmcnt(0)
	v_or_b32_e32 v3, s57, v21
	v_cmp_ne_u64_e32 vcc, 0, v[2:3]
	s_and_saveexec_b64 s[6:7], vcc
	s_xor_b64 s[58:59], exec, s[6:7]
	s_cbranch_execz .LBB43_37
; %bb.36:                               ;   in Loop: Header=BB43_35 Depth=2
	v_cvt_f32_u32_e32 v3, s56
	v_cvt_f32_u32_e32 v22, s57
	s_sub_u32 s6, 0, s56
	s_subb_u32 s7, 0, s57
	v_mac_f32_e32 v3, 0x4f800000, v22
	v_rcp_f32_e32 v3, v3
	v_mul_f32_e32 v3, 0x5f7ffffc, v3
	v_mul_f32_e32 v22, 0x2f800000, v3
	v_trunc_f32_e32 v22, v22
	v_mac_f32_e32 v3, 0xcf800000, v22
	v_cvt_u32_f32_e32 v22, v22
	v_cvt_u32_f32_e32 v3, v3
	v_mul_lo_u32 v23, s6, v22
	v_mul_hi_u32 v25, s6, v3
	v_mul_lo_u32 v24, s7, v3
	v_add_u32_e32 v23, v25, v23
	v_mul_lo_u32 v26, s6, v3
	v_add_u32_e32 v23, v23, v24
	v_mul_hi_u32 v25, v3, v26
	v_mul_lo_u32 v27, v3, v23
	v_mul_hi_u32 v24, v3, v23
	v_add_co_u32_e32 v25, vcc, v25, v27
	v_addc_co_u32_e32 v24, vcc, 0, v24, vcc
	v_mul_hi_u32 v28, v22, v26
	v_mul_lo_u32 v26, v22, v26
	v_add_co_u32_e32 v25, vcc, v25, v26
	v_mul_hi_u32 v27, v22, v23
	v_addc_co_u32_e32 v24, vcc, v24, v28, vcc
	v_addc_co_u32_e32 v25, vcc, 0, v27, vcc
	v_mul_lo_u32 v23, v22, v23
	v_add_co_u32_e32 v23, vcc, v24, v23
	v_addc_co_u32_e32 v24, vcc, 0, v25, vcc
	v_add_co_u32_e32 v3, vcc, v3, v23
	v_addc_co_u32_e32 v22, vcc, v22, v24, vcc
	v_mul_lo_u32 v23, s6, v22
	v_mul_hi_u32 v24, s6, v3
	v_add_u32_e32 v23, v24, v23
	v_mul_lo_u32 v24, s7, v3
	v_add_u32_e32 v23, v23, v24
	v_mul_lo_u32 v25, s6, v3
	v_mul_hi_u32 v26, v22, v25
	v_mul_lo_u32 v27, v22, v25
	v_mul_lo_u32 v29, v3, v23
	v_mul_hi_u32 v25, v3, v25
	v_mul_hi_u32 v28, v3, v23
	v_add_co_u32_e32 v25, vcc, v25, v29
	v_addc_co_u32_e32 v28, vcc, 0, v28, vcc
	v_add_co_u32_e32 v25, vcc, v25, v27
	v_mul_hi_u32 v24, v22, v23
	v_addc_co_u32_e32 v25, vcc, v28, v26, vcc
	v_addc_co_u32_e32 v24, vcc, 0, v24, vcc
	v_mul_lo_u32 v23, v22, v23
	v_add_co_u32_e32 v23, vcc, v25, v23
	v_addc_co_u32_e32 v24, vcc, 0, v24, vcc
	v_add_co_u32_e32 v3, vcc, v3, v23
	v_addc_co_u32_e32 v24, vcc, v22, v24, vcc
	v_mad_u64_u32 v[22:23], s[6:7], v20, v24, 0
	v_mul_hi_u32 v25, v20, v3
	v_add_co_u32_e32 v26, vcc, v25, v22
	v_addc_co_u32_e32 v27, vcc, 0, v23, vcc
	v_mad_u64_u32 v[22:23], s[6:7], v21, v24, 0
	v_mad_u64_u32 v[24:25], s[6:7], v21, v3, 0
	v_add_co_u32_e32 v3, vcc, v26, v24
	v_addc_co_u32_e32 v3, vcc, v27, v25, vcc
	v_addc_co_u32_e32 v23, vcc, 0, v23, vcc
	v_add_co_u32_e32 v3, vcc, v3, v22
	v_addc_co_u32_e32 v24, vcc, 0, v23, vcc
	v_mul_lo_u32 v25, s57, v3
	v_mul_lo_u32 v26, s56, v24
	v_mad_u64_u32 v[22:23], s[6:7], s56, v3, 0
	v_add3_u32 v23, v23, v26, v25
	v_sub_u32_e32 v25, v21, v23
	v_mov_b32_e32 v26, s57
	v_sub_co_u32_e32 v22, vcc, v20, v22
	v_subb_co_u32_e64 v25, s[6:7], v25, v26, vcc
	v_subrev_co_u32_e64 v26, s[6:7], s56, v22
	v_subbrev_co_u32_e64 v25, s[6:7], 0, v25, s[6:7]
	v_cmp_le_u32_e64 s[6:7], s57, v25
	v_cndmask_b32_e64 v27, 0, -1, s[6:7]
	v_cmp_le_u32_e64 s[6:7], s56, v26
	v_cndmask_b32_e64 v26, 0, -1, s[6:7]
	v_cmp_eq_u32_e64 s[6:7], s57, v25
	v_cndmask_b32_e64 v25, v27, v26, s[6:7]
	v_add_co_u32_e64 v26, s[6:7], 2, v3
	v_addc_co_u32_e64 v27, s[6:7], 0, v24, s[6:7]
	v_add_co_u32_e64 v28, s[6:7], 1, v3
	v_addc_co_u32_e64 v29, s[6:7], 0, v24, s[6:7]
	v_subb_co_u32_e32 v23, vcc, v21, v23, vcc
	v_cmp_ne_u32_e64 s[6:7], 0, v25
	v_cmp_le_u32_e32 vcc, s57, v23
	v_cndmask_b32_e64 v25, v29, v27, s[6:7]
	v_cndmask_b32_e64 v27, 0, -1, vcc
	v_cmp_le_u32_e32 vcc, s56, v22
	v_cndmask_b32_e64 v22, 0, -1, vcc
	v_cmp_eq_u32_e32 vcc, s57, v23
	v_cndmask_b32_e32 v22, v27, v22, vcc
	v_cmp_ne_u32_e32 vcc, 0, v22
	v_cndmask_b32_e64 v22, v28, v26, s[6:7]
	v_cndmask_b32_e32 v23, v24, v25, vcc
	v_cndmask_b32_e32 v22, v3, v22, vcc
.LBB43_37:                              ;   in Loop: Header=BB43_35 Depth=2
	s_andn2_saveexec_b64 s[6:7], s[58:59]
	s_cbranch_execz .LBB43_39
; %bb.38:                               ;   in Loop: Header=BB43_35 Depth=2
	v_cvt_f32_u32_e32 v3, s56
	s_sub_i32 s58, 0, s56
	v_rcp_iflag_f32_e32 v3, v3
	v_mul_f32_e32 v3, 0x4f7ffffe, v3
	v_cvt_u32_f32_e32 v3, v3
	v_mul_lo_u32 v22, s58, v3
	v_mul_hi_u32 v22, v3, v22
	v_add_u32_e32 v3, v3, v22
	v_mul_hi_u32 v3, v20, v3
	v_mul_lo_u32 v22, v3, s56
	v_sub_u32_e32 v22, v20, v22
	v_add_u32_e32 v23, 1, v3
	v_subrev_u32_e32 v24, s56, v22
	v_cmp_le_u32_e32 vcc, s56, v22
	v_cndmask_b32_e32 v22, v22, v24, vcc
	v_cndmask_b32_e32 v3, v3, v23, vcc
	v_add_u32_e32 v23, 1, v3
	v_cmp_le_u32_e32 vcc, s56, v22
	v_cndmask_b32_e32 v22, v3, v23, vcc
	v_mov_b32_e32 v23, v2
.LBB43_39:                              ;   in Loop: Header=BB43_35 Depth=2
	s_or_b64 exec, exec, s[6:7]
	v_mad_u64_u32 v[24:25], s[6:7], v22, s56, 0
	s_load_dwordx2 s[6:7], s[54:55], 0xc8
	v_mul_lo_u32 v3, v23, s56
	v_mul_lo_u32 v26, v22, s57
	v_add3_u32 v3, v25, v26, v3
	v_sub_co_u32_e32 v20, vcc, v20, v24
	s_add_i32 s60, s60, -1
	v_subb_co_u32_e32 v3, vcc, v21, v3, vcc
	s_add_u32 s54, s54, -8
	s_waitcnt lgkmcnt(0)
	v_mul_lo_u32 v3, s6, v3
	v_mul_lo_u32 v21, s7, v20
	v_mad_u64_u32 v[14:15], s[6:7], s6, v20, v[14:15]
	s_addc_u32 s55, s55, -1
	s_cmp_gt_u32 s60, 2
	v_add3_u32 v15, v21, v15, v3
	s_cbranch_scc0 .LBB43_46
; %bb.40:                               ;   in Loop: Header=BB43_35 Depth=2
	v_pk_mov_b32 v[20:21], v[22:23], v[22:23] op_sel:[0,1]
	s_branch .LBB43_35
.LBB43_41:                              ;   in Loop: Header=BB43_42 Depth=2
	s_or_b64 exec, exec, s[4:5]
	v_mad_u64_u32 v[20:21], s[4:5], v18, s54, 0
	s_load_dwordx2 s[4:5], s[52:53], 0xc8
	v_mul_lo_u32 v3, v19, s54
	v_mul_lo_u32 v22, v18, s55
	v_add3_u32 v3, v21, v22, v3
	v_sub_co_u32_e32 v14, vcc, v14, v20
	s_add_i32 s58, s58, -1
	v_subb_co_u32_e32 v3, vcc, v15, v3, vcc
	s_add_u32 s52, s52, -8
	s_waitcnt lgkmcnt(0)
	v_mul_lo_u32 v3, s4, v3
	v_mul_lo_u32 v15, s5, v14
	v_mad_u64_u32 v[16:17], s[4:5], s4, v14, v[16:17]
	s_addc_u32 s53, s53, -1
	s_cmp_gt_u32 s58, 2
	v_add3_u32 v17, v15, v17, v3
	v_pk_mov_b32 v[14:15], v[18:19], v[18:19] op_sel:[0,1]
	s_cbranch_scc0 .LBB43_32
.LBB43_42:                              ;   Parent Loop BB43_3 Depth=1
                                        ; =>  This Inner Loop Header: Depth=2
	s_load_dwordx2 s[54:55], s[52:53], 0x0
                                        ; implicit-def: $vgpr18_vgpr19
	s_waitcnt lgkmcnt(0)
	v_or_b32_e32 v3, s55, v15
	v_cmp_ne_u64_e32 vcc, 0, v[2:3]
	s_and_saveexec_b64 s[4:5], vcc
	s_xor_b64 s[56:57], exec, s[4:5]
	s_cbranch_execz .LBB43_44
; %bb.43:                               ;   in Loop: Header=BB43_42 Depth=2
	v_cvt_f32_u32_e32 v3, s54
	v_cvt_f32_u32_e32 v18, s55
	s_sub_u32 s4, 0, s54
	s_subb_u32 s5, 0, s55
	v_mac_f32_e32 v3, 0x4f800000, v18
	v_rcp_f32_e32 v3, v3
	v_mul_f32_e32 v3, 0x5f7ffffc, v3
	v_mul_f32_e32 v18, 0x2f800000, v3
	v_trunc_f32_e32 v18, v18
	v_mac_f32_e32 v3, 0xcf800000, v18
	v_cvt_u32_f32_e32 v18, v18
	v_cvt_u32_f32_e32 v3, v3
	v_mul_lo_u32 v19, s4, v18
	v_mul_hi_u32 v21, s4, v3
	v_mul_lo_u32 v20, s5, v3
	v_add_u32_e32 v19, v21, v19
	v_mul_lo_u32 v22, s4, v3
	v_add_u32_e32 v19, v19, v20
	v_mul_hi_u32 v21, v3, v22
	v_mul_lo_u32 v23, v3, v19
	v_mul_hi_u32 v20, v3, v19
	v_add_co_u32_e32 v21, vcc, v21, v23
	v_addc_co_u32_e32 v20, vcc, 0, v20, vcc
	v_mul_hi_u32 v24, v18, v22
	v_mul_lo_u32 v22, v18, v22
	v_add_co_u32_e32 v21, vcc, v21, v22
	v_mul_hi_u32 v23, v18, v19
	v_addc_co_u32_e32 v20, vcc, v20, v24, vcc
	v_addc_co_u32_e32 v21, vcc, 0, v23, vcc
	v_mul_lo_u32 v19, v18, v19
	v_add_co_u32_e32 v19, vcc, v20, v19
	v_addc_co_u32_e32 v20, vcc, 0, v21, vcc
	v_add_co_u32_e32 v3, vcc, v3, v19
	v_addc_co_u32_e32 v18, vcc, v18, v20, vcc
	v_mul_lo_u32 v19, s4, v18
	v_mul_hi_u32 v20, s4, v3
	v_add_u32_e32 v19, v20, v19
	v_mul_lo_u32 v20, s5, v3
	v_add_u32_e32 v19, v19, v20
	v_mul_lo_u32 v21, s4, v3
	v_mul_hi_u32 v22, v18, v21
	v_mul_lo_u32 v23, v18, v21
	v_mul_lo_u32 v25, v3, v19
	v_mul_hi_u32 v21, v3, v21
	v_mul_hi_u32 v24, v3, v19
	v_add_co_u32_e32 v21, vcc, v21, v25
	v_addc_co_u32_e32 v24, vcc, 0, v24, vcc
	v_add_co_u32_e32 v21, vcc, v21, v23
	v_mul_hi_u32 v20, v18, v19
	v_addc_co_u32_e32 v21, vcc, v24, v22, vcc
	v_addc_co_u32_e32 v20, vcc, 0, v20, vcc
	v_mul_lo_u32 v19, v18, v19
	v_add_co_u32_e32 v19, vcc, v21, v19
	v_addc_co_u32_e32 v20, vcc, 0, v20, vcc
	v_add_co_u32_e32 v3, vcc, v3, v19
	v_addc_co_u32_e32 v20, vcc, v18, v20, vcc
	v_mad_u64_u32 v[18:19], s[4:5], v14, v20, 0
	v_mul_hi_u32 v21, v14, v3
	v_add_co_u32_e32 v22, vcc, v21, v18
	v_addc_co_u32_e32 v23, vcc, 0, v19, vcc
	v_mad_u64_u32 v[18:19], s[4:5], v15, v20, 0
	v_mad_u64_u32 v[20:21], s[4:5], v15, v3, 0
	v_add_co_u32_e32 v3, vcc, v22, v20
	v_addc_co_u32_e32 v3, vcc, v23, v21, vcc
	v_addc_co_u32_e32 v19, vcc, 0, v19, vcc
	v_add_co_u32_e32 v3, vcc, v3, v18
	v_addc_co_u32_e32 v20, vcc, 0, v19, vcc
	v_mul_lo_u32 v21, s55, v3
	v_mul_lo_u32 v22, s54, v20
	v_mad_u64_u32 v[18:19], s[4:5], s54, v3, 0
	v_add3_u32 v19, v19, v22, v21
	v_sub_u32_e32 v21, v15, v19
	v_mov_b32_e32 v22, s55
	v_sub_co_u32_e32 v18, vcc, v14, v18
	v_subb_co_u32_e64 v21, s[4:5], v21, v22, vcc
	v_subrev_co_u32_e64 v22, s[4:5], s54, v18
	v_subbrev_co_u32_e64 v21, s[4:5], 0, v21, s[4:5]
	v_cmp_le_u32_e64 s[4:5], s55, v21
	v_cndmask_b32_e64 v23, 0, -1, s[4:5]
	v_cmp_le_u32_e64 s[4:5], s54, v22
	v_cndmask_b32_e64 v22, 0, -1, s[4:5]
	v_cmp_eq_u32_e64 s[4:5], s55, v21
	v_cndmask_b32_e64 v21, v23, v22, s[4:5]
	v_add_co_u32_e64 v22, s[4:5], 2, v3
	v_addc_co_u32_e64 v23, s[4:5], 0, v20, s[4:5]
	v_add_co_u32_e64 v24, s[4:5], 1, v3
	v_addc_co_u32_e64 v25, s[4:5], 0, v20, s[4:5]
	v_subb_co_u32_e32 v19, vcc, v15, v19, vcc
	v_cmp_ne_u32_e64 s[4:5], 0, v21
	v_cmp_le_u32_e32 vcc, s55, v19
	v_cndmask_b32_e64 v21, v25, v23, s[4:5]
	v_cndmask_b32_e64 v23, 0, -1, vcc
	v_cmp_le_u32_e32 vcc, s54, v18
	v_cndmask_b32_e64 v18, 0, -1, vcc
	v_cmp_eq_u32_e32 vcc, s55, v19
	v_cndmask_b32_e32 v18, v23, v18, vcc
	v_cmp_ne_u32_e32 vcc, 0, v18
	v_cndmask_b32_e64 v18, v24, v22, s[4:5]
	v_cndmask_b32_e32 v19, v20, v21, vcc
	v_cndmask_b32_e32 v18, v3, v18, vcc
.LBB43_44:                              ;   in Loop: Header=BB43_42 Depth=2
	s_andn2_saveexec_b64 s[4:5], s[56:57]
	s_cbranch_execz .LBB43_41
; %bb.45:                               ;   in Loop: Header=BB43_42 Depth=2
	v_cvt_f32_u32_e32 v3, s54
	s_sub_i32 s56, 0, s54
	v_rcp_iflag_f32_e32 v3, v3
	v_mul_f32_e32 v3, 0x4f7ffffe, v3
	v_cvt_u32_f32_e32 v3, v3
	v_mul_lo_u32 v18, s56, v3
	v_mul_hi_u32 v18, v3, v18
	v_add_u32_e32 v3, v3, v18
	v_mul_hi_u32 v3, v14, v3
	v_mul_lo_u32 v18, v3, s54
	v_sub_u32_e32 v18, v14, v18
	v_add_u32_e32 v19, 1, v3
	v_subrev_u32_e32 v20, s54, v18
	v_cmp_le_u32_e32 vcc, s54, v18
	v_cndmask_b32_e32 v18, v18, v20, vcc
	v_cndmask_b32_e32 v3, v3, v19, vcc
	v_add_u32_e32 v19, 1, v3
	v_cmp_le_u32_e32 vcc, s54, v18
	v_cndmask_b32_e32 v18, v3, v19, vcc
	v_mov_b32_e32 v19, v2
	s_branch .LBB43_41
.LBB43_46:                              ;   in Loop: Header=BB43_3 Depth=1
	v_mad_u64_u32 v[14:15], s[6:7], s18, v22, v[14:15]
	v_mul_lo_u32 v3, s18, v23
	v_mul_lo_u32 v20, s19, v22
	v_add3_u32 v15, v20, v15, v3
.LBB43_47:                              ;   in Loop: Header=BB43_3 Depth=1
	s_or_b64 exec, exec, s[52:53]
	v_pk_mov_b32 v[20:21], 0, 0
	s_and_saveexec_b64 s[6:7], s[4:5]
	s_cbranch_execz .LBB43_50
; %bb.48:                               ;   in Loop: Header=BB43_3 Depth=1
	s_and_b64 vcc, exec, s[2:3]
	v_pk_mov_b32 v[20:21], 0, 0
	s_mov_b64 s[52:53], s[34:35]
	s_mov_b32 s58, s65
	s_cbranch_vccz .LBB43_59
.LBB43_49:                              ;   in Loop: Header=BB43_3 Depth=1
	v_mad_u64_u32 v[20:21], s[4:5], s20, v18, v[20:21]
	v_mul_lo_u32 v3, s20, v19
	v_mul_lo_u32 v18, s21, v18
	v_add3_u32 v21, v18, v21, v3
.LBB43_50:                              ;   in Loop: Header=BB43_3 Depth=1
	s_or_b64 exec, exec, s[6:7]
	v_or_b32_e32 v22, 3, v0
	v_mov_b32_e32 v23, v1
	v_cmp_lt_i32_e64 s[4:5], 3, v32
	v_pk_mov_b32 v[18:19], 0, 0
	s_and_saveexec_b64 s[6:7], s[4:5]
	s_cbranch_execz .LBB43_64
; %bb.51:                               ;   in Loop: Header=BB43_3 Depth=1
	s_and_b64 vcc, exec, s[0:1]
	v_pk_mov_b32 v[18:19], 0, 0
	s_mov_b64 s[52:53], s[30:31]
	s_mov_b32 s58, s64
	v_pk_mov_b32 v[24:25], v[22:23], v[22:23] op_sel:[0,1]
	v_pk_mov_b32 v[26:27], v[22:23], v[22:23] op_sel:[0,1]
	s_cbranch_vccnz .LBB43_63
.LBB43_52:                              ;   Parent Loop BB43_3 Depth=1
                                        ; =>  This Inner Loop Header: Depth=2
	s_load_dwordx2 s[54:55], s[52:53], 0x0
                                        ; implicit-def: $vgpr26_vgpr27
	s_waitcnt lgkmcnt(0)
	v_or_b32_e32 v3, s55, v25
	v_cmp_ne_u64_e32 vcc, 0, v[2:3]
	s_and_saveexec_b64 s[0:1], vcc
	s_xor_b64 s[56:57], exec, s[0:1]
	s_cbranch_execz .LBB43_54
; %bb.53:                               ;   in Loop: Header=BB43_52 Depth=2
	v_cvt_f32_u32_e32 v3, s54
	v_cvt_f32_u32_e32 v26, s55
	s_sub_u32 s0, 0, s54
	s_subb_u32 s1, 0, s55
	v_mac_f32_e32 v3, 0x4f800000, v26
	v_rcp_f32_e32 v3, v3
	v_mul_f32_e32 v3, 0x5f7ffffc, v3
	v_mul_f32_e32 v26, 0x2f800000, v3
	v_trunc_f32_e32 v26, v26
	v_mac_f32_e32 v3, 0xcf800000, v26
	v_cvt_u32_f32_e32 v26, v26
	v_cvt_u32_f32_e32 v3, v3
	v_mul_lo_u32 v27, s0, v26
	v_mul_hi_u32 v29, s0, v3
	v_mul_lo_u32 v28, s1, v3
	v_add_u32_e32 v27, v29, v27
	v_mul_lo_u32 v30, s0, v3
	v_add_u32_e32 v27, v27, v28
	v_mul_hi_u32 v29, v3, v30
	v_mul_lo_u32 v31, v3, v27
	v_mul_hi_u32 v28, v3, v27
	v_add_co_u32_e32 v29, vcc, v29, v31
	v_addc_co_u32_e32 v28, vcc, 0, v28, vcc
	s_waitcnt vmcnt(2)
	v_mul_hi_u32 v33, v26, v30
	v_mul_lo_u32 v30, v26, v30
	v_add_co_u32_e32 v29, vcc, v29, v30
	v_mul_hi_u32 v31, v26, v27
	v_addc_co_u32_e32 v28, vcc, v28, v33, vcc
	v_addc_co_u32_e32 v29, vcc, 0, v31, vcc
	v_mul_lo_u32 v27, v26, v27
	v_add_co_u32_e32 v27, vcc, v28, v27
	v_addc_co_u32_e32 v28, vcc, 0, v29, vcc
	v_add_co_u32_e32 v3, vcc, v3, v27
	v_addc_co_u32_e32 v26, vcc, v26, v28, vcc
	v_mul_lo_u32 v27, s0, v26
	v_mul_hi_u32 v28, s0, v3
	v_add_u32_e32 v27, v28, v27
	v_mul_lo_u32 v28, s1, v3
	v_add_u32_e32 v27, v27, v28
	v_mul_lo_u32 v29, s0, v3
	v_mul_hi_u32 v30, v26, v29
	v_mul_lo_u32 v31, v26, v29
	s_waitcnt vmcnt(1)
	v_mul_lo_u32 v34, v3, v27
	v_mul_hi_u32 v29, v3, v29
	v_mul_hi_u32 v33, v3, v27
	v_add_co_u32_e32 v29, vcc, v29, v34
	v_addc_co_u32_e32 v33, vcc, 0, v33, vcc
	v_add_co_u32_e32 v29, vcc, v29, v31
	v_mul_hi_u32 v28, v26, v27
	v_addc_co_u32_e32 v29, vcc, v33, v30, vcc
	v_addc_co_u32_e32 v28, vcc, 0, v28, vcc
	v_mul_lo_u32 v27, v26, v27
	v_add_co_u32_e32 v27, vcc, v29, v27
	v_addc_co_u32_e32 v28, vcc, 0, v28, vcc
	v_add_co_u32_e32 v3, vcc, v3, v27
	v_addc_co_u32_e32 v28, vcc, v26, v28, vcc
	v_mad_u64_u32 v[26:27], s[0:1], v24, v28, 0
	v_mul_hi_u32 v29, v24, v3
	v_add_co_u32_e32 v30, vcc, v29, v26
	v_addc_co_u32_e32 v31, vcc, 0, v27, vcc
	v_mad_u64_u32 v[26:27], s[0:1], v25, v28, 0
	v_mad_u64_u32 v[28:29], s[0:1], v25, v3, 0
	v_add_co_u32_e32 v3, vcc, v30, v28
	v_addc_co_u32_e32 v3, vcc, v31, v29, vcc
	v_addc_co_u32_e32 v27, vcc, 0, v27, vcc
	v_add_co_u32_e32 v3, vcc, v3, v26
	v_addc_co_u32_e32 v28, vcc, 0, v27, vcc
	v_mul_lo_u32 v29, s55, v3
	v_mul_lo_u32 v30, s54, v28
	v_mad_u64_u32 v[26:27], s[0:1], s54, v3, 0
	v_add3_u32 v27, v27, v30, v29
	v_sub_u32_e32 v29, v25, v27
	v_mov_b32_e32 v30, s55
	v_sub_co_u32_e32 v26, vcc, v24, v26
	v_subb_co_u32_e64 v29, s[0:1], v29, v30, vcc
	v_subrev_co_u32_e64 v30, s[0:1], s54, v26
	v_subbrev_co_u32_e64 v29, s[0:1], 0, v29, s[0:1]
	v_cmp_le_u32_e64 s[0:1], s55, v29
	v_cndmask_b32_e64 v31, 0, -1, s[0:1]
	v_cmp_le_u32_e64 s[0:1], s54, v30
	v_cndmask_b32_e64 v30, 0, -1, s[0:1]
	v_cmp_eq_u32_e64 s[0:1], s55, v29
	v_cndmask_b32_e64 v29, v31, v30, s[0:1]
	v_add_co_u32_e64 v30, s[0:1], 2, v3
	v_addc_co_u32_e64 v31, s[0:1], 0, v28, s[0:1]
	v_add_co_u32_e64 v33, s[0:1], 1, v3
	v_addc_co_u32_e64 v34, s[0:1], 0, v28, s[0:1]
	v_subb_co_u32_e32 v27, vcc, v25, v27, vcc
	v_cmp_ne_u32_e64 s[0:1], 0, v29
	v_cmp_le_u32_e32 vcc, s55, v27
	v_cndmask_b32_e64 v29, v34, v31, s[0:1]
	v_cndmask_b32_e64 v31, 0, -1, vcc
	v_cmp_le_u32_e32 vcc, s54, v26
	v_cndmask_b32_e64 v26, 0, -1, vcc
	v_cmp_eq_u32_e32 vcc, s55, v27
	v_cndmask_b32_e32 v26, v31, v26, vcc
	v_cmp_ne_u32_e32 vcc, 0, v26
	v_cndmask_b32_e64 v26, v33, v30, s[0:1]
	v_cndmask_b32_e32 v27, v28, v29, vcc
	v_cndmask_b32_e32 v26, v3, v26, vcc
.LBB43_54:                              ;   in Loop: Header=BB43_52 Depth=2
	s_andn2_saveexec_b64 s[0:1], s[56:57]
	s_cbranch_execz .LBB43_56
; %bb.55:                               ;   in Loop: Header=BB43_52 Depth=2
	v_cvt_f32_u32_e32 v3, s54
	s_sub_i32 s56, 0, s54
	v_rcp_iflag_f32_e32 v3, v3
	v_mul_f32_e32 v3, 0x4f7ffffe, v3
	v_cvt_u32_f32_e32 v3, v3
	v_mul_lo_u32 v26, s56, v3
	v_mul_hi_u32 v26, v3, v26
	v_add_u32_e32 v3, v3, v26
	v_mul_hi_u32 v3, v24, v3
	v_mul_lo_u32 v26, v3, s54
	v_sub_u32_e32 v26, v24, v26
	v_add_u32_e32 v27, 1, v3
	v_subrev_u32_e32 v28, s54, v26
	v_cmp_le_u32_e32 vcc, s54, v26
	v_cndmask_b32_e32 v26, v26, v28, vcc
	v_cndmask_b32_e32 v3, v3, v27, vcc
	v_add_u32_e32 v27, 1, v3
	v_cmp_le_u32_e32 vcc, s54, v26
	v_cndmask_b32_e32 v26, v3, v27, vcc
	v_mov_b32_e32 v27, v2
.LBB43_56:                              ;   in Loop: Header=BB43_52 Depth=2
	s_or_b64 exec, exec, s[0:1]
	v_mad_u64_u32 v[28:29], s[0:1], v26, s54, 0
	s_load_dwordx2 s[0:1], s[52:53], 0xc8
	v_mul_lo_u32 v3, v27, s54
	v_mul_lo_u32 v30, v26, s55
	v_add3_u32 v3, v29, v30, v3
	v_sub_co_u32_e32 v24, vcc, v24, v28
	s_add_i32 s58, s58, -1
	v_subb_co_u32_e32 v3, vcc, v25, v3, vcc
	s_add_u32 s52, s52, -8
	s_waitcnt lgkmcnt(0)
	v_mul_lo_u32 v3, s0, v3
	v_mul_lo_u32 v25, s1, v24
	v_mad_u64_u32 v[18:19], s[0:1], s0, v24, v[18:19]
	s_addc_u32 s53, s53, -1
	s_cmp_gt_u32 s58, 2
	v_add3_u32 v19, v25, v19, v3
	s_cbranch_scc0 .LBB43_63
; %bb.57:                               ;   in Loop: Header=BB43_52 Depth=2
	v_pk_mov_b32 v[24:25], v[26:27], v[26:27] op_sel:[0,1]
	s_branch .LBB43_52
.LBB43_58:                              ;   in Loop: Header=BB43_59 Depth=2
	s_or_b64 exec, exec, s[4:5]
	v_mad_u64_u32 v[24:25], s[4:5], v22, s54, 0
	s_load_dwordx2 s[4:5], s[52:53], 0xc8
	v_mul_lo_u32 v3, v23, s54
	v_mul_lo_u32 v26, v22, s55
	v_add3_u32 v3, v25, v26, v3
	v_sub_co_u32_e32 v18, vcc, v18, v24
	s_add_i32 s58, s58, -1
	v_subb_co_u32_e32 v3, vcc, v19, v3, vcc
	s_add_u32 s52, s52, -8
	s_waitcnt lgkmcnt(0)
	v_mul_lo_u32 v3, s4, v3
	v_mul_lo_u32 v19, s5, v18
	v_mad_u64_u32 v[20:21], s[4:5], s4, v18, v[20:21]
	s_addc_u32 s53, s53, -1
	s_cmp_gt_u32 s58, 2
	v_add3_u32 v21, v19, v21, v3
	v_pk_mov_b32 v[18:19], v[22:23], v[22:23] op_sel:[0,1]
	s_cbranch_scc0 .LBB43_49
.LBB43_59:                              ;   Parent Loop BB43_3 Depth=1
                                        ; =>  This Inner Loop Header: Depth=2
	s_load_dwordx2 s[54:55], s[52:53], 0x0
                                        ; implicit-def: $vgpr22_vgpr23
	s_waitcnt lgkmcnt(0)
	v_or_b32_e32 v3, s55, v19
	v_cmp_ne_u64_e32 vcc, 0, v[2:3]
	s_and_saveexec_b64 s[4:5], vcc
	s_xor_b64 s[56:57], exec, s[4:5]
	s_cbranch_execz .LBB43_61
; %bb.60:                               ;   in Loop: Header=BB43_59 Depth=2
	v_cvt_f32_u32_e32 v3, s54
	v_cvt_f32_u32_e32 v22, s55
	s_sub_u32 s4, 0, s54
	s_subb_u32 s5, 0, s55
	v_mac_f32_e32 v3, 0x4f800000, v22
	v_rcp_f32_e32 v3, v3
	v_mul_f32_e32 v3, 0x5f7ffffc, v3
	v_mul_f32_e32 v22, 0x2f800000, v3
	v_trunc_f32_e32 v22, v22
	v_mac_f32_e32 v3, 0xcf800000, v22
	v_cvt_u32_f32_e32 v22, v22
	v_cvt_u32_f32_e32 v3, v3
	v_mul_lo_u32 v23, s4, v22
	v_mul_hi_u32 v25, s4, v3
	v_mul_lo_u32 v24, s5, v3
	v_add_u32_e32 v23, v25, v23
	v_mul_lo_u32 v26, s4, v3
	v_add_u32_e32 v23, v23, v24
	v_mul_hi_u32 v25, v3, v26
	v_mul_lo_u32 v27, v3, v23
	v_mul_hi_u32 v24, v3, v23
	v_add_co_u32_e32 v25, vcc, v25, v27
	v_addc_co_u32_e32 v24, vcc, 0, v24, vcc
	v_mul_hi_u32 v28, v22, v26
	v_mul_lo_u32 v26, v22, v26
	v_add_co_u32_e32 v25, vcc, v25, v26
	v_mul_hi_u32 v27, v22, v23
	v_addc_co_u32_e32 v24, vcc, v24, v28, vcc
	v_addc_co_u32_e32 v25, vcc, 0, v27, vcc
	v_mul_lo_u32 v23, v22, v23
	v_add_co_u32_e32 v23, vcc, v24, v23
	v_addc_co_u32_e32 v24, vcc, 0, v25, vcc
	v_add_co_u32_e32 v3, vcc, v3, v23
	v_addc_co_u32_e32 v22, vcc, v22, v24, vcc
	v_mul_lo_u32 v23, s4, v22
	v_mul_hi_u32 v24, s4, v3
	v_add_u32_e32 v23, v24, v23
	v_mul_lo_u32 v24, s5, v3
	v_add_u32_e32 v23, v23, v24
	v_mul_lo_u32 v25, s4, v3
	v_mul_hi_u32 v26, v22, v25
	v_mul_lo_u32 v27, v22, v25
	v_mul_lo_u32 v29, v3, v23
	v_mul_hi_u32 v25, v3, v25
	v_mul_hi_u32 v28, v3, v23
	v_add_co_u32_e32 v25, vcc, v25, v29
	v_addc_co_u32_e32 v28, vcc, 0, v28, vcc
	v_add_co_u32_e32 v25, vcc, v25, v27
	v_mul_hi_u32 v24, v22, v23
	v_addc_co_u32_e32 v25, vcc, v28, v26, vcc
	v_addc_co_u32_e32 v24, vcc, 0, v24, vcc
	v_mul_lo_u32 v23, v22, v23
	v_add_co_u32_e32 v23, vcc, v25, v23
	v_addc_co_u32_e32 v24, vcc, 0, v24, vcc
	v_add_co_u32_e32 v3, vcc, v3, v23
	v_addc_co_u32_e32 v24, vcc, v22, v24, vcc
	v_mad_u64_u32 v[22:23], s[4:5], v18, v24, 0
	v_mul_hi_u32 v25, v18, v3
	v_add_co_u32_e32 v26, vcc, v25, v22
	v_addc_co_u32_e32 v27, vcc, 0, v23, vcc
	v_mad_u64_u32 v[22:23], s[4:5], v19, v24, 0
	v_mad_u64_u32 v[24:25], s[4:5], v19, v3, 0
	v_add_co_u32_e32 v3, vcc, v26, v24
	v_addc_co_u32_e32 v3, vcc, v27, v25, vcc
	v_addc_co_u32_e32 v23, vcc, 0, v23, vcc
	v_add_co_u32_e32 v3, vcc, v3, v22
	v_addc_co_u32_e32 v24, vcc, 0, v23, vcc
	v_mul_lo_u32 v25, s55, v3
	v_mul_lo_u32 v26, s54, v24
	v_mad_u64_u32 v[22:23], s[4:5], s54, v3, 0
	v_add3_u32 v23, v23, v26, v25
	v_sub_u32_e32 v25, v19, v23
	v_mov_b32_e32 v26, s55
	v_sub_co_u32_e32 v22, vcc, v18, v22
	v_subb_co_u32_e64 v25, s[4:5], v25, v26, vcc
	v_subrev_co_u32_e64 v26, s[4:5], s54, v22
	v_subbrev_co_u32_e64 v25, s[4:5], 0, v25, s[4:5]
	v_cmp_le_u32_e64 s[4:5], s55, v25
	v_cndmask_b32_e64 v27, 0, -1, s[4:5]
	v_cmp_le_u32_e64 s[4:5], s54, v26
	v_cndmask_b32_e64 v26, 0, -1, s[4:5]
	v_cmp_eq_u32_e64 s[4:5], s55, v25
	v_cndmask_b32_e64 v25, v27, v26, s[4:5]
	v_add_co_u32_e64 v26, s[4:5], 2, v3
	v_addc_co_u32_e64 v27, s[4:5], 0, v24, s[4:5]
	v_add_co_u32_e64 v28, s[4:5], 1, v3
	v_addc_co_u32_e64 v29, s[4:5], 0, v24, s[4:5]
	v_subb_co_u32_e32 v23, vcc, v19, v23, vcc
	v_cmp_ne_u32_e64 s[4:5], 0, v25
	v_cmp_le_u32_e32 vcc, s55, v23
	v_cndmask_b32_e64 v25, v29, v27, s[4:5]
	v_cndmask_b32_e64 v27, 0, -1, vcc
	v_cmp_le_u32_e32 vcc, s54, v22
	v_cndmask_b32_e64 v22, 0, -1, vcc
	v_cmp_eq_u32_e32 vcc, s55, v23
	v_cndmask_b32_e32 v22, v27, v22, vcc
	v_cmp_ne_u32_e32 vcc, 0, v22
	v_cndmask_b32_e64 v22, v28, v26, s[4:5]
	v_cndmask_b32_e32 v23, v24, v25, vcc
	v_cndmask_b32_e32 v22, v3, v22, vcc
.LBB43_61:                              ;   in Loop: Header=BB43_59 Depth=2
	s_andn2_saveexec_b64 s[4:5], s[56:57]
	s_cbranch_execz .LBB43_58
; %bb.62:                               ;   in Loop: Header=BB43_59 Depth=2
	v_cvt_f32_u32_e32 v3, s54
	s_sub_i32 s56, 0, s54
	v_rcp_iflag_f32_e32 v3, v3
	v_mul_f32_e32 v3, 0x4f7ffffe, v3
	v_cvt_u32_f32_e32 v3, v3
	v_mul_lo_u32 v22, s56, v3
	v_mul_hi_u32 v22, v3, v22
	v_add_u32_e32 v3, v3, v22
	v_mul_hi_u32 v3, v18, v3
	v_mul_lo_u32 v22, v3, s54
	v_sub_u32_e32 v22, v18, v22
	v_add_u32_e32 v23, 1, v3
	v_subrev_u32_e32 v24, s54, v22
	v_cmp_le_u32_e32 vcc, s54, v22
	v_cndmask_b32_e32 v22, v22, v24, vcc
	v_cndmask_b32_e32 v3, v3, v23, vcc
	v_add_u32_e32 v23, 1, v3
	v_cmp_le_u32_e32 vcc, s54, v22
	v_cndmask_b32_e32 v22, v3, v23, vcc
	v_mov_b32_e32 v23, v2
	s_branch .LBB43_58
.LBB43_63:                              ;   in Loop: Header=BB43_3 Depth=1
	v_mad_u64_u32 v[18:19], s[0:1], s18, v26, v[18:19]
	v_mul_lo_u32 v3, s18, v27
	v_mul_lo_u32 v24, s19, v26
	v_add3_u32 v19, v24, v19, v3
.LBB43_64:                              ;   in Loop: Header=BB43_3 Depth=1
	s_or_b64 exec, exec, s[6:7]
	v_pk_mov_b32 v[24:25], 0, 0
	s_and_saveexec_b64 s[6:7], s[4:5]
	s_cbranch_execz .LBB43_67
; %bb.65:                               ;   in Loop: Header=BB43_3 Depth=1
	s_and_b64 vcc, exec, s[2:3]
	v_pk_mov_b32 v[24:25], 0, 0
	s_mov_b64 s[2:3], s[34:35]
	s_mov_b32 s54, s65
	s_cbranch_vccz .LBB43_97
.LBB43_66:                              ;   in Loop: Header=BB43_3 Depth=1
	v_mad_u64_u32 v[24:25], s[0:1], s20, v22, v[24:25]
	v_mul_lo_u32 v3, s20, v23
	v_mul_lo_u32 v22, s21, v22
	v_add3_u32 v25, v22, v25, v3
.LBB43_67:                              ;   in Loop: Header=BB43_3 Depth=1
	s_or_b64 exec, exec, s[6:7]
	v_lshlrev_b64 v[12:13], 2, v[12:13]
	v_mov_b32_e32 v3, s17
	v_add_co_u32_e32 v12, vcc, s16, v12
	v_addc_co_u32_e32 v13, vcc, v3, v13, vcc
	v_lshlrev_b64 v[16:17], 2, v[16:17]
	v_add_co_u32_e32 v16, vcc, s16, v16
	v_addc_co_u32_e32 v17, vcc, v3, v17, vcc
	v_lshlrev_b64 v[20:21], 2, v[20:21]
	;; [unrolled: 3-line block ×3, first 2 shown]
	v_add_co_u32_e32 v22, vcc, s16, v22
	v_addc_co_u32_e32 v23, vcc, v3, v23, vcc
	global_load_dword v3, v[12:13], off
	global_load_dword v33, v[16:17], off
	;; [unrolled: 1-line block ×4, first 2 shown]
	s_andn2_b64 vcc, exec, s[26:27]
	v_pk_mov_b32 v[12:13], s[12:13], s[12:13] op_sel:[0,1]
	v_pk_mov_b32 v[16:17], s[10:11], s[10:11] op_sel:[0,1]
	s_cbranch_vccnz .LBB43_69
; %bb.68:                               ;   in Loop: Header=BB43_3 Depth=1
	v_pk_mov_b32 v[12:13], s[12:13], s[12:13] op_sel:[0,1]
	flat_load_dwordx2 v[12:13], v[12:13]
	v_pk_mov_b32 v[16:17], s[10:11], s[10:11] op_sel:[0,1]
	flat_load_dwordx2 v[16:17], v[16:17]
	v_mov_b32_e32 v20, s15
	s_waitcnt vmcnt(0) lgkmcnt(0)
	v_add_co_u32_e32 v12, vcc, s14, v12
	v_addc_co_u32_e32 v13, vcc, v13, v20, vcc
.LBB43_69:                              ;   in Loop: Header=BB43_3 Depth=1
	v_alignbit_b32 v28, v13, v12, 2
	v_lshrrev_b32_e32 v29, 2, v13
	v_xor_b32_e32 v20, v6, v16
	v_and_b32_e32 v36, 3, v12
	v_mad_u64_u32 v[12:13], s[0:1], v28, s66, 0
	v_xor_b32_e32 v20, v20, v29
	v_xor_b32_e32 v13, v13, v17
	v_add_u32_e32 v41, 0xbb67ae85, v17
	v_mad_u64_u32 v[20:21], s[0:1], v20, s66, 0
	v_mad_u64_u32 v[22:23], s[0:1], v13, s33, 0
	v_xor_b32_e32 v21, v41, v21
	v_add_u32_e32 v40, 0x9e3779b9, v16
	v_xor_b32_e32 v13, v4, v23
	v_xor_b32_e32 v21, v21, v12
	v_xor_b32_e32 v13, v13, v40
	v_add_u32_e32 v42, 0x3c6ef372, v16
	v_mad_u64_u32 v[24:25], s[0:1], v21, s33, 0
	v_add_u32_e32 v43, 0x76cf5d0a, v17
	v_mad_u64_u32 v[12:13], s[0:1], v13, s66, 0
	v_xor_b32_e32 v21, v42, v25
	v_xor_b32_e32 v21, v21, v22
	v_xor_b32_e32 v13, v43, v13
	v_xor_b32_e32 v13, v13, v20
	v_add_u32_e32 v45, 0x32370b8f, v17
	v_mad_u64_u32 v[20:21], s[0:1], v21, s66, 0
	v_add_u32_e32 v44, 0xdaa66d2b, v16
	v_mad_u64_u32 v[22:23], s[0:1], v13, s33, 0
	v_xor_b32_e32 v21, v45, v21
	;; [unrolled: 8-line block ×5, first 2 shown]
	v_xor_b32_e32 v21, v21, v22
	v_xor_b32_e32 v13, v51, v13
	;; [unrolled: 1-line block ×3, first 2 shown]
	v_add_u32_e32 v53, 0x1fd5c5a3, v17
	v_mad_u64_u32 v[20:21], s[0:1], v21, s66, 0
	v_xor_b32_e32 v21, v53, v21
	v_xor_b32_e32 v12, v21, v12
	v_add_u32_e32 v52, 0x5384540f, v16
	v_mad_u64_u32 v[26:27], s[0:1], v13, s33, 0
	v_add_co_u32_e32 v38, vcc, s67, v16
	v_mad_u64_u32 v[22:23], s[0:1], v12, s33, 0
	v_xor_b32_e32 v13, v52, v27
	v_xor_b32_e32 v12, v38, v23
	;; [unrolled: 1-line block ×4, first 2 shown]
	v_mad_u64_u32 v[24:25], s[0:1], v13, s66, 0
	v_mad_u64_u32 v[12:13], s[0:1], v12, s66, 0
	v_add_u32_e32 v39, 0x96a522ad, v17
	v_xor_b32_e32 v13, v13, v24
	v_xor_b32_e32 v37, v39, v13
	v_add_co_u32_e32 v13, vcc, 1, v28
	v_cndmask_b32_e64 v24, 0, 1, vcc
	v_addc_co_u32_e32 v30, vcc, 0, v29, vcc
	v_cmp_eq_u32_e32 vcc, 0, v30
	v_cndmask_b32_e32 v24, 0, v24, vcc
	v_add_u32_e32 v28, v24, v7
	v_cmp_eq_u32_e32 vcc, 0, v28
	v_mad_u64_u32 v[26:27], s[0:1], v13, s66, 0
	v_mad_u64_u32 v[28:29], s[0:1], v28, s33, 0
	v_add_u32_e32 v23, 0x8ff34781, v16
	v_cndmask_b32_e32 v24, 0, v24, vcc
	v_xor_b32_e32 v13, v29, v16
	v_xor_b32_e32 v16, v27, v17
	;; [unrolled: 1-line block ×4, first 2 shown]
	v_mad_u64_u32 v[30:31], s[0:1], v24, s33, 0
	v_add_u32_e32 v21, 0xdb3d7428, v17
	v_mad_u64_u32 v[16:17], s[0:1], v13, s66, 0
	v_xor_b32_e32 v13, v40, v31
	v_xor_b32_e32 v13, v13, v28
	v_xor_b32_e32 v17, v41, v17
	v_xor_b32_e32 v17, v17, v26
	v_mad_u64_u32 v[26:27], s[0:1], v13, s66, 0
	v_mad_u64_u32 v[28:29], s[0:1], v17, s33, 0
	v_xor_b32_e32 v17, v43, v27
	v_xor_b32_e32 v13, v42, v29
	v_xor_b32_e32 v24, v17, v16
	v_xor_b32_e32 v13, v13, v30
	v_mad_u64_u32 v[30:31], s[0:1], v24, s33, 0
	;; [unrolled: 6-line block ×7, first 2 shown]
	v_xor_b32_e32 v13, v21, v29
	v_xor_b32_e32 v13, v13, v16
	v_mad_u64_u32 v[30:31], s[0:1], v17, s33, 0
	v_mad_u64_u32 v[16:17], s[0:1], v13, s33, 0
	v_xor_b32_e32 v13, v17, v30
	v_xor_b32_e32 v13, v23, v13
	v_cmp_lt_i32_e32 vcc, 1, v36
                                        ; implicit-def: $vgpr27
	s_and_saveexec_b64 s[0:1], vcc
	s_xor_b64 s[0:1], exec, s[0:1]
	s_cbranch_execz .LBB43_75
; %bb.70:                               ;   in Loop: Header=BB43_3 Depth=1
	v_cmp_lt_i32_e32 vcc, 2, v36
                                        ; implicit-def: $vgpr27
	s_and_saveexec_b64 s[2:3], vcc
	s_xor_b64 s[2:3], exec, s[2:3]
; %bb.71:                               ;   in Loop: Header=BB43_3 Depth=1
	v_xor_b32_e32 v17, v38, v31
	v_xor_b32_e32 v17, v17, v26
	v_mul_hi_u32 v17, v17, s66
	v_xor_b32_e32 v17, v17, v28
	v_xor_b32_e32 v27, v39, v17
                                        ; implicit-def: $vgpr37
; %bb.72:                               ;   in Loop: Header=BB43_3 Depth=1
	s_andn2_saveexec_b64 s[2:3], s[2:3]
; %bb.73:                               ;   in Loop: Header=BB43_3 Depth=1
	v_mov_b32_e32 v27, v16
	v_mov_b32_e32 v16, v13
	;; [unrolled: 1-line block ×4, first 2 shown]
; %bb.74:                               ;   in Loop: Header=BB43_3 Depth=1
	s_or_b64 exec, exec, s[2:3]
                                        ; implicit-def: $vgpr20_vgpr21
                                        ; implicit-def: $vgpr22_vgpr23
                                        ; implicit-def: $vgpr36
                                        ; implicit-def: $vgpr37
                                        ; implicit-def: $vgpr24_vgpr25
                                        ; implicit-def: $vgpr21
                                        ; implicit-def: $vgpr23
.LBB43_75:                              ;   in Loop: Header=BB43_3 Depth=1
	s_andn2_saveexec_b64 s[0:1], s[0:1]
	s_cbranch_execz .LBB43_79
; %bb.76:                               ;   in Loop: Header=BB43_3 Depth=1
	v_xor_b32_e32 v16, v21, v25
	v_xor_b32_e32 v16, v16, v20
	v_mad_u64_u32 v[20:21], s[2:3], v16, s33, 0
	v_xor_b32_e32 v16, v21, v22
	v_xor_b32_e32 v17, v23, v16
	v_cmp_eq_u32_e32 vcc, 1, v36
	v_mov_b32_e32 v27, v12
	v_mov_b32_e32 v16, v37
	;; [unrolled: 1-line block ×3, first 2 shown]
	s_and_saveexec_b64 s[2:3], vcc
; %bb.77:                               ;   in Loop: Header=BB43_3 Depth=1
	v_mov_b32_e32 v27, v13
	v_mov_b32_e32 v16, v12
	;; [unrolled: 1-line block ×4, first 2 shown]
; %bb.78:                               ;   in Loop: Header=BB43_3 Depth=1
	s_or_b64 exec, exec, s[2:3]
	v_mov_b32_e32 v12, v17
	v_mov_b32_e32 v13, v21
.LBB43_79:                              ;   in Loop: Header=BB43_3 Depth=1
	s_or_b64 exec, exec, s[0:1]
	v_min_i32_e32 v17, 4, v32
	v_cmp_lt_i32_e32 vcc, 2, v17
	s_mov_b64 s[2:3], 0
	s_mov_b64 s[58:59], 0
	;; [unrolled: 1-line block ×3, first 2 shown]
                                        ; implicit-def: $sgpr6_sgpr7
                                        ; implicit-def: $sgpr52_sgpr53
                                        ; implicit-def: $sgpr54_sgpr55
	s_and_saveexec_b64 s[0:1], vcc
	s_xor_b64 s[56:57], exec, s[0:1]
	s_cbranch_execz .LBB43_91
; %bb.80:                               ;   in Loop: Header=BB43_3 Depth=1
	v_cmp_lt_i32_e32 vcc, 3, v17
	s_mov_b64 s[0:1], -1
	s_mov_b64 s[60:61], 0
                                        ; implicit-def: $sgpr4_sgpr5
                                        ; implicit-def: $sgpr6_sgpr7
	s_and_saveexec_b64 s[52:53], vcc
	s_cbranch_execz .LBB43_86
; %bb.81:                               ;   in Loop: Header=BB43_3 Depth=1
	v_cmp_eq_u32_e32 vcc, 4, v17
	s_mov_b64 s[0:1], 0
	s_mov_b64 s[60:61], -1
                                        ; implicit-def: $sgpr4_sgpr5
                                        ; implicit-def: $sgpr6_sgpr7
	s_and_saveexec_b64 s[54:55], vcc
	s_cbranch_execz .LBB43_85
; %bb.82:                               ;   in Loop: Header=BB43_3 Depth=1
	s_waitcnt vmcnt(0)
	v_cmp_le_f32_e32 vcc, 0, v35
	v_cmp_ge_f32_e64 s[0:1], 1.0, v35
	s_and_b64 s[60:61], vcc, s[0:1]
	s_mov_b64 s[4:5], 0
	s_mov_b64 s[0:1], 0
	s_and_saveexec_b64 s[6:7], s[60:61]
	s_cbranch_execz .LBB43_84
; %bb.83:                               ;   in Loop: Header=BB43_3 Depth=1
	v_cvt_f32_u32_e32 v20, v27
	v_mov_b32_e32 v21, 0x2f800000
	v_lshlrev_b64 v[18:19], 2, v[18:19]
	v_add_co_u32_e32 v18, vcc, s24, v18
	v_fmac_f32_e32 v21, 0x2f800000, v20
	v_mov_b32_e32 v20, s25
	v_addc_co_u32_e32 v19, vcc, v20, v19, vcc
	v_cmp_le_f32_e32 vcc, v21, v35
	s_mov_b64 s[0:1], exec
	v_cndmask_b32_e64 v20, 0, 1, vcc
	global_store_dword v[18:19], v20, off
.LBB43_84:                              ;   in Loop: Header=BB43_3 Depth=1
	s_or_b64 exec, exec, s[6:7]
	s_mov_b64 s[6:7], -1
	s_xor_b64 s[60:61], exec, -1
	s_and_b64 s[0:1], s[0:1], exec
.LBB43_85:                              ;   in Loop: Header=BB43_3 Depth=1
	s_or_b64 exec, exec, s[54:55]
	s_and_b64 s[60:61], s[60:61], exec
	s_orn2_b64 s[0:1], s[0:1], exec
.LBB43_86:                              ;   in Loop: Header=BB43_3 Depth=1
	s_or_b64 exec, exec, s[52:53]
	s_mov_b64 s[54:55], s[4:5]
	s_and_saveexec_b64 s[52:53], s[0:1]
	s_cbranch_execz .LBB43_90
; %bb.87:                               ;   in Loop: Header=BB43_3 Depth=1
	s_waitcnt vmcnt(1)
	v_cmp_le_f32_e32 vcc, 0, v34
	v_cmp_ge_f32_e64 s[0:1], 1.0, v34
	s_and_b64 s[54:55], vcc, s[0:1]
	s_mov_b64 s[0:1], 0
	s_and_saveexec_b64 s[58:59], s[54:55]
	s_xor_b64 s[54:55], exec, s[58:59]
	s_cbranch_execz .LBB43_89
; %bb.88:                               ;   in Loop: Header=BB43_3 Depth=1
	v_cvt_f32_u32_e32 v16, v16
	v_mov_b32_e32 v18, 0x2f800000
	v_lshlrev_b64 v[14:15], 2, v[14:15]
	v_add_co_u32_e32 v14, vcc, s24, v14
	v_fmac_f32_e32 v18, 0x2f800000, v16
	v_mov_b32_e32 v16, s25
	v_addc_co_u32_e32 v15, vcc, v16, v15, vcc
	v_cmp_le_f32_e32 vcc, v18, v34
	v_cndmask_b32_e64 v16, 0, 1, vcc
	s_mov_b64 s[0:1], exec
	global_store_dword v[14:15], v16, off
.LBB43_89:                              ;   in Loop: Header=BB43_3 Depth=1
	s_or_b64 exec, exec, s[54:55]
	s_andn2_b64 s[54:55], s[4:5], exec
	s_or_b64 s[4:5], s[4:5], exec
	s_andn2_b64 s[6:7], s[6:7], exec
	s_and_b64 s[58:59], s[0:1], exec
.LBB43_90:                              ;   in Loop: Header=BB43_3 Depth=1
	s_or_b64 exec, exec, s[52:53]
	s_and_b64 s[54:55], s[54:55], exec
	s_and_b64 s[52:53], s[4:5], exec
	;; [unrolled: 1-line block ×5, first 2 shown]
.LBB43_91:                              ;   in Loop: Header=BB43_3 Depth=1
	s_andn2_saveexec_b64 s[0:1], s[56:57]
; %bb.92:                               ;   in Loop: Header=BB43_3 Depth=1
	v_cmp_lt_i32_e32 vcc, 1, v17
	s_andn2_b64 s[56:57], s[58:59], exec
	s_and_b64 s[58:59], vcc, exec
	s_mov_b64 s[2:3], exec
	s_andn2_b64 s[54:55], s[54:55], exec
	s_andn2_b64 s[52:53], s[52:53], exec
	s_andn2_b64 s[6:7], s[6:7], exec
	s_or_b64 s[58:59], s[56:57], s[58:59]
; %bb.93:                               ;   in Loop: Header=BB43_3 Depth=1
	s_or_b64 exec, exec, s[0:1]
	s_mov_b64 s[0:1], 0
	s_mov_b64 s[56:57], s[54:55]
	s_and_saveexec_b64 s[60:61], s[58:59]
	s_cbranch_execnz .LBB43_101
; %bb.94:                               ;   in Loop: Header=BB43_3 Depth=1
	s_or_b64 exec, exec, s[60:61]
	s_and_saveexec_b64 s[58:59], s[2:3]
	s_cbranch_execnz .LBB43_104
.LBB43_95:                              ;   in Loop: Header=BB43_3 Depth=1
	s_or_b64 exec, exec, s[58:59]
	s_and_saveexec_b64 s[2:3], s[0:1]
	s_cbranch_execnz .LBB43_105
	s_branch .LBB43_108
.LBB43_96:                              ;   in Loop: Header=BB43_97 Depth=2
	s_or_b64 exec, exec, s[0:1]
	v_mad_u64_u32 v[28:29], s[0:1], v26, s4, 0
	s_load_dwordx2 s[0:1], s[2:3], 0xc8
	v_mul_lo_u32 v3, v27, s4
	v_mul_lo_u32 v30, v26, s5
	v_add3_u32 v3, v29, v30, v3
	v_sub_co_u32_e32 v22, vcc, v22, v28
	s_add_i32 s54, s54, -1
	v_subb_co_u32_e32 v3, vcc, v23, v3, vcc
	s_add_u32 s2, s2, -8
	s_waitcnt lgkmcnt(0)
	v_mul_lo_u32 v3, s0, v3
	v_mul_lo_u32 v23, s1, v22
	v_mad_u64_u32 v[24:25], s[0:1], s0, v22, v[24:25]
	s_addc_u32 s3, s3, -1
	s_cmp_gt_u32 s54, 2
	v_add3_u32 v25, v23, v25, v3
	v_pk_mov_b32 v[22:23], v[26:27], v[26:27] op_sel:[0,1]
	s_cbranch_scc0 .LBB43_66
.LBB43_97:                              ;   Parent Loop BB43_3 Depth=1
                                        ; =>  This Inner Loop Header: Depth=2
	s_load_dwordx2 s[4:5], s[2:3], 0x0
                                        ; implicit-def: $vgpr26_vgpr27
	s_waitcnt lgkmcnt(0)
	v_or_b32_e32 v3, s5, v23
	v_cmp_ne_u64_e32 vcc, 0, v[2:3]
	s_and_saveexec_b64 s[0:1], vcc
	s_xor_b64 s[52:53], exec, s[0:1]
	s_cbranch_execz .LBB43_99
; %bb.98:                               ;   in Loop: Header=BB43_97 Depth=2
	v_cvt_f32_u32_e32 v3, s4
	v_cvt_f32_u32_e32 v26, s5
	s_sub_u32 s0, 0, s4
	s_subb_u32 s1, 0, s5
	v_mac_f32_e32 v3, 0x4f800000, v26
	v_rcp_f32_e32 v3, v3
	v_mul_f32_e32 v3, 0x5f7ffffc, v3
	v_mul_f32_e32 v26, 0x2f800000, v3
	v_trunc_f32_e32 v26, v26
	v_mac_f32_e32 v3, 0xcf800000, v26
	v_cvt_u32_f32_e32 v26, v26
	v_cvt_u32_f32_e32 v3, v3
	v_mul_lo_u32 v27, s0, v26
	v_mul_hi_u32 v29, s0, v3
	v_mul_lo_u32 v28, s1, v3
	v_add_u32_e32 v27, v29, v27
	v_mul_lo_u32 v30, s0, v3
	v_add_u32_e32 v27, v27, v28
	v_mul_hi_u32 v29, v3, v30
	v_mul_lo_u32 v31, v3, v27
	v_mul_hi_u32 v28, v3, v27
	v_add_co_u32_e32 v29, vcc, v29, v31
	v_addc_co_u32_e32 v28, vcc, 0, v28, vcc
	s_waitcnt vmcnt(2)
	v_mul_hi_u32 v33, v26, v30
	v_mul_lo_u32 v30, v26, v30
	v_add_co_u32_e32 v29, vcc, v29, v30
	v_mul_hi_u32 v31, v26, v27
	v_addc_co_u32_e32 v28, vcc, v28, v33, vcc
	v_addc_co_u32_e32 v29, vcc, 0, v31, vcc
	v_mul_lo_u32 v27, v26, v27
	v_add_co_u32_e32 v27, vcc, v28, v27
	v_addc_co_u32_e32 v28, vcc, 0, v29, vcc
	v_add_co_u32_e32 v3, vcc, v3, v27
	v_addc_co_u32_e32 v26, vcc, v26, v28, vcc
	v_mul_lo_u32 v27, s0, v26
	v_mul_hi_u32 v28, s0, v3
	v_add_u32_e32 v27, v28, v27
	v_mul_lo_u32 v28, s1, v3
	v_add_u32_e32 v27, v27, v28
	v_mul_lo_u32 v29, s0, v3
	v_mul_hi_u32 v30, v26, v29
	v_mul_lo_u32 v31, v26, v29
	s_waitcnt vmcnt(1)
	v_mul_lo_u32 v34, v3, v27
	v_mul_hi_u32 v29, v3, v29
	v_mul_hi_u32 v33, v3, v27
	v_add_co_u32_e32 v29, vcc, v29, v34
	v_addc_co_u32_e32 v33, vcc, 0, v33, vcc
	v_add_co_u32_e32 v29, vcc, v29, v31
	v_mul_hi_u32 v28, v26, v27
	v_addc_co_u32_e32 v29, vcc, v33, v30, vcc
	v_addc_co_u32_e32 v28, vcc, 0, v28, vcc
	v_mul_lo_u32 v27, v26, v27
	v_add_co_u32_e32 v27, vcc, v29, v27
	v_addc_co_u32_e32 v28, vcc, 0, v28, vcc
	v_add_co_u32_e32 v3, vcc, v3, v27
	v_addc_co_u32_e32 v28, vcc, v26, v28, vcc
	v_mad_u64_u32 v[26:27], s[0:1], v22, v28, 0
	v_mul_hi_u32 v29, v22, v3
	v_add_co_u32_e32 v30, vcc, v29, v26
	v_addc_co_u32_e32 v31, vcc, 0, v27, vcc
	v_mad_u64_u32 v[26:27], s[0:1], v23, v28, 0
	v_mad_u64_u32 v[28:29], s[0:1], v23, v3, 0
	v_add_co_u32_e32 v3, vcc, v30, v28
	v_addc_co_u32_e32 v3, vcc, v31, v29, vcc
	v_addc_co_u32_e32 v27, vcc, 0, v27, vcc
	v_add_co_u32_e32 v3, vcc, v3, v26
	v_addc_co_u32_e32 v28, vcc, 0, v27, vcc
	v_mul_lo_u32 v29, s5, v3
	v_mul_lo_u32 v30, s4, v28
	v_mad_u64_u32 v[26:27], s[0:1], s4, v3, 0
	v_add3_u32 v27, v27, v30, v29
	v_sub_u32_e32 v29, v23, v27
	v_mov_b32_e32 v30, s5
	v_sub_co_u32_e32 v26, vcc, v22, v26
	v_subb_co_u32_e64 v29, s[0:1], v29, v30, vcc
	v_subrev_co_u32_e64 v30, s[0:1], s4, v26
	v_subbrev_co_u32_e64 v29, s[0:1], 0, v29, s[0:1]
	v_cmp_le_u32_e64 s[0:1], s5, v29
	v_cndmask_b32_e64 v31, 0, -1, s[0:1]
	v_cmp_le_u32_e64 s[0:1], s4, v30
	v_cndmask_b32_e64 v30, 0, -1, s[0:1]
	v_cmp_eq_u32_e64 s[0:1], s5, v29
	v_cndmask_b32_e64 v29, v31, v30, s[0:1]
	v_add_co_u32_e64 v30, s[0:1], 2, v3
	v_addc_co_u32_e64 v31, s[0:1], 0, v28, s[0:1]
	v_add_co_u32_e64 v33, s[0:1], 1, v3
	v_addc_co_u32_e64 v34, s[0:1], 0, v28, s[0:1]
	v_subb_co_u32_e32 v27, vcc, v23, v27, vcc
	v_cmp_ne_u32_e64 s[0:1], 0, v29
	v_cmp_le_u32_e32 vcc, s5, v27
	v_cndmask_b32_e64 v29, v34, v31, s[0:1]
	v_cndmask_b32_e64 v31, 0, -1, vcc
	v_cmp_le_u32_e32 vcc, s4, v26
	v_cndmask_b32_e64 v26, 0, -1, vcc
	v_cmp_eq_u32_e32 vcc, s5, v27
	v_cndmask_b32_e32 v26, v31, v26, vcc
	v_cmp_ne_u32_e32 vcc, 0, v26
	v_cndmask_b32_e64 v26, v33, v30, s[0:1]
	v_cndmask_b32_e32 v27, v28, v29, vcc
	v_cndmask_b32_e32 v26, v3, v26, vcc
.LBB43_99:                              ;   in Loop: Header=BB43_97 Depth=2
	s_andn2_saveexec_b64 s[0:1], s[52:53]
	s_cbranch_execz .LBB43_96
; %bb.100:                              ;   in Loop: Header=BB43_97 Depth=2
	v_cvt_f32_u32_e32 v3, s4
	s_sub_i32 s52, 0, s4
	v_rcp_iflag_f32_e32 v3, v3
	v_mul_f32_e32 v3, 0x4f7ffffe, v3
	v_cvt_u32_f32_e32 v3, v3
	v_mul_lo_u32 v26, s52, v3
	v_mul_hi_u32 v26, v3, v26
	v_add_u32_e32 v3, v3, v26
	v_mul_hi_u32 v3, v22, v3
	v_mul_lo_u32 v26, v3, s4
	v_sub_u32_e32 v26, v22, v26
	v_add_u32_e32 v27, 1, v3
	v_subrev_u32_e32 v28, s4, v26
	v_cmp_le_u32_e32 vcc, s4, v26
	v_cndmask_b32_e32 v26, v26, v28, vcc
	v_cndmask_b32_e32 v3, v3, v27, vcc
	v_add_u32_e32 v27, 1, v3
	v_cmp_le_u32_e32 vcc, s4, v26
	v_cndmask_b32_e32 v26, v3, v27, vcc
	v_mov_b32_e32 v27, v2
	s_branch .LBB43_96
.LBB43_101:                             ;   in Loop: Header=BB43_3 Depth=1
	s_waitcnt vmcnt(2)
	v_cmp_le_f32_e32 vcc, 0, v33
	v_cmp_ge_f32_e64 s[0:1], 1.0, v33
	s_and_b64 s[56:57], vcc, s[0:1]
	s_mov_b64 s[0:1], 0
	s_and_saveexec_b64 s[58:59], s[56:57]
	s_xor_b64 s[56:57], exec, s[58:59]
	s_cbranch_execz .LBB43_103
; %bb.102:                              ;   in Loop: Header=BB43_3 Depth=1
	v_cvt_f32_u32_e32 v13, v13
	v_mov_b32_e32 v14, 0x2f800000
	v_lshlrev_b64 v[10:11], 2, v[10:11]
	v_add_co_u32_e32 v10, vcc, s24, v10
	v_fmac_f32_e32 v14, 0x2f800000, v13
	v_mov_b32_e32 v13, s25
	v_addc_co_u32_e32 v11, vcc, v13, v11, vcc
	v_cmp_le_f32_e32 vcc, v14, v33
	v_cndmask_b32_e64 v13, 0, 1, vcc
	s_mov_b64 s[0:1], exec
	global_store_dword v[10:11], v13, off
.LBB43_103:                             ;   in Loop: Header=BB43_3 Depth=1
	s_or_b64 exec, exec, s[56:57]
	s_andn2_b64 s[56:57], s[54:55], exec
	s_or_b64 s[54:55], s[54:55], exec
	s_andn2_b64 s[52:53], s[52:53], exec
	s_andn2_b64 s[6:7], s[6:7], exec
	s_and_b64 s[0:1], s[0:1], exec
	s_andn2_b64 s[2:3], s[2:3], exec
	s_or_b64 exec, exec, s[60:61]
	s_and_saveexec_b64 s[58:59], s[2:3]
	s_cbranch_execz .LBB43_95
.LBB43_104:                             ;   in Loop: Header=BB43_3 Depth=1
	v_cmp_eq_u32_e32 vcc, 1, v17
	s_andn2_b64 s[0:1], s[0:1], exec
	s_and_b64 s[2:3], vcc, exec
	s_andn2_b64 s[56:57], s[56:57], exec
	s_andn2_b64 s[54:55], s[54:55], exec
	;; [unrolled: 1-line block ×4, first 2 shown]
	s_or_b64 s[4:5], s[4:5], exec
	s_or_b64 s[0:1], s[0:1], s[2:3]
	s_or_b64 exec, exec, s[58:59]
	s_and_saveexec_b64 s[2:3], s[0:1]
	s_cbranch_execz .LBB43_108
.LBB43_105:                             ;   in Loop: Header=BB43_3 Depth=1
	s_waitcnt vmcnt(3)
	v_cmp_le_f32_e32 vcc, 0, v3
	v_cmp_ge_f32_e64 s[0:1], 1.0, v3
	s_and_b64 s[60:61], vcc, s[0:1]
	s_mov_b64 s[0:1], 0
	s_and_saveexec_b64 s[58:59], s[60:61]
	s_cbranch_execz .LBB43_107
; %bb.106:                              ;   in Loop: Header=BB43_3 Depth=1
	v_cvt_f32_u32_e32 v10, v12
	v_mov_b32_e32 v11, 0x2f800000
	v_lshlrev_b64 v[8:9], 2, v[8:9]
	v_add_co_u32_e32 v8, vcc, s24, v8
	v_fmac_f32_e32 v11, 0x2f800000, v10
	v_mov_b32_e32 v10, s25
	v_addc_co_u32_e32 v9, vcc, v10, v9, vcc
	v_cmp_le_f32_e32 vcc, v11, v3
	s_mov_b64 s[0:1], exec
	v_cndmask_b32_e64 v3, 0, 1, vcc
	global_store_dword v[8:9], v3, off
.LBB43_107:                             ;   in Loop: Header=BB43_3 Depth=1
	s_or_b64 exec, exec, s[58:59]
	s_andn2_b64 s[4:5], s[4:5], exec
	s_and_b64 s[0:1], s[0:1], exec
	s_or_b64 s[56:57], s[56:57], exec
	s_andn2_b64 s[54:55], s[54:55], exec
	s_andn2_b64 s[52:53], s[52:53], exec
	;; [unrolled: 1-line block ×3, first 2 shown]
	s_or_b64 s[4:5], s[4:5], s[0:1]
.LBB43_108:                             ;   in Loop: Header=BB43_3 Depth=1
	s_or_b64 exec, exec, s[2:3]
	s_andn2_b64 s[2:3], s[50:51], exec
	s_and_b64 s[50:51], s[56:57], exec
	s_or_b64 s[50:51], s[2:3], s[50:51]
	s_andn2_b64 s[2:3], s[48:49], exec
	s_and_b64 s[48:49], s[54:55], exec
	s_or_b64 s[48:49], s[2:3], s[48:49]
	;; [unrolled: 3-line block ×3, first 2 shown]
	s_andn2_b64 s[2:3], s[44:45], exec
	s_and_b64 s[6:7], s[6:7], exec
	s_mov_b64 s[0:1], -1
	s_or_b64 s[44:45], s[2:3], s[6:7]
	s_and_saveexec_b64 s[2:3], s[4:5]
	s_cbranch_execz .LBB43_2
; %bb.109:                              ;   in Loop: Header=BB43_3 Depth=1
	s_waitcnt vmcnt(3)
	v_mov_b32_e32 v3, s63
	v_add_co_u32_e32 v0, vcc, s62, v0
	v_addc_co_u32_e32 v1, vcc, v1, v3, vcc
	v_cmp_le_u64_e32 vcc, s[8:9], v[0:1]
	s_andn2_b64 s[50:51], s[50:51], exec
	s_andn2_b64 s[48:49], s[48:49], exec
	;; [unrolled: 1-line block ×4, first 2 shown]
	s_orn2_b64 s[0:1], vcc, exec
	s_branch .LBB43_2
.LBB43_110:
	s_or_b64 exec, exec, s[36:37]
	s_xor_b64 s[6:7], s[42:43], -1
	s_xor_b64 s[8:9], s[40:41], -1
	s_xor_b64 s[0:1], s[38:39], -1
	s_mov_b64 s[2:3], 0
	s_and_saveexec_b64 s[4:5], s[0:1]
	s_xor_b64 s[0:1], exec, s[4:5]
	s_cbranch_execnz .LBB43_115
; %bb.111:
	s_andn2_saveexec_b64 s[0:1], s[0:1]
	s_cbranch_execnz .LBB43_123
.LBB43_112:
	s_or_b64 exec, exec, s[0:1]
	s_and_b64 exec, exec, s[2:3]
.LBB43_113:
	; divergent unreachable
.LBB43_114:
	s_endpgm
.LBB43_115:
	s_mov_b64 s[4:5], 0
	s_and_saveexec_b64 s[2:3], s[8:9]
	s_xor_b64 s[2:3], exec, s[2:3]
	s_cbranch_execz .LBB43_121
; %bb.116:
	s_and_saveexec_b64 s[8:9], s[6:7]
	s_xor_b64 s[6:7], exec, s[8:9]
	s_cbranch_execz .LBB43_119
; %bb.117:
	s_and_saveexec_b64 s[8:9], s[28:29]
	s_xor_b64 s[8:9], exec, s[8:9]
	s_cbranch_execnz .LBB43_126
.LBB43_118:
	s_or_b64 exec, exec, s[8:9]
	s_and_b64 s[4:5], s[4:5], exec
.LBB43_119:
	s_andn2_saveexec_b64 s[6:7], s[6:7]
	s_cbranch_execnz .LBB43_125
.LBB43_120:
	s_or_b64 exec, exec, s[6:7]
	s_and_b64 s[4:5], s[4:5], exec
.LBB43_121:
	s_andn2_saveexec_b64 s[2:3], s[2:3]
	s_cbranch_execnz .LBB43_124
.LBB43_122:
	s_or_b64 exec, exec, s[2:3]
	s_and_b64 s[2:3], s[4:5], exec
	s_andn2_saveexec_b64 s[0:1], s[0:1]
	s_cbranch_execz .LBB43_112
.LBB43_123:
	s_or_b64 s[2:3], s[2:3], exec
	s_trap 2
	s_or_b64 exec, exec, s[0:1]
	s_and_b64 exec, exec, s[2:3]
	s_cbranch_execnz .LBB43_113
	s_branch .LBB43_114
.LBB43_124:
	s_or_b64 s[4:5], s[4:5], exec
	s_trap 2
	s_branch .LBB43_122
.LBB43_125:
	s_trap 2
	s_or_b64 s[4:5], s[4:5], exec
	s_branch .LBB43_120
.LBB43_126:
	s_mov_b64 s[4:5], exec
	s_trap 2
	s_branch .LBB43_118
	.section	.rodata,"a",@progbits
	.p2align	6, 0x0
	.amdhsa_kernel _ZN2at4cuda12_GLOBAL__N_121kernelPointwiseApply2IZNS_6native9templates4cuda28bernoulli_tensor_cuda_kernelIifEEvRKNS_10TensorBaseES9_NS_15PhiloxCudaStateEEUliRiSB_SB_SB_RKfSD_SD_SD_E_iSC_mLin1ELin1ELi4ELi512ELi2EEEvNS0_6detail10TensorInfoIT0_T2_EENSG_IT1_SI_EESI_T_
		.amdhsa_group_segment_fixed_size 0
		.amdhsa_private_segment_fixed_size 0
		.amdhsa_kernarg_size 1128
		.amdhsa_user_sgpr_count 6
		.amdhsa_user_sgpr_private_segment_buffer 1
		.amdhsa_user_sgpr_dispatch_ptr 0
		.amdhsa_user_sgpr_queue_ptr 0
		.amdhsa_user_sgpr_kernarg_segment_ptr 1
		.amdhsa_user_sgpr_dispatch_id 0
		.amdhsa_user_sgpr_flat_scratch_init 0
		.amdhsa_user_sgpr_kernarg_preload_length 0
		.amdhsa_user_sgpr_kernarg_preload_offset 0
		.amdhsa_user_sgpr_private_segment_size 0
		.amdhsa_uses_dynamic_stack 0
		.amdhsa_system_sgpr_private_segment_wavefront_offset 0
		.amdhsa_system_sgpr_workgroup_id_x 1
		.amdhsa_system_sgpr_workgroup_id_y 0
		.amdhsa_system_sgpr_workgroup_id_z 0
		.amdhsa_system_sgpr_workgroup_info 0
		.amdhsa_system_vgpr_workitem_id 0
		.amdhsa_next_free_vgpr 54
		.amdhsa_next_free_sgpr 68
		.amdhsa_accum_offset 56
		.amdhsa_reserve_vcc 1
		.amdhsa_reserve_flat_scratch 0
		.amdhsa_float_round_mode_32 0
		.amdhsa_float_round_mode_16_64 0
		.amdhsa_float_denorm_mode_32 3
		.amdhsa_float_denorm_mode_16_64 3
		.amdhsa_dx10_clamp 1
		.amdhsa_ieee_mode 1
		.amdhsa_fp16_overflow 0
		.amdhsa_tg_split 0
		.amdhsa_exception_fp_ieee_invalid_op 0
		.amdhsa_exception_fp_denorm_src 0
		.amdhsa_exception_fp_ieee_div_zero 0
		.amdhsa_exception_fp_ieee_overflow 0
		.amdhsa_exception_fp_ieee_underflow 0
		.amdhsa_exception_fp_ieee_inexact 0
		.amdhsa_exception_int_div_zero 0
	.end_amdhsa_kernel
	.section	.text._ZN2at4cuda12_GLOBAL__N_121kernelPointwiseApply2IZNS_6native9templates4cuda28bernoulli_tensor_cuda_kernelIifEEvRKNS_10TensorBaseES9_NS_15PhiloxCudaStateEEUliRiSB_SB_SB_RKfSD_SD_SD_E_iSC_mLin1ELin1ELi4ELi512ELi2EEEvNS0_6detail10TensorInfoIT0_T2_EENSG_IT1_SI_EESI_T_,"axG",@progbits,_ZN2at4cuda12_GLOBAL__N_121kernelPointwiseApply2IZNS_6native9templates4cuda28bernoulli_tensor_cuda_kernelIifEEvRKNS_10TensorBaseES9_NS_15PhiloxCudaStateEEUliRiSB_SB_SB_RKfSD_SD_SD_E_iSC_mLin1ELin1ELi4ELi512ELi2EEEvNS0_6detail10TensorInfoIT0_T2_EENSG_IT1_SI_EESI_T_,comdat
.Lfunc_end43:
	.size	_ZN2at4cuda12_GLOBAL__N_121kernelPointwiseApply2IZNS_6native9templates4cuda28bernoulli_tensor_cuda_kernelIifEEvRKNS_10TensorBaseES9_NS_15PhiloxCudaStateEEUliRiSB_SB_SB_RKfSD_SD_SD_E_iSC_mLin1ELin1ELi4ELi512ELi2EEEvNS0_6detail10TensorInfoIT0_T2_EENSG_IT1_SI_EESI_T_, .Lfunc_end43-_ZN2at4cuda12_GLOBAL__N_121kernelPointwiseApply2IZNS_6native9templates4cuda28bernoulli_tensor_cuda_kernelIifEEvRKNS_10TensorBaseES9_NS_15PhiloxCudaStateEEUliRiSB_SB_SB_RKfSD_SD_SD_E_iSC_mLin1ELin1ELi4ELi512ELi2EEEvNS0_6detail10TensorInfoIT0_T2_EENSG_IT1_SI_EESI_T_
                                        ; -- End function
	.section	.AMDGPU.csdata,"",@progbits
; Kernel info:
; codeLenInByte = 10288
; NumSgprs: 72
; NumVgprs: 54
; NumAgprs: 0
; TotalNumVgprs: 54
; ScratchSize: 0
; MemoryBound: 0
; FloatMode: 240
; IeeeMode: 1
; LDSByteSize: 0 bytes/workgroup (compile time only)
; SGPRBlocks: 8
; VGPRBlocks: 6
; NumSGPRsForWavesPerEU: 72
; NumVGPRsForWavesPerEU: 54
; AccumOffset: 56
; Occupancy: 8
; WaveLimiterHint : 1
; COMPUTE_PGM_RSRC2:SCRATCH_EN: 0
; COMPUTE_PGM_RSRC2:USER_SGPR: 6
; COMPUTE_PGM_RSRC2:TRAP_HANDLER: 0
; COMPUTE_PGM_RSRC2:TGID_X_EN: 1
; COMPUTE_PGM_RSRC2:TGID_Y_EN: 0
; COMPUTE_PGM_RSRC2:TGID_Z_EN: 0
; COMPUTE_PGM_RSRC2:TIDIG_COMP_CNT: 0
; COMPUTE_PGM_RSRC3_GFX90A:ACCUM_OFFSET: 13
; COMPUTE_PGM_RSRC3_GFX90A:TG_SPLIT: 0
	.section	.text._ZN2at4cuda12_GLOBAL__N_121kernelPointwiseApply2IZNS_6native9templates4cuda28bernoulli_tensor_cuda_kernelIlfEEvRKNS_10TensorBaseES9_NS_15PhiloxCudaStateEEUliRlSB_SB_SB_RKfSD_SD_SD_E_lSC_jLi1ELi1ELi4ELi512ELi2EEEvNS0_6detail10TensorInfoIT0_T2_EENSG_IT1_SI_EESI_T_,"axG",@progbits,_ZN2at4cuda12_GLOBAL__N_121kernelPointwiseApply2IZNS_6native9templates4cuda28bernoulli_tensor_cuda_kernelIlfEEvRKNS_10TensorBaseES9_NS_15PhiloxCudaStateEEUliRlSB_SB_SB_RKfSD_SD_SD_E_lSC_jLi1ELi1ELi4ELi512ELi2EEEvNS0_6detail10TensorInfoIT0_T2_EENSG_IT1_SI_EESI_T_,comdat
	.globl	_ZN2at4cuda12_GLOBAL__N_121kernelPointwiseApply2IZNS_6native9templates4cuda28bernoulli_tensor_cuda_kernelIlfEEvRKNS_10TensorBaseES9_NS_15PhiloxCudaStateEEUliRlSB_SB_SB_RKfSD_SD_SD_E_lSC_jLi1ELi1ELi4ELi512ELi2EEEvNS0_6detail10TensorInfoIT0_T2_EENSG_IT1_SI_EESI_T_ ; -- Begin function _ZN2at4cuda12_GLOBAL__N_121kernelPointwiseApply2IZNS_6native9templates4cuda28bernoulli_tensor_cuda_kernelIlfEEvRKNS_10TensorBaseES9_NS_15PhiloxCudaStateEEUliRlSB_SB_SB_RKfSD_SD_SD_E_lSC_jLi1ELi1ELi4ELi512ELi2EEEvNS0_6detail10TensorInfoIT0_T2_EENSG_IT1_SI_EESI_T_
	.p2align	8
	.type	_ZN2at4cuda12_GLOBAL__N_121kernelPointwiseApply2IZNS_6native9templates4cuda28bernoulli_tensor_cuda_kernelIlfEEvRKNS_10TensorBaseES9_NS_15PhiloxCudaStateEEUliRlSB_SB_SB_RKfSD_SD_SD_E_lSC_jLi1ELi1ELi4ELi512ELi2EEEvNS0_6detail10TensorInfoIT0_T2_EENSG_IT1_SI_EESI_T_,@function
_ZN2at4cuda12_GLOBAL__N_121kernelPointwiseApply2IZNS_6native9templates4cuda28bernoulli_tensor_cuda_kernelIlfEEvRKNS_10TensorBaseES9_NS_15PhiloxCudaStateEEUliRlSB_SB_SB_RKfSD_SD_SD_E_lSC_jLi1ELi1ELi4ELi512ELi2EEEvNS0_6detail10TensorInfoIT0_T2_EENSG_IT1_SI_EESI_T_: ; @_ZN2at4cuda12_GLOBAL__N_121kernelPointwiseApply2IZNS_6native9templates4cuda28bernoulli_tensor_cuda_kernelIlfEEvRKNS_10TensorBaseES9_NS_15PhiloxCudaStateEEUliRlSB_SB_SB_RKfSD_SD_SD_E_lSC_jLi1ELi1ELi4ELi512ELi2EEEvNS0_6detail10TensorInfoIT0_T2_EENSG_IT1_SI_EESI_T_
; %bb.0:
	s_load_dword s2, s[4:5], 0x1e4
	s_load_dword s33, s[4:5], 0x1b0
	s_add_u32 s0, s4, 0x1d8
	s_addc_u32 s1, s5, 0
	s_waitcnt lgkmcnt(0)
	s_and_b32 s2, s2, 0xffff
	s_mul_i32 s6, s6, s2
	v_add_u32_e32 v5, s6, v0
	v_lshlrev_b32_e32 v22, 2, v5
	v_cmp_gt_u32_e32 vcc, s33, v22
	s_and_saveexec_b64 s[6:7], vcc
	s_cbranch_execz .LBB44_43
; %bb.1:
	s_load_dword s3, s[0:1], 0x0
	s_load_dword s6, s[4:5], 0x1d0
	s_load_dwordx2 s[16:17], s[4:5], 0x0
	s_load_dword s7, s[4:5], 0x6c
	s_load_dwordx2 s[18:19], s[4:5], 0xd8
	;; [unrolled: 2-line block ×3, first 2 shown]
	s_load_dwordx4 s[12:15], s[4:5], 0x1b8
	s_mov_b32 s54, 0xcd9e8d57
	s_waitcnt lgkmcnt(0)
	v_mul_lo_u32 v2, s7, v22
	s_bitcmp1_b32 s6, 0
	v_mad_u64_u32 v[0:1], s[0:1], v5, s54, 0
	v_add_u32_e32 v23, s7, v2
	v_add_u32_e32 v2, 2, v22
	s_mul_i32 s2, s3, s2
	s_cselect_b64 s[0:1], -1, 0
	v_mul_lo_u32 v24, s7, v2
	v_mul_lo_u32 v7, s7, v5
	;; [unrolled: 1-line block ×4, first 2 shown]
	s_lshl_b32 s56, s2, 2
	s_mul_i32 s3, s2, s7
	v_add_u32_e32 v6, 3, v22
	v_lshlrev_b32_e32 v26, 2, v7
	v_mul_lo_u32 v7, s8, v22
	s_mul_i32 s2, s2, s8
	v_lshlrev_b32_e32 v30, 2, v2
	v_cndmask_b32_e64 v2, 0, 1, s[0:1]
	s_mov_b32 s55, 0
	v_mov_b32_e32 v3, 0
	v_mov_b32_e32 v4, v1
	v_sub_u32_e32 v1, s33, v22
	s_lshl_b32 s57, s3, 2
	v_mul_lo_u32 v25, s7, v6
	v_add_u32_e32 v27, s8, v7
	s_lshl_b32 s58, s2, 2
	v_mul_lo_u32 v29, s8, v6
	s_mov_b64 s[24:25], 0
	v_mov_b32_e32 v31, s19
	v_cmp_ne_u32_e64 s[0:1], 1, v2
	s_mov_b32 s19, 0xd2511f53
	s_mov_b32 s59, 0xf1bbcdc8
	;; [unrolled: 1-line block ×4, first 2 shown]
                                        ; implicit-def: $sgpr26_sgpr27
                                        ; implicit-def: $sgpr28_sgpr29
                                        ; implicit-def: $sgpr30_sgpr31
                                        ; implicit-def: $sgpr22_sgpr23
                                        ; implicit-def: $sgpr34_sgpr35
                                        ; implicit-def: $sgpr36_sgpr37
                                        ; implicit-def: $sgpr38_sgpr39
                                        ; implicit-def: $sgpr40_sgpr41
	s_branch .LBB44_3
.LBB44_2:                               ;   in Loop: Header=BB44_3 Depth=1
	s_or_b64 exec, exec, s[4:5]
	s_and_b64 s[2:3], exec, s[2:3]
	s_or_b64 s[24:25], s[2:3], s[24:25]
	s_andn2_b64 s[2:3], s[22:23], exec
	s_and_b64 s[4:5], s[40:41], exec
	s_or_b64 s[22:23], s[2:3], s[4:5]
	s_andn2_b64 s[2:3], s[30:31], exec
	s_and_b64 s[4:5], s[38:39], exec
	s_or_b64 s[30:31], s[2:3], s[4:5]
	s_andn2_b64 s[2:3], s[28:29], exec
	s_and_b64 s[4:5], s[36:37], exec
	s_or_b64 s[28:29], s[2:3], s[4:5]
	s_andn2_b64 s[2:3], s[26:27], exec
	s_and_b64 s[4:5], s[34:35], exec
	s_or_b64 s[26:27], s[2:3], s[4:5]
	s_andn2_b64 exec, exec, s[24:25]
	s_cbranch_execz .LBB44_39
.LBB44_3:                               ; =>This Inner Loop Header: Depth=1
	v_add_u32_e32 v2, s60, v30
	v_cmp_lt_i32_e64 s[2:3], 0, v1
	v_cndmask_b32_e64 v2, 0, v2, s[2:3]
	v_add_u32_e32 v8, s60, v27
	v_lshlrev_b64 v[6:7], 2, v[2:3]
	v_cmp_lt_i32_e64 s[4:5], 1, v1
	v_add_co_u32_e32 v6, vcc, s18, v6
	v_cndmask_b32_e64 v2, 0, v8, s[4:5]
	v_add_u32_e32 v10, s60, v28
	v_addc_co_u32_e32 v7, vcc, v31, v7, vcc
	v_lshlrev_b64 v[8:9], 2, v[2:3]
	v_cmp_lt_i32_e64 s[6:7], 2, v1
	v_add_co_u32_e32 v8, vcc, s18, v8
	v_cndmask_b32_e64 v2, 0, v10, s[6:7]
	v_add_u32_e32 v12, s60, v29
	v_addc_co_u32_e32 v9, vcc, v31, v9, vcc
	v_lshlrev_b64 v[10:11], 2, v[2:3]
	v_cmp_lt_i32_e64 s[8:9], 3, v1
	v_add_co_u32_e32 v10, vcc, s18, v10
	v_cndmask_b32_e64 v2, 0, v12, s[8:9]
	v_addc_co_u32_e32 v11, vcc, v31, v11, vcc
	v_lshlrev_b64 v[12:13], 2, v[2:3]
	v_add_co_u32_e32 v12, vcc, s18, v12
	v_addc_co_u32_e32 v13, vcc, v31, v13, vcc
	global_load_dword v32, v[6:7], off
	global_load_dword v33, v[8:9], off
	;; [unrolled: 1-line block ×4, first 2 shown]
	s_and_b64 vcc, exec, s[0:1]
	v_pk_mov_b32 v[6:7], s[14:15], s[14:15] op_sel:[0,1]
	v_pk_mov_b32 v[8:9], s[12:13], s[12:13] op_sel:[0,1]
	s_cbranch_vccnz .LBB44_5
; %bb.4:                                ;   in Loop: Header=BB44_3 Depth=1
	v_pk_mov_b32 v[6:7], s[14:15], s[14:15] op_sel:[0,1]
	flat_load_dwordx2 v[6:7], v[6:7]
	v_pk_mov_b32 v[8:9], s[12:13], s[12:13] op_sel:[0,1]
	flat_load_dwordx2 v[8:9], v[8:9]
	v_mov_b32_e32 v2, s21
	s_waitcnt vmcnt(0) lgkmcnt(0)
	v_add_co_u32_e32 v6, vcc, s20, v6
	v_addc_co_u32_e32 v7, vcc, v7, v2, vcc
.LBB44_5:                               ;   in Loop: Header=BB44_3 Depth=1
	v_alignbit_b32 v18, v7, v6, 2
	v_lshrrev_b32_e32 v19, 2, v7
	v_xor_b32_e32 v10, v4, v8
	v_and_b32_e32 v2, 3, v6
	v_mad_u64_u32 v[6:7], s[10:11], v18, s19, 0
	v_xor_b32_e32 v10, v10, v19
	v_xor_b32_e32 v7, v7, v9
	v_add_u32_e32 v40, 0xbb67ae85, v9
	v_mad_u64_u32 v[10:11], s[10:11], v10, s19, 0
	v_mad_u64_u32 v[12:13], s[10:11], v7, s54, 0
	v_xor_b32_e32 v11, v40, v11
	v_add_u32_e32 v39, 0x9e3779b9, v8
	v_xor_b32_e32 v7, v0, v13
	v_xor_b32_e32 v11, v11, v6
	v_xor_b32_e32 v7, v7, v39
	v_add_u32_e32 v41, 0x3c6ef372, v8
	v_mad_u64_u32 v[14:15], s[10:11], v11, s54, 0
	v_add_u32_e32 v42, 0x76cf5d0a, v9
	v_mad_u64_u32 v[6:7], s[10:11], v7, s19, 0
	v_xor_b32_e32 v11, v41, v15
	v_xor_b32_e32 v11, v11, v12
	v_xor_b32_e32 v7, v42, v7
	v_xor_b32_e32 v7, v7, v10
	v_add_u32_e32 v44, 0x32370b8f, v9
	v_mad_u64_u32 v[10:11], s[10:11], v11, s19, 0
	v_add_u32_e32 v43, 0xdaa66d2b, v8
	v_mad_u64_u32 v[12:13], s[10:11], v7, s54, 0
	v_xor_b32_e32 v11, v44, v11
	;; [unrolled: 8-line block ×5, first 2 shown]
	v_xor_b32_e32 v11, v11, v12
	v_xor_b32_e32 v7, v50, v7
	;; [unrolled: 1-line block ×3, first 2 shown]
	v_add_u32_e32 v52, 0x1fd5c5a3, v9
	v_mad_u64_u32 v[10:11], s[10:11], v11, s19, 0
	v_xor_b32_e32 v11, v52, v11
	v_xor_b32_e32 v6, v11, v6
	v_add_u32_e32 v51, 0x5384540f, v8
	v_mad_u64_u32 v[16:17], s[10:11], v7, s54, 0
	v_add_co_u32_e32 v37, vcc, s59, v8
	v_mad_u64_u32 v[12:13], s[10:11], v6, s54, 0
	v_xor_b32_e32 v7, v51, v17
	v_xor_b32_e32 v6, v37, v13
	;; [unrolled: 1-line block ×4, first 2 shown]
	v_mad_u64_u32 v[14:15], s[10:11], v7, s19, 0
	v_mad_u64_u32 v[6:7], s[10:11], v6, s19, 0
	v_add_u32_e32 v38, 0x96a522ad, v9
	v_xor_b32_e32 v7, v7, v14
	v_xor_b32_e32 v36, v38, v7
	v_add_co_u32_e32 v7, vcc, 1, v18
	v_cndmask_b32_e64 v14, 0, 1, vcc
	v_addc_co_u32_e32 v20, vcc, 0, v19, vcc
	v_cmp_eq_u32_e32 vcc, 0, v20
	v_cndmask_b32_e32 v14, 0, v14, vcc
	v_add_u32_e32 v18, v14, v5
	v_cmp_eq_u32_e32 vcc, 0, v18
	v_mad_u64_u32 v[16:17], s[10:11], v7, s19, 0
	v_mad_u64_u32 v[18:19], s[10:11], v18, s54, 0
	v_add_u32_e32 v13, 0x8ff34781, v8
	v_cndmask_b32_e32 v14, 0, v14, vcc
	v_xor_b32_e32 v7, v19, v8
	v_xor_b32_e32 v8, v17, v9
	;; [unrolled: 1-line block ×4, first 2 shown]
	v_mad_u64_u32 v[20:21], s[10:11], v14, s54, 0
	v_add_u32_e32 v11, 0xdb3d7428, v9
	v_mad_u64_u32 v[8:9], s[10:11], v7, s19, 0
	v_xor_b32_e32 v7, v39, v21
	v_xor_b32_e32 v7, v7, v18
	v_xor_b32_e32 v9, v40, v9
	v_xor_b32_e32 v9, v9, v16
	v_mad_u64_u32 v[16:17], s[10:11], v7, s19, 0
	v_mad_u64_u32 v[18:19], s[10:11], v9, s54, 0
	v_xor_b32_e32 v9, v42, v17
	v_xor_b32_e32 v7, v41, v19
	v_xor_b32_e32 v14, v9, v8
	v_xor_b32_e32 v7, v7, v20
	v_mad_u64_u32 v[20:21], s[10:11], v14, s54, 0
	;; [unrolled: 6-line block ×7, first 2 shown]
	v_xor_b32_e32 v7, v11, v19
	v_xor_b32_e32 v7, v7, v8
	v_mad_u64_u32 v[20:21], s[10:11], v9, s54, 0
	v_mad_u64_u32 v[8:9], s[10:11], v7, s54, 0
	v_xor_b32_e32 v7, v9, v20
	v_xor_b32_e32 v7, v13, v7
	v_cmp_lt_i32_e32 vcc, 1, v2
                                        ; implicit-def: $vgpr17
	s_and_saveexec_b64 s[10:11], vcc
	s_xor_b64 s[10:11], exec, s[10:11]
	s_cbranch_execz .LBB44_11
; %bb.6:                                ;   in Loop: Header=BB44_3 Depth=1
	v_cmp_lt_i32_e32 vcc, 2, v2
                                        ; implicit-def: $vgpr17
	s_and_saveexec_b64 s[42:43], vcc
	s_xor_b64 s[42:43], exec, s[42:43]
; %bb.7:                                ;   in Loop: Header=BB44_3 Depth=1
	v_xor_b32_e32 v2, v37, v21
	v_xor_b32_e32 v2, v2, v16
	v_mul_hi_u32 v2, v2, s19
	v_xor_b32_e32 v2, v2, v18
	v_xor_b32_e32 v17, v38, v2
                                        ; implicit-def: $vgpr36
; %bb.8:                                ;   in Loop: Header=BB44_3 Depth=1
	s_andn2_saveexec_b64 s[42:43], s[42:43]
; %bb.9:                                ;   in Loop: Header=BB44_3 Depth=1
	v_mov_b32_e32 v17, v8
	v_mov_b32_e32 v8, v7
	;; [unrolled: 1-line block ×4, first 2 shown]
; %bb.10:                               ;   in Loop: Header=BB44_3 Depth=1
	s_or_b64 exec, exec, s[42:43]
                                        ; implicit-def: $vgpr10_vgpr11
                                        ; implicit-def: $vgpr12_vgpr13
                                        ; implicit-def: $vgpr2
                                        ; implicit-def: $vgpr36
                                        ; implicit-def: $vgpr14_vgpr15
                                        ; implicit-def: $vgpr11
                                        ; implicit-def: $vgpr13
.LBB44_11:                              ;   in Loop: Header=BB44_3 Depth=1
	s_andn2_saveexec_b64 s[10:11], s[10:11]
	s_cbranch_execz .LBB44_15
; %bb.12:                               ;   in Loop: Header=BB44_3 Depth=1
	v_xor_b32_e32 v8, v11, v15
	v_xor_b32_e32 v8, v8, v10
	v_mad_u64_u32 v[10:11], s[42:43], v8, s54, 0
	v_xor_b32_e32 v8, v11, v12
	v_xor_b32_e32 v9, v13, v8
	v_cmp_eq_u32_e32 vcc, 1, v2
	v_mov_b32_e32 v17, v6
	v_mov_b32_e32 v8, v36
	v_mov_b32_e32 v2, v10
	s_and_saveexec_b64 s[42:43], vcc
; %bb.13:                               ;   in Loop: Header=BB44_3 Depth=1
	v_mov_b32_e32 v17, v7
	v_mov_b32_e32 v8, v6
	v_mov_b32_e32 v2, v36
	v_mov_b32_e32 v9, v10
; %bb.14:                               ;   in Loop: Header=BB44_3 Depth=1
	s_or_b64 exec, exec, s[42:43]
	v_mov_b32_e32 v6, v9
	v_mov_b32_e32 v7, v2
.LBB44_15:                              ;   in Loop: Header=BB44_3 Depth=1
	s_or_b64 exec, exec, s[10:11]
	v_min_i32_e32 v9, 4, v1
	v_cmp_lt_i32_e32 vcc, 2, v9
	s_mov_b64 s[42:43], 0
	s_mov_b64 s[52:53], 0
                                        ; implicit-def: $sgpr10_sgpr11
                                        ; implicit-def: $sgpr44_sgpr45
                                        ; implicit-def: $sgpr46_sgpr47
	s_and_saveexec_b64 s[48:49], vcc
	s_xor_b64 s[48:49], exec, s[48:49]
	s_cbranch_execz .LBB44_25
; %bb.16:                               ;   in Loop: Header=BB44_3 Depth=1
	v_cmp_lt_i32_e32 vcc, 3, v9
	s_mov_b64 s[46:47], -1
                                        ; implicit-def: $sgpr10_sgpr11
                                        ; implicit-def: $sgpr50_sgpr51
	s_and_saveexec_b64 s[44:45], vcc
	s_cbranch_execz .LBB44_20
; %bb.17:                               ;   in Loop: Header=BB44_3 Depth=1
	s_waitcnt vmcnt(0)
	v_cmp_le_f32_e32 vcc, 0, v35
	v_cmp_ge_f32_e64 s[10:11], 1.0, v35
	s_and_b64 s[52:53], vcc, s[10:11]
	s_mov_b64 s[10:11], 0
	s_mov_b64 s[46:47], 0
	s_and_saveexec_b64 s[50:51], s[52:53]
	s_cbranch_execz .LBB44_19
; %bb.18:                               ;   in Loop: Header=BB44_3 Depth=1
	v_cvt_f32_u32_e32 v2, v17
	v_mov_b32_e32 v12, 0x2f800000
	v_add_u32_e32 v10, s61, v25
	s_mov_b64 s[46:47], exec
	v_fmac_f32_e32 v12, 0x2f800000, v2
	v_cndmask_b32_e64 v2, 0, v10, s[8:9]
	v_lshlrev_b64 v[10:11], 3, v[2:3]
	v_mov_b32_e32 v2, s17
	v_add_co_u32_e32 v10, vcc, s16, v10
	v_addc_co_u32_e32 v11, vcc, v2, v11, vcc
	v_cmp_le_f32_e32 vcc, v12, v35
	v_cndmask_b32_e64 v12, 0, 1, vcc
	v_mov_b32_e32 v13, s55
	global_store_dwordx2 v[10:11], v[12:13], off
.LBB44_19:                              ;   in Loop: Header=BB44_3 Depth=1
	s_or_b64 exec, exec, s[50:51]
	s_mov_b64 s[50:51], -1
	s_orn2_b64 s[46:47], s[46:47], exec
.LBB44_20:                              ;   in Loop: Header=BB44_3 Depth=1
	s_or_b64 exec, exec, s[44:45]
	s_mov_b64 s[8:9], 0
	s_mov_b64 s[52:53], s[10:11]
	s_and_saveexec_b64 s[44:45], s[46:47]
	s_cbranch_execz .LBB44_24
; %bb.21:                               ;   in Loop: Header=BB44_3 Depth=1
	s_waitcnt vmcnt(1)
	v_cmp_le_f32_e32 vcc, 0, v34
	v_cmp_ge_f32_e64 s[8:9], 1.0, v34
	s_and_b64 s[46:47], vcc, s[8:9]
	s_mov_b64 s[8:9], 0
	s_and_saveexec_b64 s[52:53], s[46:47]
	s_xor_b64 s[46:47], exec, s[52:53]
	s_cbranch_execz .LBB44_23
; %bb.22:                               ;   in Loop: Header=BB44_3 Depth=1
	v_cvt_f32_u32_e32 v2, v8
	v_mov_b32_e32 v8, 0x2f800000
	v_add_u32_e32 v10, s61, v24
	v_mov_b32_e32 v13, s55
	v_fmac_f32_e32 v8, 0x2f800000, v2
	v_cndmask_b32_e64 v2, 0, v10, s[6:7]
	v_lshlrev_b64 v[10:11], 3, v[2:3]
	v_mov_b32_e32 v2, s17
	v_add_co_u32_e32 v10, vcc, s16, v10
	v_addc_co_u32_e32 v11, vcc, v2, v11, vcc
	v_cmp_le_f32_e32 vcc, v8, v34
	v_cndmask_b32_e64 v12, 0, 1, vcc
	s_mov_b64 s[8:9], exec
	global_store_dwordx2 v[10:11], v[12:13], off
.LBB44_23:                              ;   in Loop: Header=BB44_3 Depth=1
	s_or_b64 exec, exec, s[46:47]
	s_andn2_b64 s[52:53], s[10:11], exec
	s_or_b64 s[10:11], s[10:11], exec
	s_andn2_b64 s[50:51], s[50:51], exec
	s_and_b64 s[8:9], s[8:9], exec
.LBB44_24:                              ;   in Loop: Header=BB44_3 Depth=1
	s_or_b64 exec, exec, s[44:45]
	s_and_b64 s[46:47], s[52:53], exec
	s_and_b64 s[44:45], s[10:11], exec
	;; [unrolled: 1-line block ×4, first 2 shown]
.LBB44_25:                              ;   in Loop: Header=BB44_3 Depth=1
	s_andn2_saveexec_b64 s[6:7], s[48:49]
; %bb.26:                               ;   in Loop: Header=BB44_3 Depth=1
	v_cmp_lt_i32_e32 vcc, 1, v9
	s_andn2_b64 s[8:9], s[52:53], exec
	s_and_b64 s[48:49], vcc, exec
	s_mov_b64 s[42:43], exec
	s_andn2_b64 s[46:47], s[46:47], exec
	s_andn2_b64 s[44:45], s[44:45], exec
	;; [unrolled: 1-line block ×3, first 2 shown]
	s_or_b64 s[52:53], s[8:9], s[48:49]
; %bb.27:                               ;   in Loop: Header=BB44_3 Depth=1
	s_or_b64 exec, exec, s[6:7]
	s_mov_b64 s[8:9], 0
	s_mov_b64 s[48:49], 0
	;; [unrolled: 1-line block ×3, first 2 shown]
	s_and_saveexec_b64 s[50:51], s[52:53]
	s_cbranch_execnz .LBB44_30
; %bb.28:                               ;   in Loop: Header=BB44_3 Depth=1
	s_or_b64 exec, exec, s[50:51]
	s_and_saveexec_b64 s[4:5], s[42:43]
	s_cbranch_execnz .LBB44_33
.LBB44_29:                              ;   in Loop: Header=BB44_3 Depth=1
	s_or_b64 exec, exec, s[4:5]
	s_and_saveexec_b64 s[42:43], s[48:49]
	s_cbranch_execnz .LBB44_34
	s_branch .LBB44_37
.LBB44_30:                              ;   in Loop: Header=BB44_3 Depth=1
	s_waitcnt vmcnt(2)
	v_cmp_le_f32_e32 vcc, 0, v33
	v_cmp_ge_f32_e64 s[6:7], 1.0, v33
	s_and_b64 s[6:7], vcc, s[6:7]
	s_and_saveexec_b64 s[52:53], s[6:7]
	s_xor_b64 s[6:7], exec, s[52:53]
	s_cbranch_execz .LBB44_32
; %bb.31:                               ;   in Loop: Header=BB44_3 Depth=1
	v_cvt_f32_u32_e32 v2, v7
	v_mov_b32_e32 v7, 0x2f800000
	v_add_u32_e32 v8, s61, v23
	v_mov_b32_e32 v13, s55
	v_fmac_f32_e32 v7, 0x2f800000, v2
	v_cndmask_b32_e64 v2, 0, v8, s[4:5]
	v_lshlrev_b64 v[10:11], 3, v[2:3]
	v_mov_b32_e32 v2, s17
	v_add_co_u32_e32 v10, vcc, s16, v10
	v_addc_co_u32_e32 v11, vcc, v2, v11, vcc
	v_cmp_le_f32_e32 vcc, v7, v33
	v_cndmask_b32_e64 v12, 0, 1, vcc
	s_mov_b64 s[48:49], exec
	global_store_dwordx2 v[10:11], v[12:13], off
.LBB44_32:                              ;   in Loop: Header=BB44_3 Depth=1
	s_or_b64 exec, exec, s[6:7]
	s_andn2_b64 s[6:7], s[46:47], exec
	s_or_b64 s[46:47], s[46:47], exec
	s_andn2_b64 s[44:45], s[44:45], exec
	s_andn2_b64 s[10:11], s[10:11], exec
	s_and_b64 s[48:49], s[48:49], exec
	s_andn2_b64 s[42:43], s[42:43], exec
	s_or_b64 exec, exec, s[50:51]
	s_and_saveexec_b64 s[4:5], s[42:43]
	s_cbranch_execz .LBB44_29
.LBB44_33:                              ;   in Loop: Header=BB44_3 Depth=1
	v_cmp_eq_u32_e32 vcc, 1, v9
	s_andn2_b64 s[42:43], s[48:49], exec
	s_and_b64 s[48:49], vcc, exec
	s_mov_b64 s[8:9], exec
	s_andn2_b64 s[6:7], s[6:7], exec
	s_andn2_b64 s[46:47], s[46:47], exec
	;; [unrolled: 1-line block ×4, first 2 shown]
	s_or_b64 s[48:49], s[42:43], s[48:49]
	s_or_b64 exec, exec, s[4:5]
	s_and_saveexec_b64 s[42:43], s[48:49]
	s_cbranch_execz .LBB44_37
.LBB44_34:                              ;   in Loop: Header=BB44_3 Depth=1
	s_waitcnt vmcnt(3)
	v_cmp_le_f32_e32 vcc, 0, v32
	v_cmp_ge_f32_e64 s[4:5], 1.0, v32
	s_and_b64 s[50:51], vcc, s[4:5]
	s_mov_b64 s[4:5], 0
	s_and_saveexec_b64 s[48:49], s[50:51]
	s_cbranch_execz .LBB44_36
; %bb.35:                               ;   in Loop: Header=BB44_3 Depth=1
	v_cvt_f32_u32_e32 v2, v6
	v_mov_b32_e32 v8, 0x2f800000
	v_add_u32_e32 v6, s61, v26
	s_mov_b64 s[4:5], exec
	v_fmac_f32_e32 v8, 0x2f800000, v2
	v_cndmask_b32_e64 v2, 0, v6, s[2:3]
	v_lshlrev_b64 v[6:7], 3, v[2:3]
	v_mov_b32_e32 v2, s17
	v_add_co_u32_e32 v6, vcc, s16, v6
	v_addc_co_u32_e32 v7, vcc, v2, v7, vcc
	v_cmp_le_f32_e32 vcc, v8, v32
	v_cndmask_b32_e64 v8, 0, 1, vcc
	v_mov_b32_e32 v9, s55
	global_store_dwordx2 v[6:7], v[8:9], off
.LBB44_36:                              ;   in Loop: Header=BB44_3 Depth=1
	s_or_b64 exec, exec, s[48:49]
	s_andn2_b64 s[2:3], s[8:9], exec
	s_and_b64 s[4:5], s[4:5], exec
	s_or_b64 s[6:7], s[6:7], exec
	s_andn2_b64 s[46:47], s[46:47], exec
	s_andn2_b64 s[44:45], s[44:45], exec
	;; [unrolled: 1-line block ×3, first 2 shown]
	s_or_b64 s[8:9], s[2:3], s[4:5]
.LBB44_37:                              ;   in Loop: Header=BB44_3 Depth=1
	s_or_b64 exec, exec, s[42:43]
	s_andn2_b64 s[4:5], s[40:41], exec
	s_and_b64 s[6:7], s[6:7], exec
	s_or_b64 s[40:41], s[4:5], s[6:7]
	s_andn2_b64 s[4:5], s[38:39], exec
	s_and_b64 s[6:7], s[46:47], exec
	s_or_b64 s[38:39], s[4:5], s[6:7]
	;; [unrolled: 3-line block ×3, first 2 shown]
	s_andn2_b64 s[4:5], s[34:35], exec
	s_and_b64 s[6:7], s[10:11], exec
	s_mov_b64 s[2:3], -1
	s_or_b64 s[34:35], s[4:5], s[6:7]
	s_and_saveexec_b64 s[4:5], s[8:9]
	s_cbranch_execz .LBB44_2
; %bb.38:                               ;   in Loop: Header=BB44_3 Depth=1
	v_add_u32_e32 v22, s56, v22
	v_cmp_le_u32_e32 vcc, s33, v22
	v_subrev_u32_e32 v1, s56, v1
	s_add_i32 s61, s61, s57
	s_add_i32 s60, s60, s58
	s_andn2_b64 s[40:41], s[40:41], exec
	s_andn2_b64 s[38:39], s[38:39], exec
	;; [unrolled: 1-line block ×4, first 2 shown]
	s_orn2_b64 s[2:3], vcc, exec
	s_branch .LBB44_2
.LBB44_39:
	s_or_b64 exec, exec, s[24:25]
	s_xor_b64 s[6:7], s[30:31], -1
	s_xor_b64 s[8:9], s[28:29], -1
	;; [unrolled: 1-line block ×3, first 2 shown]
	s_mov_b64 s[2:3], 0
	s_and_saveexec_b64 s[4:5], s[0:1]
	s_xor_b64 s[0:1], exec, s[4:5]
	s_cbranch_execnz .LBB44_44
; %bb.40:
	s_andn2_saveexec_b64 s[0:1], s[0:1]
	s_cbranch_execnz .LBB44_52
.LBB44_41:
	s_or_b64 exec, exec, s[0:1]
	s_and_b64 exec, exec, s[2:3]
.LBB44_42:
	; divergent unreachable
.LBB44_43:
	s_endpgm
.LBB44_44:
	s_mov_b64 s[4:5], 0
	s_and_saveexec_b64 s[2:3], s[8:9]
	s_xor_b64 s[2:3], exec, s[2:3]
	s_cbranch_execz .LBB44_50
; %bb.45:
	s_and_saveexec_b64 s[8:9], s[6:7]
	s_xor_b64 s[6:7], exec, s[8:9]
	s_cbranch_execz .LBB44_48
; %bb.46:
	s_and_saveexec_b64 s[8:9], s[22:23]
	s_xor_b64 s[8:9], exec, s[8:9]
	s_cbranch_execnz .LBB44_55
.LBB44_47:
	s_or_b64 exec, exec, s[8:9]
	s_and_b64 s[4:5], s[4:5], exec
.LBB44_48:
	s_andn2_saveexec_b64 s[6:7], s[6:7]
	s_cbranch_execnz .LBB44_54
.LBB44_49:
	s_or_b64 exec, exec, s[6:7]
	s_and_b64 s[4:5], s[4:5], exec
.LBB44_50:
	s_andn2_saveexec_b64 s[2:3], s[2:3]
	s_cbranch_execnz .LBB44_53
.LBB44_51:
	s_or_b64 exec, exec, s[2:3]
	s_and_b64 s[2:3], s[4:5], exec
	s_andn2_saveexec_b64 s[0:1], s[0:1]
	s_cbranch_execz .LBB44_41
.LBB44_52:
	s_or_b64 s[2:3], s[2:3], exec
	s_trap 2
	s_or_b64 exec, exec, s[0:1]
	s_and_b64 exec, exec, s[2:3]
	s_cbranch_execnz .LBB44_42
	s_branch .LBB44_43
.LBB44_53:
	s_or_b64 s[4:5], s[4:5], exec
	s_trap 2
	s_branch .LBB44_51
.LBB44_54:
	s_trap 2
	s_or_b64 s[4:5], s[4:5], exec
	s_branch .LBB44_49
.LBB44_55:
	s_mov_b64 s[4:5], exec
	s_trap 2
	s_branch .LBB44_47
	.section	.rodata,"a",@progbits
	.p2align	6, 0x0
	.amdhsa_kernel _ZN2at4cuda12_GLOBAL__N_121kernelPointwiseApply2IZNS_6native9templates4cuda28bernoulli_tensor_cuda_kernelIlfEEvRKNS_10TensorBaseES9_NS_15PhiloxCudaStateEEUliRlSB_SB_SB_RKfSD_SD_SD_E_lSC_jLi1ELi1ELi4ELi512ELi2EEEvNS0_6detail10TensorInfoIT0_T2_EENSG_IT1_SI_EESI_T_
		.amdhsa_group_segment_fixed_size 0
		.amdhsa_private_segment_fixed_size 0
		.amdhsa_kernarg_size 728
		.amdhsa_user_sgpr_count 6
		.amdhsa_user_sgpr_private_segment_buffer 1
		.amdhsa_user_sgpr_dispatch_ptr 0
		.amdhsa_user_sgpr_queue_ptr 0
		.amdhsa_user_sgpr_kernarg_segment_ptr 1
		.amdhsa_user_sgpr_dispatch_id 0
		.amdhsa_user_sgpr_flat_scratch_init 0
		.amdhsa_user_sgpr_kernarg_preload_length 0
		.amdhsa_user_sgpr_kernarg_preload_offset 0
		.amdhsa_user_sgpr_private_segment_size 0
		.amdhsa_uses_dynamic_stack 0
		.amdhsa_system_sgpr_private_segment_wavefront_offset 0
		.amdhsa_system_sgpr_workgroup_id_x 1
		.amdhsa_system_sgpr_workgroup_id_y 0
		.amdhsa_system_sgpr_workgroup_id_z 0
		.amdhsa_system_sgpr_workgroup_info 0
		.amdhsa_system_vgpr_workitem_id 0
		.amdhsa_next_free_vgpr 53
		.amdhsa_next_free_sgpr 62
		.amdhsa_accum_offset 56
		.amdhsa_reserve_vcc 1
		.amdhsa_reserve_flat_scratch 0
		.amdhsa_float_round_mode_32 0
		.amdhsa_float_round_mode_16_64 0
		.amdhsa_float_denorm_mode_32 3
		.amdhsa_float_denorm_mode_16_64 3
		.amdhsa_dx10_clamp 1
		.amdhsa_ieee_mode 1
		.amdhsa_fp16_overflow 0
		.amdhsa_tg_split 0
		.amdhsa_exception_fp_ieee_invalid_op 0
		.amdhsa_exception_fp_denorm_src 0
		.amdhsa_exception_fp_ieee_div_zero 0
		.amdhsa_exception_fp_ieee_overflow 0
		.amdhsa_exception_fp_ieee_underflow 0
		.amdhsa_exception_fp_ieee_inexact 0
		.amdhsa_exception_int_div_zero 0
	.end_amdhsa_kernel
	.section	.text._ZN2at4cuda12_GLOBAL__N_121kernelPointwiseApply2IZNS_6native9templates4cuda28bernoulli_tensor_cuda_kernelIlfEEvRKNS_10TensorBaseES9_NS_15PhiloxCudaStateEEUliRlSB_SB_SB_RKfSD_SD_SD_E_lSC_jLi1ELi1ELi4ELi512ELi2EEEvNS0_6detail10TensorInfoIT0_T2_EENSG_IT1_SI_EESI_T_,"axG",@progbits,_ZN2at4cuda12_GLOBAL__N_121kernelPointwiseApply2IZNS_6native9templates4cuda28bernoulli_tensor_cuda_kernelIlfEEvRKNS_10TensorBaseES9_NS_15PhiloxCudaStateEEUliRlSB_SB_SB_RKfSD_SD_SD_E_lSC_jLi1ELi1ELi4ELi512ELi2EEEvNS0_6detail10TensorInfoIT0_T2_EENSG_IT1_SI_EESI_T_,comdat
.Lfunc_end44:
	.size	_ZN2at4cuda12_GLOBAL__N_121kernelPointwiseApply2IZNS_6native9templates4cuda28bernoulli_tensor_cuda_kernelIlfEEvRKNS_10TensorBaseES9_NS_15PhiloxCudaStateEEUliRlSB_SB_SB_RKfSD_SD_SD_E_lSC_jLi1ELi1ELi4ELi512ELi2EEEvNS0_6detail10TensorInfoIT0_T2_EENSG_IT1_SI_EESI_T_, .Lfunc_end44-_ZN2at4cuda12_GLOBAL__N_121kernelPointwiseApply2IZNS_6native9templates4cuda28bernoulli_tensor_cuda_kernelIlfEEvRKNS_10TensorBaseES9_NS_15PhiloxCudaStateEEUliRlSB_SB_SB_RKfSD_SD_SD_E_lSC_jLi1ELi1ELi4ELi512ELi2EEEvNS0_6detail10TensorInfoIT0_T2_EENSG_IT1_SI_EESI_T_
                                        ; -- End function
	.section	.AMDGPU.csdata,"",@progbits
; Kernel info:
; codeLenInByte = 2672
; NumSgprs: 66
; NumVgprs: 53
; NumAgprs: 0
; TotalNumVgprs: 53
; ScratchSize: 0
; MemoryBound: 0
; FloatMode: 240
; IeeeMode: 1
; LDSByteSize: 0 bytes/workgroup (compile time only)
; SGPRBlocks: 8
; VGPRBlocks: 6
; NumSGPRsForWavesPerEU: 66
; NumVGPRsForWavesPerEU: 53
; AccumOffset: 56
; Occupancy: 8
; WaveLimiterHint : 1
; COMPUTE_PGM_RSRC2:SCRATCH_EN: 0
; COMPUTE_PGM_RSRC2:USER_SGPR: 6
; COMPUTE_PGM_RSRC2:TRAP_HANDLER: 0
; COMPUTE_PGM_RSRC2:TGID_X_EN: 1
; COMPUTE_PGM_RSRC2:TGID_Y_EN: 0
; COMPUTE_PGM_RSRC2:TGID_Z_EN: 0
; COMPUTE_PGM_RSRC2:TIDIG_COMP_CNT: 0
; COMPUTE_PGM_RSRC3_GFX90A:ACCUM_OFFSET: 13
; COMPUTE_PGM_RSRC3_GFX90A:TG_SPLIT: 0
	.section	.text._ZN2at4cuda12_GLOBAL__N_121kernelPointwiseApply2IZNS_6native9templates4cuda28bernoulli_tensor_cuda_kernelIlfEEvRKNS_10TensorBaseES9_NS_15PhiloxCudaStateEEUliRlSB_SB_SB_RKfSD_SD_SD_E_lSC_jLi1ELi2ELi4ELi512ELi2EEEvNS0_6detail10TensorInfoIT0_T2_EENSG_IT1_SI_EESI_T_,"axG",@progbits,_ZN2at4cuda12_GLOBAL__N_121kernelPointwiseApply2IZNS_6native9templates4cuda28bernoulli_tensor_cuda_kernelIlfEEvRKNS_10TensorBaseES9_NS_15PhiloxCudaStateEEUliRlSB_SB_SB_RKfSD_SD_SD_E_lSC_jLi1ELi2ELi4ELi512ELi2EEEvNS0_6detail10TensorInfoIT0_T2_EENSG_IT1_SI_EESI_T_,comdat
	.globl	_ZN2at4cuda12_GLOBAL__N_121kernelPointwiseApply2IZNS_6native9templates4cuda28bernoulli_tensor_cuda_kernelIlfEEvRKNS_10TensorBaseES9_NS_15PhiloxCudaStateEEUliRlSB_SB_SB_RKfSD_SD_SD_E_lSC_jLi1ELi2ELi4ELi512ELi2EEEvNS0_6detail10TensorInfoIT0_T2_EENSG_IT1_SI_EESI_T_ ; -- Begin function _ZN2at4cuda12_GLOBAL__N_121kernelPointwiseApply2IZNS_6native9templates4cuda28bernoulli_tensor_cuda_kernelIlfEEvRKNS_10TensorBaseES9_NS_15PhiloxCudaStateEEUliRlSB_SB_SB_RKfSD_SD_SD_E_lSC_jLi1ELi2ELi4ELi512ELi2EEEvNS0_6detail10TensorInfoIT0_T2_EENSG_IT1_SI_EESI_T_
	.p2align	8
	.type	_ZN2at4cuda12_GLOBAL__N_121kernelPointwiseApply2IZNS_6native9templates4cuda28bernoulli_tensor_cuda_kernelIlfEEvRKNS_10TensorBaseES9_NS_15PhiloxCudaStateEEUliRlSB_SB_SB_RKfSD_SD_SD_E_lSC_jLi1ELi2ELi4ELi512ELi2EEEvNS0_6detail10TensorInfoIT0_T2_EENSG_IT1_SI_EESI_T_,@function
_ZN2at4cuda12_GLOBAL__N_121kernelPointwiseApply2IZNS_6native9templates4cuda28bernoulli_tensor_cuda_kernelIlfEEvRKNS_10TensorBaseES9_NS_15PhiloxCudaStateEEUliRlSB_SB_SB_RKfSD_SD_SD_E_lSC_jLi1ELi2ELi4ELi512ELi2EEEvNS0_6detail10TensorInfoIT0_T2_EENSG_IT1_SI_EESI_T_: ; @_ZN2at4cuda12_GLOBAL__N_121kernelPointwiseApply2IZNS_6native9templates4cuda28bernoulli_tensor_cuda_kernelIlfEEvRKNS_10TensorBaseES9_NS_15PhiloxCudaStateEEUliRlSB_SB_SB_RKfSD_SD_SD_E_lSC_jLi1ELi2ELi4ELi512ELi2EEEvNS0_6detail10TensorInfoIT0_T2_EENSG_IT1_SI_EESI_T_
; %bb.0:
	s_load_dword s2, s[4:5], 0x1e4
	s_load_dword s33, s[4:5], 0x1b0
	s_add_u32 s0, s4, 0x1d8
	s_addc_u32 s1, s5, 0
	s_waitcnt lgkmcnt(0)
	s_and_b32 s2, s2, 0xffff
	s_mul_i32 s6, s6, s2
	v_add_u32_e32 v1, s6, v0
	v_lshlrev_b32_e32 v0, 2, v1
	v_cmp_gt_u32_e32 vcc, s33, v0
	s_and_saveexec_b64 s[6:7], vcc
	s_cbranch_execz .LBB45_51
; %bb.1:
	s_load_dwordx2 s[12:13], s[4:5], 0x0
	s_load_dword s3, s[4:5], 0x6c
	s_load_dwordx2 s[14:15], s[4:5], 0xd8
	s_load_dword s56, s[4:5], 0xe4
	s_load_dword s6, s[0:1], 0x0
	s_load_dwordx2 s[16:17], s[4:5], 0x1c8
	s_load_dword s7, s[4:5], 0x1d0
	s_load_dwordx2 s[18:19], s[4:5], 0x144
	s_load_dwordx4 s[8:11], s[4:5], 0x1b8
	s_waitcnt lgkmcnt(0)
	v_cvt_f32_u32_e32 v2, s56
	s_mov_b32 s57, 0xcd9e8d57
	s_bitcmp1_b32 s7, 0
	s_cselect_b64 s[22:23], -1, 0
	v_rcp_iflag_f32_e32 v4, v2
	v_mad_u64_u32 v[2:3], s[0:1], v1, s57, 0
	s_sub_i32 s60, 0, s56
	v_mul_f32_e32 v4, 0x4f7ffffe, v4
	v_cvt_u32_f32_e32 v4, v4
	v_mov_b32_e32 v6, v3
	s_mul_i32 s6, s6, s2
	s_lshl_b32 s59, s6, 2
	v_mul_lo_u32 v3, s60, v4
	v_mul_hi_u32 v3, v4, v3
	v_add_u32_e32 v3, v4, v3
	v_add_u32_e32 v4, 2, v0
	v_mul_lo_u32 v26, v0, s3
	v_mul_lo_u32 v28, s3, v4
	v_add_u32_e32 v4, 3, v0
	s_mov_b32 s58, 0
	v_mov_b32_e32 v5, 0
	v_sub_u32_e32 v7, s33, v0
	v_add_u32_e32 v27, s3, v26
	s_mul_i32 s61, s59, s3
	v_mul_lo_u32 v29, s3, v4
	s_mov_b64 s[24:25], 0
	s_mov_b32 s62, 0xd2511f53
	s_mov_b32 s63, 0xf1bbcdc8
	;; [unrolled: 1-line block ×3, first 2 shown]
                                        ; implicit-def: $sgpr26_sgpr27
                                        ; implicit-def: $sgpr28_sgpr29
                                        ; implicit-def: $sgpr30_sgpr31
                                        ; implicit-def: $sgpr20_sgpr21
                                        ; implicit-def: $sgpr34_sgpr35
                                        ; implicit-def: $sgpr36_sgpr37
                                        ; implicit-def: $sgpr38_sgpr39
                                        ; implicit-def: $sgpr40_sgpr41
	s_branch .LBB45_3
.LBB45_2:                               ;   in Loop: Header=BB45_3 Depth=1
	s_or_b64 exec, exec, s[2:3]
	s_and_b64 s[0:1], exec, s[0:1]
	s_or_b64 s[24:25], s[0:1], s[24:25]
	s_andn2_b64 s[0:1], s[20:21], exec
	s_and_b64 s[2:3], s[40:41], exec
	s_or_b64 s[20:21], s[0:1], s[2:3]
	s_andn2_b64 s[0:1], s[30:31], exec
	s_and_b64 s[2:3], s[38:39], exec
	s_or_b64 s[30:31], s[0:1], s[2:3]
	s_andn2_b64 s[0:1], s[28:29], exec
	s_and_b64 s[2:3], s[36:37], exec
	s_or_b64 s[28:29], s[0:1], s[2:3]
	s_andn2_b64 s[0:1], s[26:27], exec
	s_and_b64 s[2:3], s[34:35], exec
	s_or_b64 s[26:27], s[0:1], s[2:3]
	s_andn2_b64 exec, exec, s[24:25]
	s_cbranch_execz .LBB45_47
.LBB45_3:                               ; =>This Inner Loop Header: Depth=1
	v_pk_mov_b32 v[8:9], 0, 0
	v_cmp_lt_i32_e64 s[0:1], 0, v7
	v_pk_mov_b32 v[12:13], v[8:9], v[8:9] op_sel:[0,1]
	s_and_saveexec_b64 s[2:3], s[0:1]
	s_cbranch_execz .LBB45_5
; %bb.4:                                ;   in Loop: Header=BB45_3 Depth=1
	s_waitcnt vmcnt(0)
	v_mul_hi_u32 v4, v3, v0
	v_not_b32_e32 v12, v4
	v_mad_u64_u32 v[10:11], s[4:5], s60, v4, v[0:1]
	v_add_u32_e32 v11, 1, v4
	v_cmp_le_u32_e32 vcc, s56, v10
	v_mad_u64_u32 v[12:13], s[4:5], s56, v12, v[0:1]
	v_cndmask_b32_e32 v4, v4, v11, vcc
	v_cndmask_b32_e32 v10, v10, v12, vcc
	v_add_u32_e32 v11, 1, v4
	v_cmp_le_u32_e32 vcc, s56, v10
	v_cndmask_b32_e32 v12, v4, v11, vcc
	v_mad_u64_u32 v[10:11], s[4:5], s60, v12, v[0:1]
	v_mul_lo_u32 v4, v10, s19
	v_mad_u64_u32 v[12:13], s[4:5], v12, s18, v[4:5]
	v_mov_b32_e32 v13, v5
.LBB45_5:                               ;   in Loop: Header=BB45_3 Depth=1
	s_or_b64 exec, exec, s[2:3]
	v_cmp_lt_i32_e64 s[2:3], 1, v7
	s_and_saveexec_b64 s[4:5], s[2:3]
	s_cbranch_execz .LBB45_7
; %bb.6:                                ;   in Loop: Header=BB45_3 Depth=1
	s_waitcnt vmcnt(0)
	v_add_u32_e32 v4, 1, v0
	v_mul_hi_u32 v8, v4, v3
	v_mul_lo_u32 v9, v8, s56
	v_sub_u32_e32 v9, v4, v9
	v_add_u32_e32 v10, 1, v8
	v_cmp_le_u32_e32 vcc, s56, v9
	v_cndmask_b32_e32 v8, v8, v10, vcc
	v_subrev_u32_e32 v10, s56, v9
	v_cndmask_b32_e32 v9, v9, v10, vcc
	v_add_u32_e32 v10, 1, v8
	v_cmp_le_u32_e32 vcc, s56, v9
	v_cndmask_b32_e32 v8, v8, v10, vcc
	v_mul_lo_u32 v9, v8, s56
	v_sub_u32_e32 v4, v4, v9
	v_mul_lo_u32 v4, v4, s19
	v_mad_u64_u32 v[8:9], s[6:7], v8, s18, v[4:5]
	v_mov_b32_e32 v9, v5
.LBB45_7:                               ;   in Loop: Header=BB45_3 Depth=1
	s_or_b64 exec, exec, s[4:5]
	v_pk_mov_b32 v[10:11], 0, 0
	v_cmp_lt_i32_e64 s[4:5], 2, v7
	v_pk_mov_b32 v[14:15], v[10:11], v[10:11] op_sel:[0,1]
	s_and_saveexec_b64 s[6:7], s[4:5]
	s_cbranch_execz .LBB45_9
; %bb.8:                                ;   in Loop: Header=BB45_3 Depth=1
	s_waitcnt vmcnt(0)
	v_add_u32_e32 v4, 2, v0
	v_mul_hi_u32 v14, v4, v3
	v_mul_lo_u32 v15, v14, s56
	v_sub_u32_e32 v15, v4, v15
	v_add_u32_e32 v16, 1, v14
	v_cmp_le_u32_e32 vcc, s56, v15
	v_cndmask_b32_e32 v14, v14, v16, vcc
	v_subrev_u32_e32 v16, s56, v15
	v_cndmask_b32_e32 v15, v15, v16, vcc
	v_add_u32_e32 v16, 1, v14
	v_cmp_le_u32_e32 vcc, s56, v15
	v_cndmask_b32_e32 v14, v14, v16, vcc
	v_mul_lo_u32 v15, v14, s56
	v_sub_u32_e32 v4, v4, v15
	v_mul_lo_u32 v4, v4, s19
	v_mad_u64_u32 v[14:15], s[42:43], v14, s18, v[4:5]
	v_mov_b32_e32 v15, v5
.LBB45_9:                               ;   in Loop: Header=BB45_3 Depth=1
	s_or_b64 exec, exec, s[6:7]
	v_cmp_lt_i32_e32 vcc, 3, v7
	v_pk_mov_b32 v[16:17], v[10:11], v[10:11] op_sel:[0,1]
	s_and_saveexec_b64 s[6:7], vcc
	s_cbranch_execz .LBB45_11
; %bb.10:                               ;   in Loop: Header=BB45_3 Depth=1
	v_add_u32_e32 v10, 3, v0
	v_mul_hi_u32 v11, v10, v3
	v_mul_lo_u32 v16, v11, s56
	v_sub_u32_e32 v16, v10, v16
	v_add_u32_e32 v17, 1, v11
	v_cmp_le_u32_e32 vcc, s56, v16
	v_cndmask_b32_e32 v11, v11, v17, vcc
	v_subrev_u32_e32 v17, s56, v16
	v_cndmask_b32_e32 v16, v16, v17, vcc
	v_add_u32_e32 v17, 1, v11
	v_cmp_le_u32_e32 vcc, s56, v16
	v_cndmask_b32_e32 v11, v11, v17, vcc
	v_mul_lo_u32 v16, v11, s56
	v_sub_u32_e32 v10, v10, v16
	v_mul_lo_u32 v10, v10, s19
	s_waitcnt vmcnt(0)
	v_add_u32_e32 v4, s64, v29
	v_mad_u64_u32 v[16:17], s[42:43], v11, s18, v[10:11]
	v_mov_b32_e32 v17, v5
	v_pk_mov_b32 v[10:11], v[4:5], v[4:5] op_sel:[0,1]
.LBB45_11:                              ;   in Loop: Header=BB45_3 Depth=1
	s_or_b64 exec, exec, s[6:7]
	v_lshlrev_b64 v[12:13], 2, v[12:13]
	s_waitcnt vmcnt(0)
	v_mov_b32_e32 v4, s15
	v_add_co_u32_e32 v12, vcc, s14, v12
	v_addc_co_u32_e32 v13, vcc, v4, v13, vcc
	v_lshlrev_b64 v[8:9], 2, v[8:9]
	v_add_co_u32_e32 v8, vcc, s14, v8
	v_addc_co_u32_e32 v9, vcc, v4, v9, vcc
	v_lshlrev_b64 v[14:15], 2, v[14:15]
	;; [unrolled: 3-line block ×3, first 2 shown]
	v_add_co_u32_e32 v16, vcc, s14, v16
	v_addc_co_u32_e32 v17, vcc, v4, v17, vcc
	global_load_dword v30, v[12:13], off
	global_load_dword v31, v[8:9], off
	;; [unrolled: 1-line block ×4, first 2 shown]
	s_andn2_b64 vcc, exec, s[22:23]
	v_pk_mov_b32 v[8:9], s[10:11], s[10:11] op_sel:[0,1]
	v_pk_mov_b32 v[12:13], s[8:9], s[8:9] op_sel:[0,1]
	s_cbranch_vccnz .LBB45_13
; %bb.12:                               ;   in Loop: Header=BB45_3 Depth=1
	v_pk_mov_b32 v[8:9], s[10:11], s[10:11] op_sel:[0,1]
	flat_load_dwordx2 v[8:9], v[8:9]
	v_pk_mov_b32 v[12:13], s[8:9], s[8:9] op_sel:[0,1]
	flat_load_dwordx2 v[12:13], v[12:13]
	v_mov_b32_e32 v14, s17
	s_waitcnt vmcnt(0) lgkmcnt(0)
	v_add_co_u32_e32 v8, vcc, s16, v8
	v_addc_co_u32_e32 v9, vcc, v9, v14, vcc
.LBB45_13:                              ;   in Loop: Header=BB45_3 Depth=1
	v_alignbit_b32 v22, v9, v8, 2
	v_lshrrev_b32_e32 v23, 2, v9
	v_xor_b32_e32 v14, v6, v12
	v_and_b32_e32 v33, 3, v8
	v_mad_u64_u32 v[8:9], s[6:7], v22, s62, 0
	v_xor_b32_e32 v14, v14, v23
	v_xor_b32_e32 v9, v9, v13
	v_add_u32_e32 v38, 0xbb67ae85, v13
	v_mad_u64_u32 v[14:15], s[6:7], v14, s62, 0
	v_mad_u64_u32 v[16:17], s[6:7], v9, s57, 0
	v_xor_b32_e32 v15, v38, v15
	v_add_u32_e32 v37, 0x9e3779b9, v12
	v_xor_b32_e32 v9, v2, v17
	v_xor_b32_e32 v15, v15, v8
	v_xor_b32_e32 v9, v9, v37
	v_add_u32_e32 v39, 0x3c6ef372, v12
	v_mad_u64_u32 v[18:19], s[6:7], v15, s57, 0
	v_add_u32_e32 v40, 0x76cf5d0a, v13
	v_mad_u64_u32 v[8:9], s[6:7], v9, s62, 0
	v_xor_b32_e32 v15, v39, v19
	v_xor_b32_e32 v15, v15, v16
	v_xor_b32_e32 v9, v40, v9
	v_xor_b32_e32 v9, v9, v14
	v_add_u32_e32 v42, 0x32370b8f, v13
	v_mad_u64_u32 v[14:15], s[6:7], v15, s62, 0
	v_add_u32_e32 v41, 0xdaa66d2b, v12
	v_mad_u64_u32 v[16:17], s[6:7], v9, s57, 0
	v_xor_b32_e32 v15, v42, v15
	;; [unrolled: 8-line block ×5, first 2 shown]
	v_xor_b32_e32 v15, v15, v16
	v_xor_b32_e32 v9, v48, v9
	;; [unrolled: 1-line block ×3, first 2 shown]
	v_add_u32_e32 v50, 0x1fd5c5a3, v13
	v_mad_u64_u32 v[14:15], s[6:7], v15, s62, 0
	v_xor_b32_e32 v15, v50, v15
	v_xor_b32_e32 v8, v15, v8
	v_add_u32_e32 v49, 0x5384540f, v12
	v_mad_u64_u32 v[20:21], s[6:7], v9, s57, 0
	v_add_co_u32_e32 v35, vcc, s63, v12
	v_mad_u64_u32 v[16:17], s[6:7], v8, s57, 0
	v_xor_b32_e32 v9, v49, v21
	v_xor_b32_e32 v8, v35, v17
	;; [unrolled: 1-line block ×4, first 2 shown]
	v_mad_u64_u32 v[18:19], s[6:7], v9, s62, 0
	v_mad_u64_u32 v[8:9], s[6:7], v8, s62, 0
	v_add_u32_e32 v36, 0x96a522ad, v13
	v_xor_b32_e32 v9, v9, v18
	v_xor_b32_e32 v34, v36, v9
	v_add_co_u32_e32 v9, vcc, 1, v22
	v_cndmask_b32_e64 v18, 0, 1, vcc
	v_addc_co_u32_e32 v24, vcc, 0, v23, vcc
	v_cmp_eq_u32_e32 vcc, 0, v24
	v_cndmask_b32_e32 v18, 0, v18, vcc
	v_add_u32_e32 v22, v18, v1
	v_cmp_eq_u32_e32 vcc, 0, v22
	v_mad_u64_u32 v[20:21], s[6:7], v9, s62, 0
	v_mad_u64_u32 v[22:23], s[6:7], v22, s57, 0
	v_add_u32_e32 v17, 0x8ff34781, v12
	v_cndmask_b32_e32 v18, 0, v18, vcc
	v_xor_b32_e32 v9, v23, v12
	v_xor_b32_e32 v12, v21, v13
	;; [unrolled: 1-line block ×4, first 2 shown]
	v_mad_u64_u32 v[24:25], s[6:7], v18, s57, 0
	v_add_u32_e32 v15, 0xdb3d7428, v13
	v_mad_u64_u32 v[12:13], s[6:7], v9, s62, 0
	v_xor_b32_e32 v9, v37, v25
	v_xor_b32_e32 v9, v9, v22
	v_xor_b32_e32 v13, v38, v13
	v_xor_b32_e32 v13, v13, v20
	v_mad_u64_u32 v[20:21], s[6:7], v9, s62, 0
	v_mad_u64_u32 v[22:23], s[6:7], v13, s57, 0
	v_xor_b32_e32 v13, v40, v21
	v_xor_b32_e32 v9, v39, v23
	v_xor_b32_e32 v18, v13, v12
	v_xor_b32_e32 v9, v9, v24
	v_mad_u64_u32 v[24:25], s[6:7], v18, s57, 0
	;; [unrolled: 6-line block ×7, first 2 shown]
	v_xor_b32_e32 v9, v15, v23
	v_xor_b32_e32 v9, v9, v12
	v_mad_u64_u32 v[24:25], s[6:7], v13, s57, 0
	v_mad_u64_u32 v[12:13], s[6:7], v9, s57, 0
	v_xor_b32_e32 v9, v13, v24
	v_xor_b32_e32 v9, v17, v9
	v_cmp_lt_i32_e32 vcc, 1, v33
                                        ; implicit-def: $vgpr21
	s_and_saveexec_b64 s[6:7], vcc
	s_xor_b64 s[6:7], exec, s[6:7]
	s_cbranch_execz .LBB45_19
; %bb.14:                               ;   in Loop: Header=BB45_3 Depth=1
	v_cmp_lt_i32_e32 vcc, 2, v33
                                        ; implicit-def: $vgpr21
	s_and_saveexec_b64 s[42:43], vcc
	s_xor_b64 s[42:43], exec, s[42:43]
; %bb.15:                               ;   in Loop: Header=BB45_3 Depth=1
	v_xor_b32_e32 v13, v35, v25
	v_xor_b32_e32 v13, v13, v20
	v_mul_hi_u32 v13, v13, s62
	v_xor_b32_e32 v13, v13, v22
	v_xor_b32_e32 v21, v36, v13
                                        ; implicit-def: $vgpr34
; %bb.16:                               ;   in Loop: Header=BB45_3 Depth=1
	s_andn2_saveexec_b64 s[42:43], s[42:43]
; %bb.17:                               ;   in Loop: Header=BB45_3 Depth=1
	v_mov_b32_e32 v21, v12
	v_mov_b32_e32 v12, v9
	;; [unrolled: 1-line block ×4, first 2 shown]
; %bb.18:                               ;   in Loop: Header=BB45_3 Depth=1
	s_or_b64 exec, exec, s[42:43]
                                        ; implicit-def: $vgpr14_vgpr15
                                        ; implicit-def: $vgpr16_vgpr17
                                        ; implicit-def: $vgpr33
                                        ; implicit-def: $vgpr34
                                        ; implicit-def: $vgpr18_vgpr19
                                        ; implicit-def: $vgpr15
                                        ; implicit-def: $vgpr17
.LBB45_19:                              ;   in Loop: Header=BB45_3 Depth=1
	s_andn2_saveexec_b64 s[6:7], s[6:7]
	s_cbranch_execz .LBB45_23
; %bb.20:                               ;   in Loop: Header=BB45_3 Depth=1
	v_xor_b32_e32 v12, v15, v19
	v_xor_b32_e32 v12, v12, v14
	v_mad_u64_u32 v[14:15], s[42:43], v12, s57, 0
	v_xor_b32_e32 v12, v15, v16
	v_xor_b32_e32 v13, v17, v12
	v_cmp_eq_u32_e32 vcc, 1, v33
	v_mov_b32_e32 v21, v8
	v_mov_b32_e32 v12, v34
	;; [unrolled: 1-line block ×3, first 2 shown]
	s_and_saveexec_b64 s[42:43], vcc
; %bb.21:                               ;   in Loop: Header=BB45_3 Depth=1
	v_mov_b32_e32 v21, v9
	v_mov_b32_e32 v12, v8
	;; [unrolled: 1-line block ×4, first 2 shown]
; %bb.22:                               ;   in Loop: Header=BB45_3 Depth=1
	s_or_b64 exec, exec, s[42:43]
	v_mov_b32_e32 v8, v13
	v_mov_b32_e32 v9, v15
.LBB45_23:                              ;   in Loop: Header=BB45_3 Depth=1
	s_or_b64 exec, exec, s[6:7]
	v_min_i32_e32 v13, 4, v7
	v_cmp_lt_i32_e32 vcc, 2, v13
	s_mov_b64 s[42:43], 0
	s_mov_b64 s[54:55], 0
                                        ; implicit-def: $sgpr6_sgpr7
                                        ; implicit-def: $sgpr44_sgpr45
                                        ; implicit-def: $sgpr46_sgpr47
	s_and_saveexec_b64 s[48:49], vcc
	s_xor_b64 s[48:49], exec, s[48:49]
	s_cbranch_execz .LBB45_33
; %bb.24:                               ;   in Loop: Header=BB45_3 Depth=1
	v_cmp_lt_i32_e32 vcc, 3, v13
	s_mov_b64 s[6:7], -1
                                        ; implicit-def: $sgpr44_sgpr45
                                        ; implicit-def: $sgpr50_sgpr51
	s_and_saveexec_b64 s[46:47], vcc
	s_cbranch_execz .LBB45_28
; %bb.25:                               ;   in Loop: Header=BB45_3 Depth=1
	s_waitcnt vmcnt(0)
	v_cmp_le_f32_e32 vcc, 0, v4
	v_cmp_ge_f32_e64 s[6:7], 1.0, v4
	s_and_b64 s[52:53], vcc, s[6:7]
	s_mov_b64 s[44:45], 0
	s_mov_b64 s[6:7], 0
	s_and_saveexec_b64 s[50:51], s[52:53]
	s_cbranch_execz .LBB45_27
; %bb.26:                               ;   in Loop: Header=BB45_3 Depth=1
	v_cvt_f32_u32_e32 v14, v21
	v_mov_b32_e32 v15, 0x2f800000
	v_lshlrev_b64 v[10:11], 3, v[10:11]
	v_add_co_u32_e32 v10, vcc, s12, v10
	v_fmac_f32_e32 v15, 0x2f800000, v14
	v_mov_b32_e32 v14, s13
	v_addc_co_u32_e32 v11, vcc, v14, v11, vcc
	v_cmp_le_f32_e32 vcc, v15, v4
	s_mov_b64 s[6:7], exec
	v_cndmask_b32_e64 v14, 0, 1, vcc
	v_mov_b32_e32 v15, s58
	global_store_dwordx2 v[10:11], v[14:15], off
.LBB45_27:                              ;   in Loop: Header=BB45_3 Depth=1
	s_or_b64 exec, exec, s[50:51]
	s_mov_b64 s[50:51], -1
	s_orn2_b64 s[6:7], s[6:7], exec
.LBB45_28:                              ;   in Loop: Header=BB45_3 Depth=1
	s_or_b64 exec, exec, s[46:47]
	s_mov_b64 s[52:53], 0
	s_mov_b64 s[54:55], s[44:45]
	s_and_saveexec_b64 s[46:47], s[6:7]
	s_cbranch_execz .LBB45_32
; %bb.29:                               ;   in Loop: Header=BB45_3 Depth=1
	s_waitcnt vmcnt(1)
	v_cmp_le_f32_e32 vcc, 0, v32
	v_cmp_ge_f32_e64 s[6:7], 1.0, v32
	s_and_b64 s[52:53], vcc, s[6:7]
	s_mov_b64 s[6:7], 0
	s_and_saveexec_b64 s[54:55], s[52:53]
	s_xor_b64 s[52:53], exec, s[54:55]
	s_cbranch_execz .LBB45_31
; %bb.30:                               ;   in Loop: Header=BB45_3 Depth=1
	s_waitcnt vmcnt(0)
	v_cvt_f32_u32_e32 v4, v12
	v_mov_b32_e32 v12, 0x2f800000
	v_add_u32_e32 v10, s64, v28
	v_mov_b32_e32 v15, s58
	v_fmac_f32_e32 v12, 0x2f800000, v4
	v_cndmask_b32_e64 v4, 0, v10, s[4:5]
	v_lshlrev_b64 v[10:11], 3, v[4:5]
	v_mov_b32_e32 v4, s13
	v_add_co_u32_e32 v10, vcc, s12, v10
	v_addc_co_u32_e32 v11, vcc, v4, v11, vcc
	v_cmp_le_f32_e32 vcc, v12, v32
	v_cndmask_b32_e64 v14, 0, 1, vcc
	s_mov_b64 s[6:7], exec
	global_store_dwordx2 v[10:11], v[14:15], off
.LBB45_31:                              ;   in Loop: Header=BB45_3 Depth=1
	s_or_b64 exec, exec, s[52:53]
	s_andn2_b64 s[54:55], s[44:45], exec
	s_or_b64 s[44:45], s[44:45], exec
	s_andn2_b64 s[50:51], s[50:51], exec
	s_and_b64 s[52:53], s[6:7], exec
.LBB45_32:                              ;   in Loop: Header=BB45_3 Depth=1
	s_or_b64 exec, exec, s[46:47]
	s_and_b64 s[46:47], s[54:55], exec
	s_and_b64 s[44:45], s[44:45], exec
	;; [unrolled: 1-line block ×4, first 2 shown]
.LBB45_33:                              ;   in Loop: Header=BB45_3 Depth=1
	s_andn2_saveexec_b64 s[4:5], s[48:49]
; %bb.34:                               ;   in Loop: Header=BB45_3 Depth=1
	v_cmp_lt_i32_e32 vcc, 1, v13
	s_andn2_b64 s[48:49], s[54:55], exec
	s_and_b64 s[50:51], vcc, exec
	s_mov_b64 s[42:43], exec
	s_andn2_b64 s[46:47], s[46:47], exec
	s_andn2_b64 s[44:45], s[44:45], exec
	;; [unrolled: 1-line block ×3, first 2 shown]
	s_or_b64 s[54:55], s[48:49], s[50:51]
; %bb.35:                               ;   in Loop: Header=BB45_3 Depth=1
	s_or_b64 exec, exec, s[4:5]
	s_mov_b64 s[48:49], 0
	s_mov_b64 s[50:51], 0
	s_mov_b64 s[4:5], s[46:47]
	s_and_saveexec_b64 s[52:53], s[54:55]
	s_cbranch_execnz .LBB45_38
; %bb.36:                               ;   in Loop: Header=BB45_3 Depth=1
	s_or_b64 exec, exec, s[52:53]
	s_and_saveexec_b64 s[2:3], s[42:43]
	s_cbranch_execnz .LBB45_41
.LBB45_37:                              ;   in Loop: Header=BB45_3 Depth=1
	s_or_b64 exec, exec, s[2:3]
	s_and_saveexec_b64 s[42:43], s[50:51]
	s_cbranch_execnz .LBB45_42
	s_branch .LBB45_45
.LBB45_38:                              ;   in Loop: Header=BB45_3 Depth=1
	s_waitcnt vmcnt(2)
	v_cmp_le_f32_e32 vcc, 0, v31
	v_cmp_ge_f32_e64 s[4:5], 1.0, v31
	s_and_b64 s[4:5], vcc, s[4:5]
	s_and_saveexec_b64 s[54:55], s[4:5]
	s_xor_b64 s[4:5], exec, s[54:55]
	s_cbranch_execz .LBB45_40
; %bb.39:                               ;   in Loop: Header=BB45_3 Depth=1
	s_waitcnt vmcnt(0)
	v_cvt_f32_u32_e32 v4, v9
	v_mov_b32_e32 v9, 0x2f800000
	v_add_u32_e32 v10, s64, v27
	v_mov_b32_e32 v15, s58
	v_fmac_f32_e32 v9, 0x2f800000, v4
	v_cndmask_b32_e64 v4, 0, v10, s[2:3]
	v_lshlrev_b64 v[10:11], 3, v[4:5]
	v_mov_b32_e32 v4, s13
	v_add_co_u32_e32 v10, vcc, s12, v10
	v_addc_co_u32_e32 v11, vcc, v4, v11, vcc
	v_cmp_le_f32_e32 vcc, v9, v31
	v_cndmask_b32_e64 v14, 0, 1, vcc
	s_mov_b64 s[50:51], exec
	global_store_dwordx2 v[10:11], v[14:15], off
.LBB45_40:                              ;   in Loop: Header=BB45_3 Depth=1
	s_or_b64 exec, exec, s[4:5]
	s_andn2_b64 s[4:5], s[46:47], exec
	s_or_b64 s[46:47], s[46:47], exec
	s_andn2_b64 s[44:45], s[44:45], exec
	s_andn2_b64 s[6:7], s[6:7], exec
	s_and_b64 s[50:51], s[50:51], exec
	s_andn2_b64 s[42:43], s[42:43], exec
	s_or_b64 exec, exec, s[52:53]
	s_and_saveexec_b64 s[2:3], s[42:43]
	s_cbranch_execz .LBB45_37
.LBB45_41:                              ;   in Loop: Header=BB45_3 Depth=1
	v_cmp_eq_u32_e32 vcc, 1, v13
	s_andn2_b64 s[42:43], s[50:51], exec
	s_and_b64 s[50:51], vcc, exec
	s_mov_b64 s[48:49], exec
	s_andn2_b64 s[4:5], s[4:5], exec
	s_andn2_b64 s[46:47], s[46:47], exec
	;; [unrolled: 1-line block ×4, first 2 shown]
	s_or_b64 s[50:51], s[42:43], s[50:51]
	s_or_b64 exec, exec, s[2:3]
	s_and_saveexec_b64 s[42:43], s[50:51]
	s_cbranch_execz .LBB45_45
.LBB45_42:                              ;   in Loop: Header=BB45_3 Depth=1
	s_waitcnt vmcnt(3)
	v_cmp_le_f32_e32 vcc, 0, v30
	v_cmp_ge_f32_e64 s[2:3], 1.0, v30
	s_and_b64 s[52:53], vcc, s[2:3]
	s_mov_b64 s[2:3], 0
	s_and_saveexec_b64 s[50:51], s[52:53]
	s_cbranch_execz .LBB45_44
; %bb.43:                               ;   in Loop: Header=BB45_3 Depth=1
	s_waitcnt vmcnt(0)
	v_cvt_f32_u32_e32 v4, v8
	v_mov_b32_e32 v10, 0x2f800000
	v_add_u32_e32 v8, s64, v26
	s_mov_b64 s[2:3], exec
	v_fmac_f32_e32 v10, 0x2f800000, v4
	v_cndmask_b32_e64 v4, 0, v8, s[0:1]
	v_lshlrev_b64 v[8:9], 3, v[4:5]
	v_mov_b32_e32 v4, s13
	v_add_co_u32_e32 v8, vcc, s12, v8
	v_addc_co_u32_e32 v9, vcc, v4, v9, vcc
	v_cmp_le_f32_e32 vcc, v10, v30
	v_cndmask_b32_e64 v10, 0, 1, vcc
	v_mov_b32_e32 v11, s58
	global_store_dwordx2 v[8:9], v[10:11], off
.LBB45_44:                              ;   in Loop: Header=BB45_3 Depth=1
	s_or_b64 exec, exec, s[50:51]
	s_andn2_b64 s[0:1], s[48:49], exec
	s_and_b64 s[2:3], s[2:3], exec
	s_or_b64 s[4:5], s[4:5], exec
	s_andn2_b64 s[46:47], s[46:47], exec
	s_andn2_b64 s[44:45], s[44:45], exec
	;; [unrolled: 1-line block ×3, first 2 shown]
	s_or_b64 s[48:49], s[0:1], s[2:3]
.LBB45_45:                              ;   in Loop: Header=BB45_3 Depth=1
	s_or_b64 exec, exec, s[42:43]
	s_andn2_b64 s[2:3], s[40:41], exec
	s_and_b64 s[4:5], s[4:5], exec
	s_or_b64 s[40:41], s[2:3], s[4:5]
	s_andn2_b64 s[2:3], s[38:39], exec
	s_and_b64 s[4:5], s[46:47], exec
	s_or_b64 s[38:39], s[2:3], s[4:5]
	;; [unrolled: 3-line block ×3, first 2 shown]
	s_andn2_b64 s[2:3], s[34:35], exec
	s_and_b64 s[4:5], s[6:7], exec
	s_mov_b64 s[0:1], -1
	s_or_b64 s[34:35], s[2:3], s[4:5]
	s_and_saveexec_b64 s[2:3], s[48:49]
	s_cbranch_execz .LBB45_2
; %bb.46:                               ;   in Loop: Header=BB45_3 Depth=1
	v_add_u32_e32 v0, s59, v0
	v_cmp_le_u32_e32 vcc, s33, v0
	v_subrev_u32_e32 v7, s59, v7
	s_add_i32 s64, s64, s61
	s_andn2_b64 s[40:41], s[40:41], exec
	s_andn2_b64 s[38:39], s[38:39], exec
	;; [unrolled: 1-line block ×4, first 2 shown]
	s_orn2_b64 s[0:1], vcc, exec
	s_branch .LBB45_2
.LBB45_47:
	s_or_b64 exec, exec, s[24:25]
	s_xor_b64 s[6:7], s[30:31], -1
	s_xor_b64 s[8:9], s[28:29], -1
	;; [unrolled: 1-line block ×3, first 2 shown]
	s_mov_b64 s[2:3], 0
	s_and_saveexec_b64 s[4:5], s[0:1]
	s_xor_b64 s[0:1], exec, s[4:5]
	s_cbranch_execnz .LBB45_52
; %bb.48:
	s_andn2_saveexec_b64 s[0:1], s[0:1]
	s_cbranch_execnz .LBB45_60
.LBB45_49:
	s_or_b64 exec, exec, s[0:1]
	s_and_b64 exec, exec, s[2:3]
.LBB45_50:
	; divergent unreachable
.LBB45_51:
	s_endpgm
.LBB45_52:
	s_mov_b64 s[4:5], 0
	s_and_saveexec_b64 s[2:3], s[8:9]
	s_xor_b64 s[2:3], exec, s[2:3]
	s_cbranch_execz .LBB45_58
; %bb.53:
	s_and_saveexec_b64 s[8:9], s[6:7]
	s_xor_b64 s[6:7], exec, s[8:9]
	s_cbranch_execz .LBB45_56
; %bb.54:
	s_and_saveexec_b64 s[8:9], s[20:21]
	s_xor_b64 s[8:9], exec, s[8:9]
	s_cbranch_execnz .LBB45_63
.LBB45_55:
	s_or_b64 exec, exec, s[8:9]
	s_and_b64 s[4:5], s[4:5], exec
.LBB45_56:
	s_andn2_saveexec_b64 s[6:7], s[6:7]
	s_cbranch_execnz .LBB45_62
.LBB45_57:
	s_or_b64 exec, exec, s[6:7]
	s_and_b64 s[4:5], s[4:5], exec
.LBB45_58:
	s_andn2_saveexec_b64 s[2:3], s[2:3]
	s_cbranch_execnz .LBB45_61
.LBB45_59:
	s_or_b64 exec, exec, s[2:3]
	s_and_b64 s[2:3], s[4:5], exec
	s_andn2_saveexec_b64 s[0:1], s[0:1]
	s_cbranch_execz .LBB45_49
.LBB45_60:
	s_or_b64 s[2:3], s[2:3], exec
	s_trap 2
	s_or_b64 exec, exec, s[0:1]
	s_and_b64 exec, exec, s[2:3]
	s_cbranch_execnz .LBB45_50
	s_branch .LBB45_51
.LBB45_61:
	s_or_b64 s[4:5], s[4:5], exec
	s_trap 2
	s_branch .LBB45_59
.LBB45_62:
	s_trap 2
	s_or_b64 s[4:5], s[4:5], exec
	s_branch .LBB45_57
.LBB45_63:
	s_mov_b64 s[4:5], exec
	s_trap 2
	s_branch .LBB45_55
	.section	.rodata,"a",@progbits
	.p2align	6, 0x0
	.amdhsa_kernel _ZN2at4cuda12_GLOBAL__N_121kernelPointwiseApply2IZNS_6native9templates4cuda28bernoulli_tensor_cuda_kernelIlfEEvRKNS_10TensorBaseES9_NS_15PhiloxCudaStateEEUliRlSB_SB_SB_RKfSD_SD_SD_E_lSC_jLi1ELi2ELi4ELi512ELi2EEEvNS0_6detail10TensorInfoIT0_T2_EENSG_IT1_SI_EESI_T_
		.amdhsa_group_segment_fixed_size 0
		.amdhsa_private_segment_fixed_size 0
		.amdhsa_kernarg_size 728
		.amdhsa_user_sgpr_count 6
		.amdhsa_user_sgpr_private_segment_buffer 1
		.amdhsa_user_sgpr_dispatch_ptr 0
		.amdhsa_user_sgpr_queue_ptr 0
		.amdhsa_user_sgpr_kernarg_segment_ptr 1
		.amdhsa_user_sgpr_dispatch_id 0
		.amdhsa_user_sgpr_flat_scratch_init 0
		.amdhsa_user_sgpr_kernarg_preload_length 0
		.amdhsa_user_sgpr_kernarg_preload_offset 0
		.amdhsa_user_sgpr_private_segment_size 0
		.amdhsa_uses_dynamic_stack 0
		.amdhsa_system_sgpr_private_segment_wavefront_offset 0
		.amdhsa_system_sgpr_workgroup_id_x 1
		.amdhsa_system_sgpr_workgroup_id_y 0
		.amdhsa_system_sgpr_workgroup_id_z 0
		.amdhsa_system_sgpr_workgroup_info 0
		.amdhsa_system_vgpr_workitem_id 0
		.amdhsa_next_free_vgpr 51
		.amdhsa_next_free_sgpr 65
		.amdhsa_accum_offset 52
		.amdhsa_reserve_vcc 1
		.amdhsa_reserve_flat_scratch 0
		.amdhsa_float_round_mode_32 0
		.amdhsa_float_round_mode_16_64 0
		.amdhsa_float_denorm_mode_32 3
		.amdhsa_float_denorm_mode_16_64 3
		.amdhsa_dx10_clamp 1
		.amdhsa_ieee_mode 1
		.amdhsa_fp16_overflow 0
		.amdhsa_tg_split 0
		.amdhsa_exception_fp_ieee_invalid_op 0
		.amdhsa_exception_fp_denorm_src 0
		.amdhsa_exception_fp_ieee_div_zero 0
		.amdhsa_exception_fp_ieee_overflow 0
		.amdhsa_exception_fp_ieee_underflow 0
		.amdhsa_exception_fp_ieee_inexact 0
		.amdhsa_exception_int_div_zero 0
	.end_amdhsa_kernel
	.section	.text._ZN2at4cuda12_GLOBAL__N_121kernelPointwiseApply2IZNS_6native9templates4cuda28bernoulli_tensor_cuda_kernelIlfEEvRKNS_10TensorBaseES9_NS_15PhiloxCudaStateEEUliRlSB_SB_SB_RKfSD_SD_SD_E_lSC_jLi1ELi2ELi4ELi512ELi2EEEvNS0_6detail10TensorInfoIT0_T2_EENSG_IT1_SI_EESI_T_,"axG",@progbits,_ZN2at4cuda12_GLOBAL__N_121kernelPointwiseApply2IZNS_6native9templates4cuda28bernoulli_tensor_cuda_kernelIlfEEvRKNS_10TensorBaseES9_NS_15PhiloxCudaStateEEUliRlSB_SB_SB_RKfSD_SD_SD_E_lSC_jLi1ELi2ELi4ELi512ELi2EEEvNS0_6detail10TensorInfoIT0_T2_EENSG_IT1_SI_EESI_T_,comdat
.Lfunc_end45:
	.size	_ZN2at4cuda12_GLOBAL__N_121kernelPointwiseApply2IZNS_6native9templates4cuda28bernoulli_tensor_cuda_kernelIlfEEvRKNS_10TensorBaseES9_NS_15PhiloxCudaStateEEUliRlSB_SB_SB_RKfSD_SD_SD_E_lSC_jLi1ELi2ELi4ELi512ELi2EEEvNS0_6detail10TensorInfoIT0_T2_EENSG_IT1_SI_EESI_T_, .Lfunc_end45-_ZN2at4cuda12_GLOBAL__N_121kernelPointwiseApply2IZNS_6native9templates4cuda28bernoulli_tensor_cuda_kernelIlfEEvRKNS_10TensorBaseES9_NS_15PhiloxCudaStateEEUliRlSB_SB_SB_RKfSD_SD_SD_E_lSC_jLi1ELi2ELi4ELi512ELi2EEEvNS0_6detail10TensorInfoIT0_T2_EENSG_IT1_SI_EESI_T_
                                        ; -- End function
	.section	.AMDGPU.csdata,"",@progbits
; Kernel info:
; codeLenInByte = 3052
; NumSgprs: 69
; NumVgprs: 51
; NumAgprs: 0
; TotalNumVgprs: 51
; ScratchSize: 0
; MemoryBound: 0
; FloatMode: 240
; IeeeMode: 1
; LDSByteSize: 0 bytes/workgroup (compile time only)
; SGPRBlocks: 8
; VGPRBlocks: 6
; NumSGPRsForWavesPerEU: 69
; NumVGPRsForWavesPerEU: 51
; AccumOffset: 52
; Occupancy: 8
; WaveLimiterHint : 1
; COMPUTE_PGM_RSRC2:SCRATCH_EN: 0
; COMPUTE_PGM_RSRC2:USER_SGPR: 6
; COMPUTE_PGM_RSRC2:TRAP_HANDLER: 0
; COMPUTE_PGM_RSRC2:TGID_X_EN: 1
; COMPUTE_PGM_RSRC2:TGID_Y_EN: 0
; COMPUTE_PGM_RSRC2:TGID_Z_EN: 0
; COMPUTE_PGM_RSRC2:TIDIG_COMP_CNT: 0
; COMPUTE_PGM_RSRC3_GFX90A:ACCUM_OFFSET: 12
; COMPUTE_PGM_RSRC3_GFX90A:TG_SPLIT: 0
	.section	.text._ZN2at4cuda12_GLOBAL__N_121kernelPointwiseApply2IZNS_6native9templates4cuda28bernoulli_tensor_cuda_kernelIlfEEvRKNS_10TensorBaseES9_NS_15PhiloxCudaStateEEUliRlSB_SB_SB_RKfSD_SD_SD_E_lSC_jLi1ELin1ELi4ELi512ELi2EEEvNS0_6detail10TensorInfoIT0_T2_EENSG_IT1_SI_EESI_T_,"axG",@progbits,_ZN2at4cuda12_GLOBAL__N_121kernelPointwiseApply2IZNS_6native9templates4cuda28bernoulli_tensor_cuda_kernelIlfEEvRKNS_10TensorBaseES9_NS_15PhiloxCudaStateEEUliRlSB_SB_SB_RKfSD_SD_SD_E_lSC_jLi1ELin1ELi4ELi512ELi2EEEvNS0_6detail10TensorInfoIT0_T2_EENSG_IT1_SI_EESI_T_,comdat
	.globl	_ZN2at4cuda12_GLOBAL__N_121kernelPointwiseApply2IZNS_6native9templates4cuda28bernoulli_tensor_cuda_kernelIlfEEvRKNS_10TensorBaseES9_NS_15PhiloxCudaStateEEUliRlSB_SB_SB_RKfSD_SD_SD_E_lSC_jLi1ELin1ELi4ELi512ELi2EEEvNS0_6detail10TensorInfoIT0_T2_EENSG_IT1_SI_EESI_T_ ; -- Begin function _ZN2at4cuda12_GLOBAL__N_121kernelPointwiseApply2IZNS_6native9templates4cuda28bernoulli_tensor_cuda_kernelIlfEEvRKNS_10TensorBaseES9_NS_15PhiloxCudaStateEEUliRlSB_SB_SB_RKfSD_SD_SD_E_lSC_jLi1ELin1ELi4ELi512ELi2EEEvNS0_6detail10TensorInfoIT0_T2_EENSG_IT1_SI_EESI_T_
	.p2align	8
	.type	_ZN2at4cuda12_GLOBAL__N_121kernelPointwiseApply2IZNS_6native9templates4cuda28bernoulli_tensor_cuda_kernelIlfEEvRKNS_10TensorBaseES9_NS_15PhiloxCudaStateEEUliRlSB_SB_SB_RKfSD_SD_SD_E_lSC_jLi1ELin1ELi4ELi512ELi2EEEvNS0_6detail10TensorInfoIT0_T2_EENSG_IT1_SI_EESI_T_,@function
_ZN2at4cuda12_GLOBAL__N_121kernelPointwiseApply2IZNS_6native9templates4cuda28bernoulli_tensor_cuda_kernelIlfEEvRKNS_10TensorBaseES9_NS_15PhiloxCudaStateEEUliRlSB_SB_SB_RKfSD_SD_SD_E_lSC_jLi1ELin1ELi4ELi512ELi2EEEvNS0_6detail10TensorInfoIT0_T2_EENSG_IT1_SI_EESI_T_: ; @_ZN2at4cuda12_GLOBAL__N_121kernelPointwiseApply2IZNS_6native9templates4cuda28bernoulli_tensor_cuda_kernelIlfEEvRKNS_10TensorBaseES9_NS_15PhiloxCudaStateEEUliRlSB_SB_SB_RKfSD_SD_SD_E_lSC_jLi1ELin1ELi4ELi512ELi2EEEvNS0_6detail10TensorInfoIT0_T2_EENSG_IT1_SI_EESI_T_
; %bb.0:
	s_load_dword s2, s[4:5], 0x1e4
	s_load_dword s33, s[4:5], 0x1b0
	s_add_u32 s0, s4, 0x1d8
	s_addc_u32 s1, s5, 0
	s_waitcnt lgkmcnt(0)
	s_and_b32 s2, s2, 0xffff
	s_mul_i32 s6, s6, s2
	v_add_u32_e32 v5, s6, v0
	v_lshlrev_b32_e32 v24, 2, v5
	v_cmp_gt_u32_e32 vcc, s33, v24
	s_and_saveexec_b64 s[6:7], vcc
	s_cbranch_execz .LBB46_65
; %bb.1:
	s_load_dword s3, s[0:1], 0x0
	s_load_dwordx4 s[12:15], s[4:5], 0x1b8
	s_load_dword s8, s[4:5], 0x1a8
	s_load_dwordx2 s[10:11], s[4:5], 0x0
	s_load_dword s62, s[4:5], 0x6c
	s_waitcnt lgkmcnt(0)
	s_mul_i32 s9, s3, s2
	s_load_dwordx2 s[16:17], s[4:5], 0x1c8
	s_load_dword s2, s[4:5], 0x1d0
	s_add_u32 s6, s4, 0xd8
	s_addc_u32 s7, s5, 0
	s_cmp_gt_i32 s8, 1
	s_cselect_b64 s[0:1], -1, 0
	s_waitcnt lgkmcnt(0)
	s_bitcmp1_b32 s2, 0
	s_mov_b32 s64, 0xcd9e8d57
	s_cselect_b64 s[22:23], -1, 0
	v_mad_u64_u32 v[0:1], s[2:3], v5, s64, 0
	s_add_i32 s24, s8, -1
	s_mov_b32 s25, 0
	s_load_dword s63, s[4:5], 0x144
	s_load_dwordx2 s[18:19], s[4:5], 0xd8
	s_lshl_b32 s65, s9, 2
	s_add_i32 s66, s8, 1
	s_lshl_b64 s[2:3], s[24:25], 2
	s_add_u32 s2, s2, s6
	s_addc_u32 s3, s3, s7
	v_mov_b32_e32 v4, v1
	s_add_u32 s26, s2, 8
	v_cndmask_b32_e64 v1, 0, 1, s[0:1]
	v_mov_b32_e32 v3, 0
	s_addc_u32 s27, s3, 0
	s_mov_b64 s[28:29], 0
	s_mov_b32 s24, 0xd2511f53
	v_cmp_ne_u32_e64 s[0:1], 1, v1
	s_mov_b32 s67, 0xf1bbcdc8
                                        ; implicit-def: $sgpr30_sgpr31
                                        ; implicit-def: $sgpr34_sgpr35
                                        ; implicit-def: $sgpr36_sgpr37
                                        ; implicit-def: $sgpr20_sgpr21
                                        ; implicit-def: $sgpr38_sgpr39
                                        ; implicit-def: $sgpr40_sgpr41
                                        ; implicit-def: $sgpr42_sgpr43
                                        ; implicit-def: $sgpr44_sgpr45
	s_branch .LBB46_3
.LBB46_2:                               ;   in Loop: Header=BB46_3 Depth=1
	s_or_b64 exec, exec, s[4:5]
	s_and_b64 s[2:3], exec, s[2:3]
	s_or_b64 s[28:29], s[2:3], s[28:29]
	s_andn2_b64 s[2:3], s[20:21], exec
	s_and_b64 s[4:5], s[44:45], exec
	s_or_b64 s[20:21], s[2:3], s[4:5]
	s_andn2_b64 s[2:3], s[36:37], exec
	s_and_b64 s[4:5], s[42:43], exec
	;; [unrolled: 3-line block ×4, first 2 shown]
	s_or_b64 s[30:31], s[2:3], s[4:5]
	s_andn2_b64 exec, exec, s[28:29]
	s_cbranch_execz .LBB46_61
.LBB46_3:                               ; =>This Loop Header: Depth=1
                                        ;     Child Loop BB46_6 Depth 2
                                        ;     Child Loop BB46_11 Depth 2
	;; [unrolled: 1-line block ×4, first 2 shown]
	v_sub_u32_e32 v25, s33, v24
	v_cmp_lt_i32_e64 s[2:3], 0, v25
	s_waitcnt vmcnt(0)
	v_mov_b32_e32 v2, 0
	s_and_saveexec_b64 s[4:5], s[2:3]
	s_cbranch_execz .LBB46_8
; %bb.4:                                ;   in Loop: Header=BB46_3 Depth=1
	s_and_b64 vcc, exec, s[0:1]
	v_mov_b32_e32 v6, 0
	v_mov_b32_e32 v1, v24
	s_cbranch_vccnz .LBB46_7
; %bb.5:                                ;   in Loop: Header=BB46_3 Depth=1
	v_mov_b32_e32 v6, 0
	s_mov_b64 s[6:7], s[26:27]
	s_mov_b32 s8, s66
	v_mov_b32_e32 v1, v24
.LBB46_6:                               ;   Parent Loop BB46_3 Depth=1
                                        ; =>  This Inner Loop Header: Depth=2
	s_load_dword s9, s[6:7], 0x0
	s_load_dword s46, s[6:7], 0x64
	v_mov_b32_e32 v2, v1
	s_add_i32 s8, s8, -1
	s_waitcnt lgkmcnt(0)
	v_cvt_f32_u32_e32 v1, s9
	s_sub_i32 s47, 0, s9
	s_add_u32 s6, s6, -4
	s_addc_u32 s7, s7, -1
	v_rcp_iflag_f32_e32 v1, v1
	s_cmp_gt_u32 s8, 2
	v_mul_f32_e32 v1, 0x4f7ffffe, v1
	v_cvt_u32_f32_e32 v1, v1
	v_mul_lo_u32 v7, s47, v1
	v_mul_hi_u32 v7, v1, v7
	v_add_u32_e32 v1, v1, v7
	v_mul_hi_u32 v1, v2, v1
	v_mul_lo_u32 v7, v1, s9
	v_sub_u32_e32 v7, v2, v7
	v_add_u32_e32 v8, 1, v1
	v_cmp_le_u32_e32 vcc, s9, v7
	v_cndmask_b32_e32 v1, v1, v8, vcc
	v_subrev_u32_e32 v8, s9, v7
	v_cndmask_b32_e32 v7, v7, v8, vcc
	v_add_u32_e32 v8, 1, v1
	v_cmp_le_u32_e32 vcc, s9, v7
	v_cndmask_b32_e32 v1, v1, v8, vcc
	v_mul_lo_u32 v7, v1, s9
	v_sub_u32_e32 v2, v2, v7
	v_mad_u64_u32 v[6:7], s[46:47], s46, v2, v[6:7]
	s_cbranch_scc1 .LBB46_6
.LBB46_7:                               ;   in Loop: Header=BB46_3 Depth=1
	s_waitcnt lgkmcnt(0)
	v_mad_u64_u32 v[6:7], s[6:7], s63, v1, v[6:7]
	v_mov_b32_e32 v2, v6
.LBB46_8:                               ;   in Loop: Header=BB46_3 Depth=1
	s_or_b64 exec, exec, s[4:5]
	v_cmp_lt_i32_e64 s[4:5], 1, v25
	v_pk_mov_b32 v[6:7], 0, 0
	s_and_saveexec_b64 s[6:7], s[4:5]
	s_cbranch_execz .LBB46_13
; %bb.9:                                ;   in Loop: Header=BB46_3 Depth=1
	v_or_b32_e32 v1, 1, v24
	s_and_b64 vcc, exec, s[0:1]
	v_mov_b32_e32 v6, 0
	s_cbranch_vccnz .LBB46_12
; %bb.10:                               ;   in Loop: Header=BB46_3 Depth=1
	v_mov_b32_e32 v6, 0
	s_mov_b64 s[8:9], s[26:27]
	s_mov_b32 s46, s66
.LBB46_11:                              ;   Parent Loop BB46_3 Depth=1
                                        ; =>  This Inner Loop Header: Depth=2
	s_load_dword s47, s[8:9], 0x0
	s_load_dword s48, s[8:9], 0x64
	v_mov_b32_e32 v7, v1
	s_add_i32 s46, s46, -1
	s_waitcnt lgkmcnt(0)
	v_cvt_f32_u32_e32 v1, s47
	s_sub_i32 s49, 0, s47
	s_add_u32 s8, s8, -4
	s_addc_u32 s9, s9, -1
	v_rcp_iflag_f32_e32 v1, v1
	s_cmp_gt_u32 s46, 2
	v_mul_f32_e32 v1, 0x4f7ffffe, v1
	v_cvt_u32_f32_e32 v1, v1
	v_mul_lo_u32 v8, s49, v1
	v_mul_hi_u32 v8, v1, v8
	v_add_u32_e32 v1, v1, v8
	v_mul_hi_u32 v1, v7, v1
	v_mul_lo_u32 v8, v1, s47
	v_sub_u32_e32 v8, v7, v8
	v_add_u32_e32 v9, 1, v1
	v_cmp_le_u32_e32 vcc, s47, v8
	v_cndmask_b32_e32 v1, v1, v9, vcc
	v_subrev_u32_e32 v9, s47, v8
	v_cndmask_b32_e32 v8, v8, v9, vcc
	v_add_u32_e32 v9, 1, v1
	v_cmp_le_u32_e32 vcc, s47, v8
	v_cndmask_b32_e32 v1, v1, v9, vcc
	v_mul_lo_u32 v8, v1, s47
	v_sub_u32_e32 v7, v7, v8
	v_mad_u64_u32 v[6:7], s[48:49], s48, v7, v[6:7]
	s_cbranch_scc1 .LBB46_11
.LBB46_12:                              ;   in Loop: Header=BB46_3 Depth=1
	s_waitcnt lgkmcnt(0)
	v_mad_u64_u32 v[6:7], s[8:9], s63, v1, v[6:7]
	v_mov_b32_e32 v7, v3
.LBB46_13:                              ;   in Loop: Header=BB46_3 Depth=1
	s_or_b64 exec, exec, s[6:7]
	v_cmp_lt_i32_e64 s[6:7], 2, v25
	v_pk_mov_b32 v[10:11], 0, 0
	s_and_saveexec_b64 s[8:9], s[6:7]
	s_cbranch_execz .LBB46_18
; %bb.14:                               ;   in Loop: Header=BB46_3 Depth=1
	v_or_b32_e32 v1, 2, v24
	s_and_b64 vcc, exec, s[0:1]
	v_mov_b32_e32 v8, 0
	s_cbranch_vccnz .LBB46_17
; %bb.15:                               ;   in Loop: Header=BB46_3 Depth=1
	v_mov_b32_e32 v8, 0
	s_mov_b64 s[46:47], s[26:27]
	s_mov_b32 s48, s66
.LBB46_16:                              ;   Parent Loop BB46_3 Depth=1
                                        ; =>  This Inner Loop Header: Depth=2
	s_load_dword s49, s[46:47], 0x0
	s_load_dword s50, s[46:47], 0x64
	v_mov_b32_e32 v9, v1
	s_add_i32 s48, s48, -1
	s_waitcnt lgkmcnt(0)
	v_cvt_f32_u32_e32 v1, s49
	s_sub_i32 s51, 0, s49
	s_add_u32 s46, s46, -4
	s_addc_u32 s47, s47, -1
	v_rcp_iflag_f32_e32 v1, v1
	s_cmp_gt_u32 s48, 2
	v_mul_f32_e32 v1, 0x4f7ffffe, v1
	v_cvt_u32_f32_e32 v1, v1
	v_mul_lo_u32 v10, s51, v1
	v_mul_hi_u32 v10, v1, v10
	v_add_u32_e32 v1, v1, v10
	v_mul_hi_u32 v1, v9, v1
	v_mul_lo_u32 v10, v1, s49
	v_sub_u32_e32 v10, v9, v10
	v_add_u32_e32 v11, 1, v1
	v_cmp_le_u32_e32 vcc, s49, v10
	v_cndmask_b32_e32 v1, v1, v11, vcc
	v_subrev_u32_e32 v11, s49, v10
	v_cndmask_b32_e32 v10, v10, v11, vcc
	v_add_u32_e32 v11, 1, v1
	v_cmp_le_u32_e32 vcc, s49, v10
	v_cndmask_b32_e32 v1, v1, v11, vcc
	v_mul_lo_u32 v10, v1, s49
	v_sub_u32_e32 v9, v9, v10
	v_mad_u64_u32 v[8:9], s[50:51], s50, v9, v[8:9]
	s_cbranch_scc1 .LBB46_16
.LBB46_17:                              ;   in Loop: Header=BB46_3 Depth=1
	s_waitcnt lgkmcnt(0)
	v_mad_u64_u32 v[10:11], s[46:47], s63, v1, v[8:9]
	v_mov_b32_e32 v11, v3
.LBB46_18:                              ;   in Loop: Header=BB46_3 Depth=1
	s_or_b64 exec, exec, s[8:9]
	v_mul_lo_u32 v1, v24, s62
	v_add_u32_e32 v26, s62, v1
	v_pk_mov_b32 v[12:13], 0, 0
	v_add_u32_e32 v28, s62, v26
	v_cmp_lt_i32_e32 vcc, 3, v25
	v_pk_mov_b32 v[8:9], v[12:13], v[12:13] op_sel:[0,1]
	s_and_saveexec_b64 s[8:9], vcc
	s_cbranch_execz .LBB46_23
; %bb.19:                               ;   in Loop: Header=BB46_3 Depth=1
	v_or_b32_e32 v14, 3, v24
	s_and_b64 vcc, exec, s[0:1]
	v_mov_b32_e32 v12, 0
	s_cbranch_vccnz .LBB46_22
; %bb.20:                               ;   in Loop: Header=BB46_3 Depth=1
	v_mov_b32_e32 v12, 0
	s_mov_b64 s[46:47], s[26:27]
	s_mov_b32 s48, s66
.LBB46_21:                              ;   Parent Loop BB46_3 Depth=1
                                        ; =>  This Inner Loop Header: Depth=2
	s_load_dword s49, s[46:47], 0x0
	s_load_dword s50, s[46:47], 0x64
	v_mov_b32_e32 v8, v14
	s_add_i32 s48, s48, -1
	s_waitcnt lgkmcnt(0)
	v_cvt_f32_u32_e32 v9, s49
	s_sub_i32 s51, 0, s49
	s_add_u32 s46, s46, -4
	s_addc_u32 s47, s47, -1
	v_rcp_iflag_f32_e32 v9, v9
	s_cmp_gt_u32 s48, 2
	v_mul_f32_e32 v9, 0x4f7ffffe, v9
	v_cvt_u32_f32_e32 v9, v9
	v_mul_lo_u32 v13, s51, v9
	v_mul_hi_u32 v13, v9, v13
	v_add_u32_e32 v9, v9, v13
	v_mul_hi_u32 v9, v8, v9
	v_mul_lo_u32 v13, v9, s49
	v_sub_u32_e32 v13, v8, v13
	v_add_u32_e32 v14, 1, v9
	v_cmp_le_u32_e32 vcc, s49, v13
	v_cndmask_b32_e32 v9, v9, v14, vcc
	v_subrev_u32_e32 v14, s49, v13
	v_cndmask_b32_e32 v13, v13, v14, vcc
	v_add_u32_e32 v14, 1, v9
	v_cmp_le_u32_e32 vcc, s49, v13
	v_cndmask_b32_e32 v14, v9, v14, vcc
	v_mul_lo_u32 v9, v14, s49
	v_sub_u32_e32 v8, v8, v9
	v_mad_u64_u32 v[12:13], s[50:51], s50, v8, v[12:13]
	s_cbranch_scc1 .LBB46_21
.LBB46_22:                              ;   in Loop: Header=BB46_3 Depth=1
	s_waitcnt lgkmcnt(0)
	v_mad_u64_u32 v[12:13], s[46:47], s63, v14, v[12:13]
	v_add_u32_e32 v8, s62, v28
	v_mov_b32_e32 v9, v3
	v_mov_b32_e32 v13, v3
.LBB46_23:                              ;   in Loop: Header=BB46_3 Depth=1
	s_or_b64 exec, exec, s[8:9]
	v_lshlrev_b64 v[14:15], 2, v[2:3]
	s_waitcnt lgkmcnt(0)
	v_mov_b32_e32 v2, s19
	v_add_co_u32_e32 v14, vcc, s18, v14
	v_addc_co_u32_e32 v15, vcc, v2, v15, vcc
	v_lshlrev_b64 v[6:7], 2, v[6:7]
	v_add_co_u32_e32 v6, vcc, s18, v6
	v_addc_co_u32_e32 v7, vcc, v2, v7, vcc
	v_lshlrev_b64 v[10:11], 2, v[10:11]
	;; [unrolled: 3-line block ×3, first 2 shown]
	v_add_co_u32_e32 v12, vcc, s18, v12
	v_addc_co_u32_e32 v13, vcc, v2, v13, vcc
	global_load_dword v27, v[14:15], off
	global_load_dword v29, v[6:7], off
	;; [unrolled: 1-line block ×4, first 2 shown]
	s_andn2_b64 vcc, exec, s[22:23]
	v_pk_mov_b32 v[6:7], s[14:15], s[14:15] op_sel:[0,1]
	v_pk_mov_b32 v[10:11], s[12:13], s[12:13] op_sel:[0,1]
	s_cbranch_vccnz .LBB46_25
; %bb.24:                               ;   in Loop: Header=BB46_3 Depth=1
	v_pk_mov_b32 v[6:7], s[14:15], s[14:15] op_sel:[0,1]
	flat_load_dwordx2 v[6:7], v[6:7]
	v_pk_mov_b32 v[10:11], s[12:13], s[12:13] op_sel:[0,1]
	flat_load_dwordx2 v[10:11], v[10:11]
	v_mov_b32_e32 v12, s17
	s_waitcnt vmcnt(0) lgkmcnt(0)
	v_add_co_u32_e32 v6, vcc, s16, v6
	v_addc_co_u32_e32 v7, vcc, v7, v12, vcc
.LBB46_25:                              ;   in Loop: Header=BB46_3 Depth=1
	v_alignbit_b32 v20, v7, v6, 2
	v_lshrrev_b32_e32 v21, 2, v7
	v_xor_b32_e32 v12, v4, v10
	v_and_b32_e32 v31, 3, v6
	v_mad_u64_u32 v[6:7], s[8:9], v20, s24, 0
	v_xor_b32_e32 v12, v12, v21
	v_xor_b32_e32 v7, v7, v11
	v_add_u32_e32 v36, 0xbb67ae85, v11
	v_mad_u64_u32 v[12:13], s[8:9], v12, s24, 0
	v_mad_u64_u32 v[14:15], s[8:9], v7, s64, 0
	v_xor_b32_e32 v13, v36, v13
	v_add_u32_e32 v35, 0x9e3779b9, v10
	v_xor_b32_e32 v7, v0, v15
	v_xor_b32_e32 v13, v13, v6
	v_xor_b32_e32 v7, v7, v35
	v_add_u32_e32 v37, 0x3c6ef372, v10
	v_mad_u64_u32 v[16:17], s[8:9], v13, s64, 0
	v_add_u32_e32 v38, 0x76cf5d0a, v11
	v_mad_u64_u32 v[6:7], s[8:9], v7, s24, 0
	v_xor_b32_e32 v13, v37, v17
	v_xor_b32_e32 v13, v13, v14
	v_xor_b32_e32 v7, v38, v7
	v_xor_b32_e32 v7, v7, v12
	v_add_u32_e32 v40, 0x32370b8f, v11
	v_mad_u64_u32 v[12:13], s[8:9], v13, s24, 0
	v_add_u32_e32 v39, 0xdaa66d2b, v10
	v_mad_u64_u32 v[14:15], s[8:9], v7, s64, 0
	v_xor_b32_e32 v13, v40, v13
	;; [unrolled: 8-line block ×5, first 2 shown]
	v_xor_b32_e32 v13, v13, v14
	v_xor_b32_e32 v7, v46, v7
	;; [unrolled: 1-line block ×3, first 2 shown]
	v_add_u32_e32 v48, 0x1fd5c5a3, v11
	v_mad_u64_u32 v[12:13], s[8:9], v13, s24, 0
	v_xor_b32_e32 v13, v48, v13
	v_xor_b32_e32 v6, v13, v6
	v_add_u32_e32 v47, 0x5384540f, v10
	v_mad_u64_u32 v[18:19], s[8:9], v7, s64, 0
	v_add_co_u32_e32 v33, vcc, s67, v10
	v_mad_u64_u32 v[14:15], s[8:9], v6, s64, 0
	v_xor_b32_e32 v7, v47, v19
	v_xor_b32_e32 v6, v33, v15
	;; [unrolled: 1-line block ×4, first 2 shown]
	v_mad_u64_u32 v[16:17], s[8:9], v7, s24, 0
	v_mad_u64_u32 v[6:7], s[8:9], v6, s24, 0
	v_add_u32_e32 v34, 0x96a522ad, v11
	v_xor_b32_e32 v7, v7, v16
	v_xor_b32_e32 v32, v34, v7
	v_add_co_u32_e32 v7, vcc, 1, v20
	v_cndmask_b32_e64 v16, 0, 1, vcc
	v_addc_co_u32_e32 v22, vcc, 0, v21, vcc
	v_cmp_eq_u32_e32 vcc, 0, v22
	v_cndmask_b32_e32 v16, 0, v16, vcc
	v_add_u32_e32 v20, v16, v5
	v_cmp_eq_u32_e32 vcc, 0, v20
	v_mad_u64_u32 v[18:19], s[8:9], v7, s24, 0
	v_mad_u64_u32 v[20:21], s[8:9], v20, s64, 0
	v_add_u32_e32 v15, 0x8ff34781, v10
	v_cndmask_b32_e32 v16, 0, v16, vcc
	v_xor_b32_e32 v7, v21, v10
	v_xor_b32_e32 v10, v19, v11
	;; [unrolled: 1-line block ×4, first 2 shown]
	v_mad_u64_u32 v[22:23], s[8:9], v16, s64, 0
	v_add_u32_e32 v13, 0xdb3d7428, v11
	v_mad_u64_u32 v[10:11], s[8:9], v7, s24, 0
	v_xor_b32_e32 v7, v35, v23
	v_xor_b32_e32 v7, v7, v20
	v_xor_b32_e32 v11, v36, v11
	v_xor_b32_e32 v11, v11, v18
	v_mad_u64_u32 v[18:19], s[8:9], v7, s24, 0
	v_mad_u64_u32 v[20:21], s[8:9], v11, s64, 0
	v_xor_b32_e32 v11, v38, v19
	v_xor_b32_e32 v7, v37, v21
	v_xor_b32_e32 v16, v11, v10
	v_xor_b32_e32 v7, v7, v22
	v_mad_u64_u32 v[22:23], s[8:9], v16, s64, 0
	;; [unrolled: 6-line block ×7, first 2 shown]
	v_xor_b32_e32 v7, v13, v21
	v_xor_b32_e32 v7, v7, v10
	v_mad_u64_u32 v[22:23], s[8:9], v11, s64, 0
	v_mad_u64_u32 v[10:11], s[8:9], v7, s64, 0
	v_xor_b32_e32 v7, v11, v22
	v_xor_b32_e32 v7, v15, v7
	v_cmp_lt_i32_e32 vcc, 1, v31
                                        ; implicit-def: $vgpr19
	s_and_saveexec_b64 s[8:9], vcc
	s_xor_b64 s[8:9], exec, s[8:9]
	s_cbranch_execz .LBB46_31
; %bb.26:                               ;   in Loop: Header=BB46_3 Depth=1
	v_cmp_lt_i32_e32 vcc, 2, v31
                                        ; implicit-def: $vgpr19
	s_and_saveexec_b64 s[46:47], vcc
	s_xor_b64 s[46:47], exec, s[46:47]
; %bb.27:                               ;   in Loop: Header=BB46_3 Depth=1
	v_xor_b32_e32 v11, v33, v23
	v_xor_b32_e32 v11, v11, v18
	v_mul_hi_u32 v11, v11, s24
	v_xor_b32_e32 v11, v11, v20
	v_xor_b32_e32 v19, v34, v11
                                        ; implicit-def: $vgpr32
; %bb.28:                               ;   in Loop: Header=BB46_3 Depth=1
	s_andn2_saveexec_b64 s[46:47], s[46:47]
; %bb.29:                               ;   in Loop: Header=BB46_3 Depth=1
	v_mov_b32_e32 v19, v10
	v_mov_b32_e32 v10, v7
	;; [unrolled: 1-line block ×4, first 2 shown]
; %bb.30:                               ;   in Loop: Header=BB46_3 Depth=1
	s_or_b64 exec, exec, s[46:47]
                                        ; implicit-def: $vgpr12_vgpr13
                                        ; implicit-def: $vgpr14_vgpr15
                                        ; implicit-def: $vgpr31
                                        ; implicit-def: $vgpr32
                                        ; implicit-def: $vgpr16_vgpr17
                                        ; implicit-def: $vgpr13
                                        ; implicit-def: $vgpr15
.LBB46_31:                              ;   in Loop: Header=BB46_3 Depth=1
	s_andn2_saveexec_b64 s[8:9], s[8:9]
	s_cbranch_execz .LBB46_35
; %bb.32:                               ;   in Loop: Header=BB46_3 Depth=1
	v_xor_b32_e32 v10, v13, v17
	v_xor_b32_e32 v10, v10, v12
	v_mad_u64_u32 v[12:13], s[46:47], v10, s64, 0
	v_xor_b32_e32 v10, v13, v14
	v_xor_b32_e32 v11, v15, v10
	v_cmp_eq_u32_e32 vcc, 1, v31
	v_mov_b32_e32 v19, v6
	v_mov_b32_e32 v10, v32
	v_mov_b32_e32 v13, v12
	s_and_saveexec_b64 s[46:47], vcc
; %bb.33:                               ;   in Loop: Header=BB46_3 Depth=1
	v_mov_b32_e32 v19, v7
	v_mov_b32_e32 v10, v6
	;; [unrolled: 1-line block ×4, first 2 shown]
; %bb.34:                               ;   in Loop: Header=BB46_3 Depth=1
	s_or_b64 exec, exec, s[46:47]
	v_mov_b32_e32 v6, v11
	v_mov_b32_e32 v7, v13
.LBB46_35:                              ;   in Loop: Header=BB46_3 Depth=1
	s_or_b64 exec, exec, s[8:9]
	v_min_i32_e32 v11, 4, v25
	v_cmp_lt_i32_e32 vcc, 2, v11
	s_mov_b64 s[46:47], 0
	s_mov_b64 s[56:57], 0
	;; [unrolled: 1-line block ×3, first 2 shown]
                                        ; implicit-def: $sgpr48_sgpr49
                                        ; implicit-def: $sgpr50_sgpr51
                                        ; implicit-def: $sgpr52_sgpr53
	s_and_saveexec_b64 s[54:55], vcc
	s_xor_b64 s[54:55], exec, s[54:55]
	s_cbranch_execz .LBB46_47
; %bb.36:                               ;   in Loop: Header=BB46_3 Depth=1
	v_cmp_lt_i32_e32 vcc, 3, v11
	s_mov_b64 s[8:9], -1
	s_mov_b64 s[60:61], 0
                                        ; implicit-def: $sgpr48_sgpr49
                                        ; implicit-def: $sgpr58_sgpr59
	s_and_saveexec_b64 s[50:51], vcc
	s_cbranch_execz .LBB46_42
; %bb.37:                               ;   in Loop: Header=BB46_3 Depth=1
	v_cmp_eq_u32_e32 vcc, 4, v11
	s_mov_b64 s[8:9], 0
	s_mov_b64 s[60:61], -1
                                        ; implicit-def: $sgpr48_sgpr49
                                        ; implicit-def: $sgpr58_sgpr59
	s_and_saveexec_b64 s[52:53], vcc
	s_cbranch_execz .LBB46_41
; %bb.38:                               ;   in Loop: Header=BB46_3 Depth=1
	s_waitcnt vmcnt(0)
	v_cmp_le_f32_e32 vcc, 0, v2
	v_cmp_ge_f32_e64 s[8:9], 1.0, v2
	s_and_b64 s[60:61], vcc, s[8:9]
	s_mov_b64 s[48:49], 0
	s_mov_b64 s[8:9], 0
	s_and_saveexec_b64 s[58:59], s[60:61]
	s_cbranch_execz .LBB46_40
; %bb.39:                               ;   in Loop: Header=BB46_3 Depth=1
	v_cvt_f32_u32_e32 v12, v19
	v_mov_b32_e32 v13, 0x2f800000
	v_lshlrev_b64 v[8:9], 3, v[8:9]
	v_add_co_u32_e32 v8, vcc, s10, v8
	v_fmac_f32_e32 v13, 0x2f800000, v12
	v_mov_b32_e32 v12, s11
	v_addc_co_u32_e32 v9, vcc, v12, v9, vcc
	v_cmp_le_f32_e32 vcc, v13, v2
	s_mov_b64 s[8:9], exec
	v_cndmask_b32_e64 v12, 0, 1, vcc
	v_mov_b32_e32 v13, s25
	global_store_dwordx2 v[8:9], v[12:13], off
.LBB46_40:                              ;   in Loop: Header=BB46_3 Depth=1
	s_or_b64 exec, exec, s[58:59]
	s_mov_b64 s[58:59], -1
	s_xor_b64 s[60:61], exec, -1
	s_and_b64 s[8:9], s[8:9], exec
.LBB46_41:                              ;   in Loop: Header=BB46_3 Depth=1
	s_or_b64 exec, exec, s[52:53]
	s_and_b64 s[60:61], s[60:61], exec
	s_orn2_b64 s[8:9], s[8:9], exec
.LBB46_42:                              ;   in Loop: Header=BB46_3 Depth=1
	s_or_b64 exec, exec, s[50:51]
	s_mov_b64 s[52:53], s[48:49]
	s_and_saveexec_b64 s[50:51], s[8:9]
	s_cbranch_execz .LBB46_46
; %bb.43:                               ;   in Loop: Header=BB46_3 Depth=1
	s_waitcnt vmcnt(1)
	v_cmp_le_f32_e32 vcc, 0, v30
	v_cmp_ge_f32_e64 s[8:9], 1.0, v30
	s_and_b64 s[52:53], vcc, s[8:9]
	s_mov_b64 s[8:9], 0
	s_and_saveexec_b64 s[56:57], s[52:53]
	s_xor_b64 s[52:53], exec, s[56:57]
	s_cbranch_execz .LBB46_45
; %bb.44:                               ;   in Loop: Header=BB46_3 Depth=1
	v_cvt_f32_u32_e32 v8, v10
	v_mov_b32_e32 v10, 0x2f800000
	s_waitcnt vmcnt(0)
	v_cndmask_b32_e64 v2, 0, v28, s[6:7]
	v_mov_b32_e32 v13, s25
	v_fmac_f32_e32 v10, 0x2f800000, v8
	v_lshlrev_b64 v[8:9], 3, v[2:3]
	v_mov_b32_e32 v2, s11
	v_add_co_u32_e32 v8, vcc, s10, v8
	v_addc_co_u32_e32 v9, vcc, v2, v9, vcc
	v_cmp_le_f32_e32 vcc, v10, v30
	v_cndmask_b32_e64 v12, 0, 1, vcc
	s_mov_b64 s[8:9], exec
	global_store_dwordx2 v[8:9], v[12:13], off
.LBB46_45:                              ;   in Loop: Header=BB46_3 Depth=1
	s_or_b64 exec, exec, s[52:53]
	s_andn2_b64 s[52:53], s[48:49], exec
	s_or_b64 s[48:49], s[48:49], exec
	s_andn2_b64 s[58:59], s[58:59], exec
	s_and_b64 s[56:57], s[8:9], exec
.LBB46_46:                              ;   in Loop: Header=BB46_3 Depth=1
	s_or_b64 exec, exec, s[50:51]
	s_and_b64 s[52:53], s[52:53], exec
	s_and_b64 s[50:51], s[48:49], exec
	;; [unrolled: 1-line block ×5, first 2 shown]
.LBB46_47:                              ;   in Loop: Header=BB46_3 Depth=1
	s_andn2_saveexec_b64 s[6:7], s[54:55]
; %bb.48:                               ;   in Loop: Header=BB46_3 Depth=1
	v_cmp_lt_i32_e32 vcc, 1, v11
	s_andn2_b64 s[54:55], s[56:57], exec
	s_and_b64 s[56:57], vcc, exec
	s_mov_b64 s[46:47], exec
	s_andn2_b64 s[52:53], s[52:53], exec
	s_andn2_b64 s[50:51], s[50:51], exec
	;; [unrolled: 1-line block ×3, first 2 shown]
	s_or_b64 s[56:57], s[54:55], s[56:57]
; %bb.49:                               ;   in Loop: Header=BB46_3 Depth=1
	s_or_b64 exec, exec, s[6:7]
	s_mov_b64 s[54:55], 0
	s_mov_b64 s[6:7], s[52:53]
	s_and_saveexec_b64 s[58:59], s[56:57]
	s_cbranch_execnz .LBB46_52
; %bb.50:                               ;   in Loop: Header=BB46_3 Depth=1
	s_or_b64 exec, exec, s[58:59]
	s_and_saveexec_b64 s[4:5], s[46:47]
	s_cbranch_execnz .LBB46_55
.LBB46_51:                              ;   in Loop: Header=BB46_3 Depth=1
	s_or_b64 exec, exec, s[4:5]
	s_and_saveexec_b64 s[46:47], s[54:55]
	s_cbranch_execnz .LBB46_56
	s_branch .LBB46_59
.LBB46_52:                              ;   in Loop: Header=BB46_3 Depth=1
	s_waitcnt vmcnt(2)
	v_cmp_le_f32_e32 vcc, 0, v29
	v_cmp_ge_f32_e64 s[6:7], 1.0, v29
	s_and_b64 s[6:7], vcc, s[6:7]
	s_and_saveexec_b64 s[56:57], s[6:7]
	s_xor_b64 s[6:7], exec, s[56:57]
	s_cbranch_execz .LBB46_54
; %bb.53:                               ;   in Loop: Header=BB46_3 Depth=1
	v_cvt_f32_u32_e32 v7, v7
	s_waitcnt vmcnt(0)
	v_cndmask_b32_e64 v2, 0, v26, s[4:5]
	v_lshlrev_b64 v[8:9], 3, v[2:3]
	v_mov_b32_e32 v10, 0x2f800000
	v_mov_b32_e32 v2, s11
	v_add_co_u32_e32 v8, vcc, s10, v8
	v_fmac_f32_e32 v10, 0x2f800000, v7
	v_addc_co_u32_e32 v9, vcc, v2, v9, vcc
	v_cmp_le_f32_e32 vcc, v10, v29
	v_cndmask_b32_e64 v12, 0, 1, vcc
	v_mov_b32_e32 v13, s25
	s_mov_b64 s[54:55], exec
	global_store_dwordx2 v[8:9], v[12:13], off
.LBB46_54:                              ;   in Loop: Header=BB46_3 Depth=1
	s_or_b64 exec, exec, s[6:7]
	s_andn2_b64 s[6:7], s[52:53], exec
	s_or_b64 s[52:53], s[52:53], exec
	s_andn2_b64 s[50:51], s[50:51], exec
	s_andn2_b64 s[48:49], s[48:49], exec
	s_and_b64 s[54:55], s[54:55], exec
	s_andn2_b64 s[46:47], s[46:47], exec
	s_or_b64 exec, exec, s[58:59]
	s_and_saveexec_b64 s[4:5], s[46:47]
	s_cbranch_execz .LBB46_51
.LBB46_55:                              ;   in Loop: Header=BB46_3 Depth=1
	v_cmp_eq_u32_e32 vcc, 1, v11
	s_andn2_b64 s[46:47], s[54:55], exec
	s_and_b64 s[54:55], vcc, exec
	s_andn2_b64 s[6:7], s[6:7], exec
	s_andn2_b64 s[52:53], s[52:53], exec
	s_andn2_b64 s[50:51], s[50:51], exec
	s_andn2_b64 s[48:49], s[48:49], exec
	s_or_b64 s[8:9], s[8:9], exec
	s_or_b64 s[54:55], s[46:47], s[54:55]
	s_or_b64 exec, exec, s[4:5]
	s_and_saveexec_b64 s[46:47], s[54:55]
	s_cbranch_execz .LBB46_59
.LBB46_56:                              ;   in Loop: Header=BB46_3 Depth=1
	s_waitcnt vmcnt(3)
	v_cmp_le_f32_e32 vcc, 0, v27
	v_cmp_ge_f32_e64 s[4:5], 1.0, v27
	s_and_b64 s[56:57], vcc, s[4:5]
	s_mov_b64 s[4:5], 0
	s_and_saveexec_b64 s[54:55], s[56:57]
	s_cbranch_execz .LBB46_58
; %bb.57:                               ;   in Loop: Header=BB46_3 Depth=1
	v_cvt_f32_u32_e32 v6, v6
	v_mov_b32_e32 v8, 0x2f800000
	s_waitcnt vmcnt(0)
	v_cndmask_b32_e64 v2, 0, v1, s[2:3]
	v_mov_b32_e32 v1, s11
	v_fmac_f32_e32 v8, 0x2f800000, v6
	v_lshlrev_b64 v[6:7], 3, v[2:3]
	v_add_co_u32_e32 v6, vcc, s10, v6
	v_addc_co_u32_e32 v7, vcc, v1, v7, vcc
	v_cmp_le_f32_e32 vcc, v8, v27
	s_mov_b64 s[4:5], exec
	v_cndmask_b32_e64 v8, 0, 1, vcc
	v_mov_b32_e32 v9, s25
	global_store_dwordx2 v[6:7], v[8:9], off
.LBB46_58:                              ;   in Loop: Header=BB46_3 Depth=1
	s_or_b64 exec, exec, s[54:55]
	s_andn2_b64 s[2:3], s[8:9], exec
	s_and_b64 s[4:5], s[4:5], exec
	s_or_b64 s[6:7], s[6:7], exec
	s_andn2_b64 s[52:53], s[52:53], exec
	s_andn2_b64 s[50:51], s[50:51], exec
	s_andn2_b64 s[48:49], s[48:49], exec
	s_or_b64 s[8:9], s[2:3], s[4:5]
.LBB46_59:                              ;   in Loop: Header=BB46_3 Depth=1
	s_or_b64 exec, exec, s[46:47]
	s_andn2_b64 s[4:5], s[44:45], exec
	s_and_b64 s[6:7], s[6:7], exec
	s_or_b64 s[44:45], s[4:5], s[6:7]
	s_andn2_b64 s[4:5], s[42:43], exec
	s_and_b64 s[6:7], s[52:53], exec
	s_or_b64 s[42:43], s[4:5], s[6:7]
	s_andn2_b64 s[4:5], s[40:41], exec
	s_and_b64 s[6:7], s[50:51], exec
	s_or_b64 s[40:41], s[4:5], s[6:7]
	s_andn2_b64 s[4:5], s[38:39], exec
	s_and_b64 s[6:7], s[48:49], exec
	s_mov_b64 s[2:3], -1
	s_or_b64 s[38:39], s[4:5], s[6:7]
	s_and_saveexec_b64 s[4:5], s[8:9]
	s_cbranch_execz .LBB46_2
; %bb.60:                               ;   in Loop: Header=BB46_3 Depth=1
	v_add_u32_e32 v24, s65, v24
	v_cmp_le_u32_e32 vcc, s33, v24
	s_andn2_b64 s[44:45], s[44:45], exec
	s_andn2_b64 s[42:43], s[42:43], exec
	;; [unrolled: 1-line block ×4, first 2 shown]
	s_orn2_b64 s[2:3], vcc, exec
	s_branch .LBB46_2
.LBB46_61:
	s_or_b64 exec, exec, s[28:29]
	s_xor_b64 s[6:7], s[36:37], -1
	s_xor_b64 s[8:9], s[34:35], -1
	;; [unrolled: 1-line block ×3, first 2 shown]
	s_mov_b64 s[2:3], 0
	s_and_saveexec_b64 s[4:5], s[0:1]
	s_xor_b64 s[0:1], exec, s[4:5]
	s_cbranch_execnz .LBB46_66
; %bb.62:
	s_andn2_saveexec_b64 s[0:1], s[0:1]
	s_cbranch_execnz .LBB46_74
.LBB46_63:
	s_or_b64 exec, exec, s[0:1]
	s_and_b64 exec, exec, s[2:3]
.LBB46_64:
	; divergent unreachable
.LBB46_65:
	s_endpgm
.LBB46_66:
	s_mov_b64 s[4:5], 0
	s_and_saveexec_b64 s[2:3], s[8:9]
	s_xor_b64 s[2:3], exec, s[2:3]
	s_cbranch_execz .LBB46_72
; %bb.67:
	s_and_saveexec_b64 s[8:9], s[6:7]
	s_xor_b64 s[6:7], exec, s[8:9]
	s_cbranch_execz .LBB46_70
; %bb.68:
	s_and_saveexec_b64 s[8:9], s[20:21]
	s_xor_b64 s[8:9], exec, s[8:9]
	s_cbranch_execnz .LBB46_77
.LBB46_69:
	s_or_b64 exec, exec, s[8:9]
	s_and_b64 s[4:5], s[4:5], exec
.LBB46_70:
	s_andn2_saveexec_b64 s[6:7], s[6:7]
	s_cbranch_execnz .LBB46_76
.LBB46_71:
	s_or_b64 exec, exec, s[6:7]
	s_and_b64 s[4:5], s[4:5], exec
.LBB46_72:
	s_andn2_saveexec_b64 s[2:3], s[2:3]
	s_cbranch_execnz .LBB46_75
.LBB46_73:
	s_or_b64 exec, exec, s[2:3]
	s_and_b64 s[2:3], s[4:5], exec
	s_andn2_saveexec_b64 s[0:1], s[0:1]
	s_cbranch_execz .LBB46_63
.LBB46_74:
	s_or_b64 s[2:3], s[2:3], exec
	s_trap 2
	s_or_b64 exec, exec, s[0:1]
	s_and_b64 exec, exec, s[2:3]
	s_cbranch_execnz .LBB46_64
	s_branch .LBB46_65
.LBB46_75:
	s_or_b64 s[4:5], s[4:5], exec
	s_trap 2
	s_branch .LBB46_73
.LBB46_76:
	s_trap 2
	s_or_b64 s[4:5], s[4:5], exec
	s_branch .LBB46_71
.LBB46_77:
	s_mov_b64 s[4:5], exec
	s_trap 2
	s_branch .LBB46_69
	.section	.rodata,"a",@progbits
	.p2align	6, 0x0
	.amdhsa_kernel _ZN2at4cuda12_GLOBAL__N_121kernelPointwiseApply2IZNS_6native9templates4cuda28bernoulli_tensor_cuda_kernelIlfEEvRKNS_10TensorBaseES9_NS_15PhiloxCudaStateEEUliRlSB_SB_SB_RKfSD_SD_SD_E_lSC_jLi1ELin1ELi4ELi512ELi2EEEvNS0_6detail10TensorInfoIT0_T2_EENSG_IT1_SI_EESI_T_
		.amdhsa_group_segment_fixed_size 0
		.amdhsa_private_segment_fixed_size 0
		.amdhsa_kernarg_size 728
		.amdhsa_user_sgpr_count 6
		.amdhsa_user_sgpr_private_segment_buffer 1
		.amdhsa_user_sgpr_dispatch_ptr 0
		.amdhsa_user_sgpr_queue_ptr 0
		.amdhsa_user_sgpr_kernarg_segment_ptr 1
		.amdhsa_user_sgpr_dispatch_id 0
		.amdhsa_user_sgpr_flat_scratch_init 0
		.amdhsa_user_sgpr_kernarg_preload_length 0
		.amdhsa_user_sgpr_kernarg_preload_offset 0
		.amdhsa_user_sgpr_private_segment_size 0
		.amdhsa_uses_dynamic_stack 0
		.amdhsa_system_sgpr_private_segment_wavefront_offset 0
		.amdhsa_system_sgpr_workgroup_id_x 1
		.amdhsa_system_sgpr_workgroup_id_y 0
		.amdhsa_system_sgpr_workgroup_id_z 0
		.amdhsa_system_sgpr_workgroup_info 0
		.amdhsa_system_vgpr_workitem_id 0
		.amdhsa_next_free_vgpr 49
		.amdhsa_next_free_sgpr 68
		.amdhsa_accum_offset 52
		.amdhsa_reserve_vcc 1
		.amdhsa_reserve_flat_scratch 0
		.amdhsa_float_round_mode_32 0
		.amdhsa_float_round_mode_16_64 0
		.amdhsa_float_denorm_mode_32 3
		.amdhsa_float_denorm_mode_16_64 3
		.amdhsa_dx10_clamp 1
		.amdhsa_ieee_mode 1
		.amdhsa_fp16_overflow 0
		.amdhsa_tg_split 0
		.amdhsa_exception_fp_ieee_invalid_op 0
		.amdhsa_exception_fp_denorm_src 0
		.amdhsa_exception_fp_ieee_div_zero 0
		.amdhsa_exception_fp_ieee_overflow 0
		.amdhsa_exception_fp_ieee_underflow 0
		.amdhsa_exception_fp_ieee_inexact 0
		.amdhsa_exception_int_div_zero 0
	.end_amdhsa_kernel
	.section	.text._ZN2at4cuda12_GLOBAL__N_121kernelPointwiseApply2IZNS_6native9templates4cuda28bernoulli_tensor_cuda_kernelIlfEEvRKNS_10TensorBaseES9_NS_15PhiloxCudaStateEEUliRlSB_SB_SB_RKfSD_SD_SD_E_lSC_jLi1ELin1ELi4ELi512ELi2EEEvNS0_6detail10TensorInfoIT0_T2_EENSG_IT1_SI_EESI_T_,"axG",@progbits,_ZN2at4cuda12_GLOBAL__N_121kernelPointwiseApply2IZNS_6native9templates4cuda28bernoulli_tensor_cuda_kernelIlfEEvRKNS_10TensorBaseES9_NS_15PhiloxCudaStateEEUliRlSB_SB_SB_RKfSD_SD_SD_E_lSC_jLi1ELin1ELi4ELi512ELi2EEEvNS0_6detail10TensorInfoIT0_T2_EENSG_IT1_SI_EESI_T_,comdat
.Lfunc_end46:
	.size	_ZN2at4cuda12_GLOBAL__N_121kernelPointwiseApply2IZNS_6native9templates4cuda28bernoulli_tensor_cuda_kernelIlfEEvRKNS_10TensorBaseES9_NS_15PhiloxCudaStateEEUliRlSB_SB_SB_RKfSD_SD_SD_E_lSC_jLi1ELin1ELi4ELi512ELi2EEEvNS0_6detail10TensorInfoIT0_T2_EENSG_IT1_SI_EESI_T_, .Lfunc_end46-_ZN2at4cuda12_GLOBAL__N_121kernelPointwiseApply2IZNS_6native9templates4cuda28bernoulli_tensor_cuda_kernelIlfEEvRKNS_10TensorBaseES9_NS_15PhiloxCudaStateEEUliRlSB_SB_SB_RKfSD_SD_SD_E_lSC_jLi1ELin1ELi4ELi512ELi2EEEvNS0_6detail10TensorInfoIT0_T2_EENSG_IT1_SI_EESI_T_
                                        ; -- End function
	.section	.AMDGPU.csdata,"",@progbits
; Kernel info:
; codeLenInByte = 3520
; NumSgprs: 72
; NumVgprs: 49
; NumAgprs: 0
; TotalNumVgprs: 49
; ScratchSize: 0
; MemoryBound: 0
; FloatMode: 240
; IeeeMode: 1
; LDSByteSize: 0 bytes/workgroup (compile time only)
; SGPRBlocks: 8
; VGPRBlocks: 6
; NumSGPRsForWavesPerEU: 72
; NumVGPRsForWavesPerEU: 49
; AccumOffset: 52
; Occupancy: 8
; WaveLimiterHint : 1
; COMPUTE_PGM_RSRC2:SCRATCH_EN: 0
; COMPUTE_PGM_RSRC2:USER_SGPR: 6
; COMPUTE_PGM_RSRC2:TRAP_HANDLER: 0
; COMPUTE_PGM_RSRC2:TGID_X_EN: 1
; COMPUTE_PGM_RSRC2:TGID_Y_EN: 0
; COMPUTE_PGM_RSRC2:TGID_Z_EN: 0
; COMPUTE_PGM_RSRC2:TIDIG_COMP_CNT: 0
; COMPUTE_PGM_RSRC3_GFX90A:ACCUM_OFFSET: 12
; COMPUTE_PGM_RSRC3_GFX90A:TG_SPLIT: 0
	.section	.text._ZN2at4cuda12_GLOBAL__N_121kernelPointwiseApply2IZNS_6native9templates4cuda28bernoulli_tensor_cuda_kernelIlfEEvRKNS_10TensorBaseES9_NS_15PhiloxCudaStateEEUliRlSB_SB_SB_RKfSD_SD_SD_E_lSC_jLi2ELi1ELi4ELi512ELi2EEEvNS0_6detail10TensorInfoIT0_T2_EENSG_IT1_SI_EESI_T_,"axG",@progbits,_ZN2at4cuda12_GLOBAL__N_121kernelPointwiseApply2IZNS_6native9templates4cuda28bernoulli_tensor_cuda_kernelIlfEEvRKNS_10TensorBaseES9_NS_15PhiloxCudaStateEEUliRlSB_SB_SB_RKfSD_SD_SD_E_lSC_jLi2ELi1ELi4ELi512ELi2EEEvNS0_6detail10TensorInfoIT0_T2_EENSG_IT1_SI_EESI_T_,comdat
	.globl	_ZN2at4cuda12_GLOBAL__N_121kernelPointwiseApply2IZNS_6native9templates4cuda28bernoulli_tensor_cuda_kernelIlfEEvRKNS_10TensorBaseES9_NS_15PhiloxCudaStateEEUliRlSB_SB_SB_RKfSD_SD_SD_E_lSC_jLi2ELi1ELi4ELi512ELi2EEEvNS0_6detail10TensorInfoIT0_T2_EENSG_IT1_SI_EESI_T_ ; -- Begin function _ZN2at4cuda12_GLOBAL__N_121kernelPointwiseApply2IZNS_6native9templates4cuda28bernoulli_tensor_cuda_kernelIlfEEvRKNS_10TensorBaseES9_NS_15PhiloxCudaStateEEUliRlSB_SB_SB_RKfSD_SD_SD_E_lSC_jLi2ELi1ELi4ELi512ELi2EEEvNS0_6detail10TensorInfoIT0_T2_EENSG_IT1_SI_EESI_T_
	.p2align	8
	.type	_ZN2at4cuda12_GLOBAL__N_121kernelPointwiseApply2IZNS_6native9templates4cuda28bernoulli_tensor_cuda_kernelIlfEEvRKNS_10TensorBaseES9_NS_15PhiloxCudaStateEEUliRlSB_SB_SB_RKfSD_SD_SD_E_lSC_jLi2ELi1ELi4ELi512ELi2EEEvNS0_6detail10TensorInfoIT0_T2_EENSG_IT1_SI_EESI_T_,@function
_ZN2at4cuda12_GLOBAL__N_121kernelPointwiseApply2IZNS_6native9templates4cuda28bernoulli_tensor_cuda_kernelIlfEEvRKNS_10TensorBaseES9_NS_15PhiloxCudaStateEEUliRlSB_SB_SB_RKfSD_SD_SD_E_lSC_jLi2ELi1ELi4ELi512ELi2EEEvNS0_6detail10TensorInfoIT0_T2_EENSG_IT1_SI_EESI_T_: ; @_ZN2at4cuda12_GLOBAL__N_121kernelPointwiseApply2IZNS_6native9templates4cuda28bernoulli_tensor_cuda_kernelIlfEEvRKNS_10TensorBaseES9_NS_15PhiloxCudaStateEEUliRlSB_SB_SB_RKfSD_SD_SD_E_lSC_jLi2ELi1ELi4ELi512ELi2EEEvNS0_6detail10TensorInfoIT0_T2_EENSG_IT1_SI_EESI_T_
; %bb.0:
	s_load_dword s2, s[4:5], 0x1e4
	s_load_dword s33, s[4:5], 0x1b0
	s_add_u32 s0, s4, 0x1d8
	s_addc_u32 s1, s5, 0
	s_waitcnt lgkmcnt(0)
	s_and_b32 s2, s2, 0xffff
	s_mul_i32 s6, s6, s2
	v_add_u32_e32 v1, s6, v0
	v_lshlrev_b32_e32 v0, 2, v1
	v_cmp_gt_u32_e32 vcc, s33, v0
	s_and_saveexec_b64 s[6:7], vcc
	s_cbranch_execz .LBB47_51
; %bb.1:
	s_load_dwordx2 s[12:13], s[4:5], 0x0
	s_load_dword s52, s[4:5], 0xc
	s_load_dwordx2 s[14:15], s[4:5], 0x6c
	s_load_dwordx2 s[16:17], s[4:5], 0xd8
	s_load_dword s3, s[0:1], 0x0
	s_load_dwordx2 s[18:19], s[4:5], 0x1c8
	s_load_dword s6, s[4:5], 0x1d0
	s_load_dword s7, s[4:5], 0x144
	s_load_dwordx4 s[8:11], s[4:5], 0x1b8
	s_waitcnt lgkmcnt(0)
	v_cvt_f32_u32_e32 v2, s52
	s_mov_b32 s53, 0xcd9e8d57
	s_bitcmp1_b32 s6, 0
	s_cselect_b64 s[22:23], -1, 0
	v_rcp_iflag_f32_e32 v4, v2
	v_mad_u64_u32 v[2:3], s[0:1], v1, s53, 0
	s_sub_i32 s56, 0, s52
	v_mul_f32_e32 v4, 0x4f7ffffe, v4
	v_cvt_u32_f32_e32 v4, v4
	v_mov_b32_e32 v6, v3
	s_mul_i32 s3, s3, s2
	s_lshl_b32 s55, s3, 2
	v_mul_lo_u32 v3, s56, v4
	v_mul_hi_u32 v3, v4, v3
	v_add_u32_e32 v3, v4, v3
	v_add_u32_e32 v4, 2, v0
	v_mul_lo_u32 v32, v0, s7
	v_mul_lo_u32 v34, s7, v4
	v_add_u32_e32 v4, 3, v0
	s_mov_b32 s54, 0
	v_mov_b32_e32 v5, 0
	v_sub_u32_e32 v7, s33, v0
	v_add_u32_e32 v33, s7, v32
	s_mul_i32 s57, s55, s7
	v_mul_lo_u32 v35, s7, v4
	s_mov_b64 s[24:25], 0
	s_mov_b32 s58, 0xd2511f53
	s_mov_b32 s59, 0xf1bbcdc8
	;; [unrolled: 1-line block ×3, first 2 shown]
                                        ; implicit-def: $sgpr26_sgpr27
                                        ; implicit-def: $sgpr28_sgpr29
                                        ; implicit-def: $sgpr30_sgpr31
                                        ; implicit-def: $sgpr20_sgpr21
                                        ; implicit-def: $sgpr34_sgpr35
                                        ; implicit-def: $sgpr36_sgpr37
                                        ; implicit-def: $sgpr38_sgpr39
                                        ; implicit-def: $sgpr40_sgpr41
	s_branch .LBB47_3
.LBB47_2:                               ;   in Loop: Header=BB47_3 Depth=1
	s_or_b64 exec, exec, s[2:3]
	s_and_b64 s[0:1], exec, s[0:1]
	s_or_b64 s[24:25], s[0:1], s[24:25]
	s_andn2_b64 s[0:1], s[20:21], exec
	s_and_b64 s[2:3], s[40:41], exec
	s_or_b64 s[20:21], s[0:1], s[2:3]
	s_andn2_b64 s[0:1], s[30:31], exec
	s_and_b64 s[2:3], s[38:39], exec
	;; [unrolled: 3-line block ×4, first 2 shown]
	s_or_b64 s[26:27], s[0:1], s[2:3]
	s_andn2_b64 exec, exec, s[24:25]
	s_cbranch_execz .LBB47_47
.LBB47_3:                               ; =>This Inner Loop Header: Depth=1
	v_pk_mov_b32 v[10:11], 0, 0
	v_cmp_lt_i32_e32 vcc, 0, v7
	v_pk_mov_b32 v[8:9], v[10:11], v[10:11] op_sel:[0,1]
	s_and_saveexec_b64 s[2:3], vcc
	s_cbranch_execz .LBB47_5
; %bb.4:                                ;   in Loop: Header=BB47_3 Depth=1
	s_waitcnt vmcnt(3)
	v_mul_hi_u32 v4, v3, v0
	v_not_b32_e32 v12, v4
	v_mad_u64_u32 v[8:9], s[0:1], s56, v4, v[0:1]
	v_add_u32_e32 v9, 1, v4
	v_cmp_le_u32_e64 s[0:1], s52, v8
	v_mad_u64_u32 v[12:13], s[4:5], s52, v12, v[0:1]
	v_cndmask_b32_e64 v4, v4, v9, s[0:1]
	v_cndmask_b32_e64 v8, v8, v12, s[0:1]
	v_add_u32_e32 v9, 1, v4
	v_cmp_le_u32_e64 s[0:1], s52, v8
	v_cndmask_b32_e64 v12, v4, v9, s[0:1]
	v_mad_u64_u32 v[8:9], s[0:1], s56, v12, v[0:1]
	v_mul_lo_u32 v4, v8, s15
	v_mad_u64_u32 v[8:9], s[0:1], v12, s14, v[4:5]
	v_mov_b32_e32 v9, v5
.LBB47_5:                               ;   in Loop: Header=BB47_3 Depth=1
	s_or_b64 exec, exec, s[2:3]
	v_cmp_lt_i32_e64 s[0:1], 1, v7
	s_and_saveexec_b64 s[4:5], s[0:1]
	s_cbranch_execz .LBB47_7
; %bb.6:                                ;   in Loop: Header=BB47_3 Depth=1
	s_waitcnt vmcnt(3)
	v_add_u32_e32 v4, 1, v0
	v_mul_hi_u32 v10, v4, v3
	v_mul_lo_u32 v11, v10, s52
	v_sub_u32_e32 v11, v4, v11
	v_add_u32_e32 v12, 1, v10
	v_cmp_le_u32_e64 s[2:3], s52, v11
	v_cndmask_b32_e64 v10, v10, v12, s[2:3]
	v_subrev_u32_e32 v12, s52, v11
	v_cndmask_b32_e64 v11, v11, v12, s[2:3]
	v_add_u32_e32 v12, 1, v10
	v_cmp_le_u32_e64 s[2:3], s52, v11
	v_cndmask_b32_e64 v10, v10, v12, s[2:3]
	v_mul_lo_u32 v11, v10, s52
	v_sub_u32_e32 v4, v4, v11
	v_mul_lo_u32 v4, v4, s15
	v_mad_u64_u32 v[10:11], s[2:3], v10, s14, v[4:5]
	v_mov_b32_e32 v11, v5
.LBB47_7:                               ;   in Loop: Header=BB47_3 Depth=1
	s_or_b64 exec, exec, s[4:5]
	v_pk_mov_b32 v[16:17], 0, 0
	v_cmp_lt_i32_e64 s[2:3], 2, v7
	v_pk_mov_b32 v[14:15], v[16:17], v[16:17] op_sel:[0,1]
	s_and_saveexec_b64 s[6:7], s[2:3]
	s_cbranch_execz .LBB47_9
; %bb.8:                                ;   in Loop: Header=BB47_3 Depth=1
	s_waitcnt vmcnt(3)
	v_add_u32_e32 v4, 2, v0
	v_mul_hi_u32 v12, v4, v3
	v_mul_lo_u32 v13, v12, s52
	v_sub_u32_e32 v13, v4, v13
	v_add_u32_e32 v14, 1, v12
	v_cmp_le_u32_e64 s[4:5], s52, v13
	v_cndmask_b32_e64 v12, v12, v14, s[4:5]
	v_subrev_u32_e32 v14, s52, v13
	v_cndmask_b32_e64 v13, v13, v14, s[4:5]
	v_add_u32_e32 v14, 1, v12
	v_cmp_le_u32_e64 s[4:5], s52, v13
	v_cndmask_b32_e64 v12, v12, v14, s[4:5]
	v_mul_lo_u32 v13, v12, s52
	v_sub_u32_e32 v4, v4, v13
	v_mul_lo_u32 v4, v4, s15
	v_mad_u64_u32 v[14:15], s[4:5], v12, s14, v[4:5]
	v_mov_b32_e32 v15, v5
.LBB47_9:                               ;   in Loop: Header=BB47_3 Depth=1
	s_or_b64 exec, exec, s[6:7]
	v_cmp_lt_i32_e64 s[4:5], 3, v7
	s_and_saveexec_b64 s[42:43], s[4:5]
	s_cbranch_execz .LBB47_11
; %bb.10:                               ;   in Loop: Header=BB47_3 Depth=1
	s_waitcnt vmcnt(3)
	v_add_u32_e32 v4, 3, v0
	v_mul_hi_u32 v12, v4, v3
	v_mul_lo_u32 v13, v12, s52
	v_sub_u32_e32 v13, v4, v13
	v_add_u32_e32 v16, 1, v12
	v_cmp_le_u32_e64 s[6:7], s52, v13
	v_cndmask_b32_e64 v12, v12, v16, s[6:7]
	v_subrev_u32_e32 v16, s52, v13
	v_cndmask_b32_e64 v13, v13, v16, s[6:7]
	v_add_u32_e32 v16, 1, v12
	v_cmp_le_u32_e64 s[6:7], s52, v13
	v_cndmask_b32_e64 v12, v12, v16, s[6:7]
	v_mul_lo_u32 v13, v12, s52
	v_sub_u32_e32 v4, v4, v13
	v_mul_lo_u32 v4, v4, s15
	v_mad_u64_u32 v[16:17], s[6:7], v12, s14, v[4:5]
	v_mov_b32_e32 v17, v5
.LBB47_11:                              ;   in Loop: Header=BB47_3 Depth=1
	s_or_b64 exec, exec, s[42:43]
	s_waitcnt vmcnt(3)
	v_add_u32_e32 v4, s60, v32
	v_cndmask_b32_e32 v4, 0, v4, vcc
	v_add_u32_e32 v18, s60, v33
	v_lshlrev_b64 v[12:13], 2, v[4:5]
	v_mov_b32_e32 v24, s17
	v_add_co_u32_e32 v12, vcc, s16, v12
	v_cndmask_b32_e64 v4, 0, v18, s[0:1]
	v_add_u32_e32 v20, s60, v34
	v_addc_co_u32_e32 v13, vcc, v24, v13, vcc
	v_lshlrev_b64 v[18:19], 2, v[4:5]
	v_add_co_u32_e32 v18, vcc, s16, v18
	v_cndmask_b32_e64 v4, 0, v20, s[2:3]
	v_add_u32_e32 v22, s60, v35
	v_addc_co_u32_e32 v19, vcc, v24, v19, vcc
	v_lshlrev_b64 v[20:21], 2, v[4:5]
	v_add_co_u32_e32 v20, vcc, s16, v20
	v_cndmask_b32_e64 v4, 0, v22, s[4:5]
	v_addc_co_u32_e32 v21, vcc, v24, v21, vcc
	v_lshlrev_b64 v[22:23], 2, v[4:5]
	v_add_co_u32_e32 v22, vcc, s16, v22
	v_addc_co_u32_e32 v23, vcc, v24, v23, vcc
	global_load_dword v4, v[12:13], off
	global_load_dword v36, v[18:19], off
	;; [unrolled: 1-line block ×4, first 2 shown]
	s_andn2_b64 vcc, exec, s[22:23]
	v_pk_mov_b32 v[12:13], s[10:11], s[10:11] op_sel:[0,1]
	v_pk_mov_b32 v[18:19], s[8:9], s[8:9] op_sel:[0,1]
	s_cbranch_vccnz .LBB47_13
; %bb.12:                               ;   in Loop: Header=BB47_3 Depth=1
	v_pk_mov_b32 v[12:13], s[10:11], s[10:11] op_sel:[0,1]
	flat_load_dwordx2 v[12:13], v[12:13]
	v_pk_mov_b32 v[18:19], s[8:9], s[8:9] op_sel:[0,1]
	flat_load_dwordx2 v[18:19], v[18:19]
	v_mov_b32_e32 v20, s19
	s_waitcnt vmcnt(0) lgkmcnt(0)
	v_add_co_u32_e32 v12, vcc, s18, v12
	v_addc_co_u32_e32 v13, vcc, v13, v20, vcc
.LBB47_13:                              ;   in Loop: Header=BB47_3 Depth=1
	v_alignbit_b32 v28, v13, v12, 2
	v_lshrrev_b32_e32 v29, 2, v13
	v_xor_b32_e32 v20, v6, v18
	v_and_b32_e32 v39, 3, v12
	v_mad_u64_u32 v[12:13], s[0:1], v28, s58, 0
	v_xor_b32_e32 v20, v20, v29
	v_xor_b32_e32 v13, v13, v19
	v_add_u32_e32 v44, 0xbb67ae85, v19
	v_mad_u64_u32 v[20:21], s[0:1], v20, s58, 0
	v_mad_u64_u32 v[22:23], s[0:1], v13, s53, 0
	v_xor_b32_e32 v21, v44, v21
	v_add_u32_e32 v43, 0x9e3779b9, v18
	v_xor_b32_e32 v13, v2, v23
	v_xor_b32_e32 v21, v21, v12
	v_xor_b32_e32 v13, v13, v43
	v_add_u32_e32 v45, 0x3c6ef372, v18
	v_mad_u64_u32 v[24:25], s[0:1], v21, s53, 0
	v_add_u32_e32 v46, 0x76cf5d0a, v19
	v_mad_u64_u32 v[12:13], s[0:1], v13, s58, 0
	v_xor_b32_e32 v21, v45, v25
	v_xor_b32_e32 v21, v21, v22
	v_xor_b32_e32 v13, v46, v13
	v_xor_b32_e32 v13, v13, v20
	v_add_u32_e32 v48, 0x32370b8f, v19
	v_mad_u64_u32 v[20:21], s[0:1], v21, s58, 0
	v_add_u32_e32 v47, 0xdaa66d2b, v18
	v_mad_u64_u32 v[22:23], s[0:1], v13, s53, 0
	v_xor_b32_e32 v21, v48, v21
	;; [unrolled: 8-line block ×5, first 2 shown]
	v_xor_b32_e32 v21, v21, v22
	v_xor_b32_e32 v13, v54, v13
	;; [unrolled: 1-line block ×3, first 2 shown]
	v_add_u32_e32 v56, 0x1fd5c5a3, v19
	v_mad_u64_u32 v[20:21], s[0:1], v21, s58, 0
	v_xor_b32_e32 v21, v56, v21
	v_xor_b32_e32 v12, v21, v12
	v_add_u32_e32 v55, 0x5384540f, v18
	v_mad_u64_u32 v[26:27], s[0:1], v13, s53, 0
	v_add_co_u32_e32 v41, vcc, s59, v18
	v_mad_u64_u32 v[22:23], s[0:1], v12, s53, 0
	v_xor_b32_e32 v13, v55, v27
	v_xor_b32_e32 v12, v41, v23
	;; [unrolled: 1-line block ×4, first 2 shown]
	v_mad_u64_u32 v[24:25], s[0:1], v13, s58, 0
	v_mad_u64_u32 v[12:13], s[0:1], v12, s58, 0
	v_add_u32_e32 v42, 0x96a522ad, v19
	v_xor_b32_e32 v13, v13, v24
	v_xor_b32_e32 v40, v42, v13
	v_add_co_u32_e32 v13, vcc, 1, v28
	v_cndmask_b32_e64 v24, 0, 1, vcc
	v_addc_co_u32_e32 v30, vcc, 0, v29, vcc
	v_cmp_eq_u32_e32 vcc, 0, v30
	v_cndmask_b32_e32 v24, 0, v24, vcc
	v_add_u32_e32 v28, v24, v1
	v_cmp_eq_u32_e32 vcc, 0, v28
	v_mad_u64_u32 v[26:27], s[0:1], v13, s58, 0
	v_mad_u64_u32 v[28:29], s[0:1], v28, s53, 0
	v_add_u32_e32 v23, 0x8ff34781, v18
	v_cndmask_b32_e32 v24, 0, v24, vcc
	v_xor_b32_e32 v13, v29, v18
	v_xor_b32_e32 v18, v27, v19
	;; [unrolled: 1-line block ×4, first 2 shown]
	v_mad_u64_u32 v[30:31], s[0:1], v24, s53, 0
	v_add_u32_e32 v21, 0xdb3d7428, v19
	v_mad_u64_u32 v[18:19], s[0:1], v13, s58, 0
	v_xor_b32_e32 v13, v43, v31
	v_xor_b32_e32 v13, v13, v28
	v_xor_b32_e32 v19, v44, v19
	v_xor_b32_e32 v19, v19, v26
	v_mad_u64_u32 v[26:27], s[0:1], v13, s58, 0
	v_mad_u64_u32 v[28:29], s[0:1], v19, s53, 0
	v_xor_b32_e32 v19, v46, v27
	v_xor_b32_e32 v13, v45, v29
	v_xor_b32_e32 v24, v19, v18
	v_xor_b32_e32 v13, v13, v30
	v_mad_u64_u32 v[30:31], s[0:1], v24, s53, 0
	;; [unrolled: 6-line block ×7, first 2 shown]
	v_xor_b32_e32 v13, v21, v29
	v_xor_b32_e32 v13, v13, v18
	v_mad_u64_u32 v[30:31], s[0:1], v19, s53, 0
	v_mad_u64_u32 v[18:19], s[0:1], v13, s53, 0
	v_xor_b32_e32 v13, v19, v30
	v_xor_b32_e32 v13, v23, v13
	v_cmp_lt_i32_e32 vcc, 1, v39
                                        ; implicit-def: $vgpr27
	s_and_saveexec_b64 s[0:1], vcc
	s_xor_b64 s[0:1], exec, s[0:1]
	s_cbranch_execz .LBB47_19
; %bb.14:                               ;   in Loop: Header=BB47_3 Depth=1
	v_cmp_lt_i32_e32 vcc, 2, v39
                                        ; implicit-def: $vgpr27
	s_and_saveexec_b64 s[2:3], vcc
	s_xor_b64 s[2:3], exec, s[2:3]
; %bb.15:                               ;   in Loop: Header=BB47_3 Depth=1
	v_xor_b32_e32 v19, v41, v31
	v_xor_b32_e32 v19, v19, v26
	v_mul_hi_u32 v19, v19, s58
	v_xor_b32_e32 v19, v19, v28
	v_xor_b32_e32 v27, v42, v19
                                        ; implicit-def: $vgpr40
; %bb.16:                               ;   in Loop: Header=BB47_3 Depth=1
	s_andn2_saveexec_b64 s[2:3], s[2:3]
; %bb.17:                               ;   in Loop: Header=BB47_3 Depth=1
	v_mov_b32_e32 v27, v18
	v_mov_b32_e32 v18, v13
	;; [unrolled: 1-line block ×4, first 2 shown]
; %bb.18:                               ;   in Loop: Header=BB47_3 Depth=1
	s_or_b64 exec, exec, s[2:3]
                                        ; implicit-def: $vgpr20_vgpr21
                                        ; implicit-def: $vgpr22_vgpr23
                                        ; implicit-def: $vgpr39
                                        ; implicit-def: $vgpr40
                                        ; implicit-def: $vgpr24_vgpr25
                                        ; implicit-def: $vgpr21
                                        ; implicit-def: $vgpr23
.LBB47_19:                              ;   in Loop: Header=BB47_3 Depth=1
	s_andn2_saveexec_b64 s[0:1], s[0:1]
	s_cbranch_execz .LBB47_23
; %bb.20:                               ;   in Loop: Header=BB47_3 Depth=1
	v_xor_b32_e32 v18, v21, v25
	v_xor_b32_e32 v18, v18, v20
	v_mad_u64_u32 v[20:21], s[2:3], v18, s53, 0
	v_xor_b32_e32 v18, v21, v22
	v_xor_b32_e32 v19, v23, v18
	v_cmp_eq_u32_e32 vcc, 1, v39
	v_mov_b32_e32 v27, v12
	v_mov_b32_e32 v18, v40
	v_mov_b32_e32 v21, v20
	s_and_saveexec_b64 s[2:3], vcc
; %bb.21:                               ;   in Loop: Header=BB47_3 Depth=1
	v_mov_b32_e32 v27, v13
	v_mov_b32_e32 v18, v12
	;; [unrolled: 1-line block ×4, first 2 shown]
; %bb.22:                               ;   in Loop: Header=BB47_3 Depth=1
	s_or_b64 exec, exec, s[2:3]
	v_mov_b32_e32 v12, v19
	v_mov_b32_e32 v13, v21
.LBB47_23:                              ;   in Loop: Header=BB47_3 Depth=1
	s_or_b64 exec, exec, s[0:1]
	v_min_i32_e32 v19, 4, v7
	v_cmp_lt_i32_e32 vcc, 2, v19
	s_mov_b64 s[2:3], 0
	s_mov_b64 s[48:49], 0
                                        ; implicit-def: $sgpr4_sgpr5
                                        ; implicit-def: $sgpr6_sgpr7
                                        ; implicit-def: $sgpr42_sgpr43
	s_and_saveexec_b64 s[0:1], vcc
	s_xor_b64 s[44:45], exec, s[0:1]
	s_cbranch_execz .LBB47_33
; %bb.24:                               ;   in Loop: Header=BB47_3 Depth=1
	v_cmp_lt_i32_e32 vcc, 3, v19
	s_mov_b64 s[42:43], -1
                                        ; implicit-def: $sgpr4_sgpr5
                                        ; implicit-def: $sgpr46_sgpr47
	s_and_saveexec_b64 s[6:7], vcc
	s_cbranch_execz .LBB47_28
; %bb.25:                               ;   in Loop: Header=BB47_3 Depth=1
	s_waitcnt vmcnt(0)
	v_cmp_le_f32_e32 vcc, 0, v38
	v_cmp_ge_f32_e64 s[0:1], 1.0, v38
	s_and_b64 s[46:47], vcc, s[0:1]
	s_mov_b64 s[4:5], 0
	s_mov_b64 s[0:1], 0
	s_and_saveexec_b64 s[42:43], s[46:47]
	s_cbranch_execz .LBB47_27
; %bb.26:                               ;   in Loop: Header=BB47_3 Depth=1
	v_cvt_f32_u32_e32 v20, v27
	v_mov_b32_e32 v21, 0x2f800000
	v_lshlrev_b64 v[16:17], 3, v[16:17]
	v_add_co_u32_e32 v16, vcc, s12, v16
	v_fmac_f32_e32 v21, 0x2f800000, v20
	v_mov_b32_e32 v20, s13
	v_addc_co_u32_e32 v17, vcc, v20, v17, vcc
	v_cmp_le_f32_e32 vcc, v21, v38
	s_mov_b64 s[0:1], exec
	v_cndmask_b32_e64 v20, 0, 1, vcc
	v_mov_b32_e32 v21, s54
	global_store_dwordx2 v[16:17], v[20:21], off
.LBB47_27:                              ;   in Loop: Header=BB47_3 Depth=1
	s_or_b64 exec, exec, s[42:43]
	s_mov_b64 s[46:47], -1
	s_orn2_b64 s[42:43], s[0:1], exec
.LBB47_28:                              ;   in Loop: Header=BB47_3 Depth=1
	s_or_b64 exec, exec, s[6:7]
	s_mov_b64 s[0:1], 0
	s_mov_b64 s[48:49], s[4:5]
	s_and_saveexec_b64 s[6:7], s[42:43]
	s_cbranch_execz .LBB47_32
; %bb.29:                               ;   in Loop: Header=BB47_3 Depth=1
	s_waitcnt vmcnt(1)
	v_cmp_le_f32_e32 vcc, 0, v37
	v_cmp_ge_f32_e64 s[0:1], 1.0, v37
	s_and_b64 s[42:43], vcc, s[0:1]
	s_mov_b64 s[0:1], 0
	s_and_saveexec_b64 s[48:49], s[42:43]
	s_xor_b64 s[42:43], exec, s[48:49]
	s_cbranch_execz .LBB47_31
; %bb.30:                               ;   in Loop: Header=BB47_3 Depth=1
	v_cvt_f32_u32_e32 v16, v18
	v_mov_b32_e32 v17, 0x2f800000
	v_lshlrev_b64 v[14:15], 3, v[14:15]
	v_add_co_u32_e32 v14, vcc, s12, v14
	v_fmac_f32_e32 v17, 0x2f800000, v16
	v_mov_b32_e32 v16, s13
	v_addc_co_u32_e32 v15, vcc, v16, v15, vcc
	v_cmp_le_f32_e32 vcc, v17, v37
	v_cndmask_b32_e64 v16, 0, 1, vcc
	v_mov_b32_e32 v17, s54
	s_mov_b64 s[0:1], exec
	global_store_dwordx2 v[14:15], v[16:17], off
.LBB47_31:                              ;   in Loop: Header=BB47_3 Depth=1
	s_or_b64 exec, exec, s[42:43]
	s_andn2_b64 s[48:49], s[4:5], exec
	s_or_b64 s[4:5], s[4:5], exec
	s_andn2_b64 s[46:47], s[46:47], exec
	s_and_b64 s[0:1], s[0:1], exec
.LBB47_32:                              ;   in Loop: Header=BB47_3 Depth=1
	s_or_b64 exec, exec, s[6:7]
	s_and_b64 s[42:43], s[48:49], exec
	s_and_b64 s[6:7], s[4:5], exec
	s_and_b64 s[4:5], s[46:47], exec
	s_and_b64 s[48:49], s[0:1], exec
.LBB47_33:                              ;   in Loop: Header=BB47_3 Depth=1
	s_andn2_saveexec_b64 s[0:1], s[44:45]
; %bb.34:                               ;   in Loop: Header=BB47_3 Depth=1
	v_cmp_lt_i32_e32 vcc, 1, v19
	s_andn2_b64 s[44:45], s[48:49], exec
	s_and_b64 s[46:47], vcc, exec
	s_mov_b64 s[2:3], exec
	s_andn2_b64 s[42:43], s[42:43], exec
	s_andn2_b64 s[6:7], s[6:7], exec
	;; [unrolled: 1-line block ×3, first 2 shown]
	s_or_b64 s[48:49], s[44:45], s[46:47]
; %bb.35:                               ;   in Loop: Header=BB47_3 Depth=1
	s_or_b64 exec, exec, s[0:1]
	s_mov_b64 s[44:45], 0
	s_mov_b64 s[0:1], 0
	;; [unrolled: 1-line block ×3, first 2 shown]
	s_and_saveexec_b64 s[50:51], s[48:49]
	s_cbranch_execnz .LBB47_38
; %bb.36:                               ;   in Loop: Header=BB47_3 Depth=1
	s_or_b64 exec, exec, s[50:51]
	s_and_saveexec_b64 s[48:49], s[2:3]
	s_cbranch_execnz .LBB47_41
.LBB47_37:                              ;   in Loop: Header=BB47_3 Depth=1
	s_or_b64 exec, exec, s[48:49]
	s_and_saveexec_b64 s[2:3], s[0:1]
	s_cbranch_execnz .LBB47_42
	s_branch .LBB47_45
.LBB47_38:                              ;   in Loop: Header=BB47_3 Depth=1
	s_waitcnt vmcnt(2)
	v_cmp_le_f32_e32 vcc, 0, v36
	v_cmp_ge_f32_e64 s[0:1], 1.0, v36
	s_and_b64 s[46:47], vcc, s[0:1]
	s_mov_b64 s[0:1], 0
	s_and_saveexec_b64 s[48:49], s[46:47]
	s_xor_b64 s[46:47], exec, s[48:49]
	s_cbranch_execz .LBB47_40
; %bb.39:                               ;   in Loop: Header=BB47_3 Depth=1
	v_cvt_f32_u32_e32 v13, v13
	v_mov_b32_e32 v14, 0x2f800000
	v_lshlrev_b64 v[10:11], 3, v[10:11]
	v_add_co_u32_e32 v10, vcc, s12, v10
	v_fmac_f32_e32 v14, 0x2f800000, v13
	v_mov_b32_e32 v13, s13
	v_addc_co_u32_e32 v11, vcc, v13, v11, vcc
	v_cmp_le_f32_e32 vcc, v14, v36
	v_cndmask_b32_e64 v14, 0, 1, vcc
	v_mov_b32_e32 v15, s54
	s_mov_b64 s[0:1], exec
	global_store_dwordx2 v[10:11], v[14:15], off
.LBB47_40:                              ;   in Loop: Header=BB47_3 Depth=1
	s_or_b64 exec, exec, s[46:47]
	s_andn2_b64 s[46:47], s[42:43], exec
	s_or_b64 s[42:43], s[42:43], exec
	s_andn2_b64 s[6:7], s[6:7], exec
	s_andn2_b64 s[4:5], s[4:5], exec
	s_and_b64 s[0:1], s[0:1], exec
	s_andn2_b64 s[2:3], s[2:3], exec
	s_or_b64 exec, exec, s[50:51]
	s_and_saveexec_b64 s[48:49], s[2:3]
	s_cbranch_execz .LBB47_37
.LBB47_41:                              ;   in Loop: Header=BB47_3 Depth=1
	v_cmp_eq_u32_e32 vcc, 1, v19
	s_andn2_b64 s[0:1], s[0:1], exec
	s_and_b64 s[2:3], vcc, exec
	s_mov_b64 s[44:45], exec
	s_andn2_b64 s[46:47], s[46:47], exec
	s_andn2_b64 s[42:43], s[42:43], exec
	;; [unrolled: 1-line block ×4, first 2 shown]
	s_or_b64 s[0:1], s[0:1], s[2:3]
	s_or_b64 exec, exec, s[48:49]
	s_and_saveexec_b64 s[2:3], s[0:1]
	s_cbranch_execz .LBB47_45
.LBB47_42:                              ;   in Loop: Header=BB47_3 Depth=1
	s_waitcnt vmcnt(3)
	v_cmp_le_f32_e32 vcc, 0, v4
	v_cmp_ge_f32_e64 s[0:1], 1.0, v4
	s_and_b64 s[50:51], vcc, s[0:1]
	s_mov_b64 s[0:1], 0
	s_and_saveexec_b64 s[48:49], s[50:51]
	s_cbranch_execz .LBB47_44
; %bb.43:                               ;   in Loop: Header=BB47_3 Depth=1
	v_cvt_f32_u32_e32 v10, v12
	v_mov_b32_e32 v11, 0x2f800000
	v_lshlrev_b64 v[8:9], 3, v[8:9]
	v_add_co_u32_e32 v8, vcc, s12, v8
	v_fmac_f32_e32 v11, 0x2f800000, v10
	v_mov_b32_e32 v10, s13
	v_addc_co_u32_e32 v9, vcc, v10, v9, vcc
	v_cmp_le_f32_e32 vcc, v11, v4
	s_mov_b64 s[0:1], exec
	v_cndmask_b32_e64 v10, 0, 1, vcc
	v_mov_b32_e32 v11, s54
	global_store_dwordx2 v[8:9], v[10:11], off
.LBB47_44:                              ;   in Loop: Header=BB47_3 Depth=1
	s_or_b64 exec, exec, s[48:49]
	s_andn2_b64 s[44:45], s[44:45], exec
	s_and_b64 s[0:1], s[0:1], exec
	s_or_b64 s[46:47], s[46:47], exec
	s_andn2_b64 s[42:43], s[42:43], exec
	s_andn2_b64 s[6:7], s[6:7], exec
	s_andn2_b64 s[4:5], s[4:5], exec
	s_or_b64 s[44:45], s[44:45], s[0:1]
.LBB47_45:                              ;   in Loop: Header=BB47_3 Depth=1
	s_or_b64 exec, exec, s[2:3]
	s_andn2_b64 s[2:3], s[40:41], exec
	s_and_b64 s[40:41], s[46:47], exec
	s_or_b64 s[40:41], s[2:3], s[40:41]
	s_andn2_b64 s[2:3], s[38:39], exec
	s_and_b64 s[38:39], s[42:43], exec
	s_or_b64 s[38:39], s[2:3], s[38:39]
	;; [unrolled: 3-line block ×3, first 2 shown]
	s_andn2_b64 s[2:3], s[34:35], exec
	s_and_b64 s[4:5], s[4:5], exec
	s_mov_b64 s[0:1], -1
	s_or_b64 s[34:35], s[2:3], s[4:5]
	s_and_saveexec_b64 s[2:3], s[44:45]
	s_cbranch_execz .LBB47_2
; %bb.46:                               ;   in Loop: Header=BB47_3 Depth=1
	v_add_u32_e32 v0, s55, v0
	v_cmp_le_u32_e32 vcc, s33, v0
	v_subrev_u32_e32 v7, s55, v7
	s_add_i32 s60, s60, s57
	s_andn2_b64 s[40:41], s[40:41], exec
	s_andn2_b64 s[38:39], s[38:39], exec
	s_andn2_b64 s[36:37], s[36:37], exec
	s_andn2_b64 s[34:35], s[34:35], exec
	s_orn2_b64 s[0:1], vcc, exec
	s_branch .LBB47_2
.LBB47_47:
	s_or_b64 exec, exec, s[24:25]
	s_xor_b64 s[6:7], s[30:31], -1
	s_xor_b64 s[8:9], s[28:29], -1
	;; [unrolled: 1-line block ×3, first 2 shown]
	s_mov_b64 s[2:3], 0
	s_and_saveexec_b64 s[4:5], s[0:1]
	s_xor_b64 s[0:1], exec, s[4:5]
	s_cbranch_execnz .LBB47_52
; %bb.48:
	s_andn2_saveexec_b64 s[0:1], s[0:1]
	s_cbranch_execnz .LBB47_60
.LBB47_49:
	s_or_b64 exec, exec, s[0:1]
	s_and_b64 exec, exec, s[2:3]
.LBB47_50:
	; divergent unreachable
.LBB47_51:
	s_endpgm
.LBB47_52:
	s_mov_b64 s[4:5], 0
	s_and_saveexec_b64 s[2:3], s[8:9]
	s_xor_b64 s[2:3], exec, s[2:3]
	s_cbranch_execz .LBB47_58
; %bb.53:
	s_and_saveexec_b64 s[8:9], s[6:7]
	s_xor_b64 s[6:7], exec, s[8:9]
	s_cbranch_execz .LBB47_56
; %bb.54:
	s_and_saveexec_b64 s[8:9], s[20:21]
	s_xor_b64 s[8:9], exec, s[8:9]
	s_cbranch_execnz .LBB47_63
.LBB47_55:
	s_or_b64 exec, exec, s[8:9]
	s_and_b64 s[4:5], s[4:5], exec
.LBB47_56:
	s_andn2_saveexec_b64 s[6:7], s[6:7]
	s_cbranch_execnz .LBB47_62
.LBB47_57:
	s_or_b64 exec, exec, s[6:7]
	s_and_b64 s[4:5], s[4:5], exec
.LBB47_58:
	s_andn2_saveexec_b64 s[2:3], s[2:3]
	s_cbranch_execnz .LBB47_61
.LBB47_59:
	s_or_b64 exec, exec, s[2:3]
	s_and_b64 s[2:3], s[4:5], exec
	s_andn2_saveexec_b64 s[0:1], s[0:1]
	s_cbranch_execz .LBB47_49
.LBB47_60:
	s_or_b64 s[2:3], s[2:3], exec
	s_trap 2
	s_or_b64 exec, exec, s[0:1]
	s_and_b64 exec, exec, s[2:3]
	s_cbranch_execnz .LBB47_50
	s_branch .LBB47_51
.LBB47_61:
	s_or_b64 s[4:5], s[4:5], exec
	s_trap 2
	s_branch .LBB47_59
.LBB47_62:
	s_trap 2
	s_or_b64 s[4:5], s[4:5], exec
	s_branch .LBB47_57
.LBB47_63:
	s_mov_b64 s[4:5], exec
	s_trap 2
	s_branch .LBB47_55
	.section	.rodata,"a",@progbits
	.p2align	6, 0x0
	.amdhsa_kernel _ZN2at4cuda12_GLOBAL__N_121kernelPointwiseApply2IZNS_6native9templates4cuda28bernoulli_tensor_cuda_kernelIlfEEvRKNS_10TensorBaseES9_NS_15PhiloxCudaStateEEUliRlSB_SB_SB_RKfSD_SD_SD_E_lSC_jLi2ELi1ELi4ELi512ELi2EEEvNS0_6detail10TensorInfoIT0_T2_EENSG_IT1_SI_EESI_T_
		.amdhsa_group_segment_fixed_size 0
		.amdhsa_private_segment_fixed_size 0
		.amdhsa_kernarg_size 728
		.amdhsa_user_sgpr_count 6
		.amdhsa_user_sgpr_private_segment_buffer 1
		.amdhsa_user_sgpr_dispatch_ptr 0
		.amdhsa_user_sgpr_queue_ptr 0
		.amdhsa_user_sgpr_kernarg_segment_ptr 1
		.amdhsa_user_sgpr_dispatch_id 0
		.amdhsa_user_sgpr_flat_scratch_init 0
		.amdhsa_user_sgpr_kernarg_preload_length 0
		.amdhsa_user_sgpr_kernarg_preload_offset 0
		.amdhsa_user_sgpr_private_segment_size 0
		.amdhsa_uses_dynamic_stack 0
		.amdhsa_system_sgpr_private_segment_wavefront_offset 0
		.amdhsa_system_sgpr_workgroup_id_x 1
		.amdhsa_system_sgpr_workgroup_id_y 0
		.amdhsa_system_sgpr_workgroup_id_z 0
		.amdhsa_system_sgpr_workgroup_info 0
		.amdhsa_system_vgpr_workitem_id 0
		.amdhsa_next_free_vgpr 57
		.amdhsa_next_free_sgpr 61
		.amdhsa_accum_offset 60
		.amdhsa_reserve_vcc 1
		.amdhsa_reserve_flat_scratch 0
		.amdhsa_float_round_mode_32 0
		.amdhsa_float_round_mode_16_64 0
		.amdhsa_float_denorm_mode_32 3
		.amdhsa_float_denorm_mode_16_64 3
		.amdhsa_dx10_clamp 1
		.amdhsa_ieee_mode 1
		.amdhsa_fp16_overflow 0
		.amdhsa_tg_split 0
		.amdhsa_exception_fp_ieee_invalid_op 0
		.amdhsa_exception_fp_denorm_src 0
		.amdhsa_exception_fp_ieee_div_zero 0
		.amdhsa_exception_fp_ieee_overflow 0
		.amdhsa_exception_fp_ieee_underflow 0
		.amdhsa_exception_fp_ieee_inexact 0
		.amdhsa_exception_int_div_zero 0
	.end_amdhsa_kernel
	.section	.text._ZN2at4cuda12_GLOBAL__N_121kernelPointwiseApply2IZNS_6native9templates4cuda28bernoulli_tensor_cuda_kernelIlfEEvRKNS_10TensorBaseES9_NS_15PhiloxCudaStateEEUliRlSB_SB_SB_RKfSD_SD_SD_E_lSC_jLi2ELi1ELi4ELi512ELi2EEEvNS0_6detail10TensorInfoIT0_T2_EENSG_IT1_SI_EESI_T_,"axG",@progbits,_ZN2at4cuda12_GLOBAL__N_121kernelPointwiseApply2IZNS_6native9templates4cuda28bernoulli_tensor_cuda_kernelIlfEEvRKNS_10TensorBaseES9_NS_15PhiloxCudaStateEEUliRlSB_SB_SB_RKfSD_SD_SD_E_lSC_jLi2ELi1ELi4ELi512ELi2EEEvNS0_6detail10TensorInfoIT0_T2_EENSG_IT1_SI_EESI_T_,comdat
.Lfunc_end47:
	.size	_ZN2at4cuda12_GLOBAL__N_121kernelPointwiseApply2IZNS_6native9templates4cuda28bernoulli_tensor_cuda_kernelIlfEEvRKNS_10TensorBaseES9_NS_15PhiloxCudaStateEEUliRlSB_SB_SB_RKfSD_SD_SD_E_lSC_jLi2ELi1ELi4ELi512ELi2EEEvNS0_6detail10TensorInfoIT0_T2_EENSG_IT1_SI_EESI_T_, .Lfunc_end47-_ZN2at4cuda12_GLOBAL__N_121kernelPointwiseApply2IZNS_6native9templates4cuda28bernoulli_tensor_cuda_kernelIlfEEvRKNS_10TensorBaseES9_NS_15PhiloxCudaStateEEUliRlSB_SB_SB_RKfSD_SD_SD_E_lSC_jLi2ELi1ELi4ELi512ELi2EEEvNS0_6detail10TensorInfoIT0_T2_EENSG_IT1_SI_EESI_T_
                                        ; -- End function
	.section	.AMDGPU.csdata,"",@progbits
; Kernel info:
; codeLenInByte = 3112
; NumSgprs: 65
; NumVgprs: 57
; NumAgprs: 0
; TotalNumVgprs: 57
; ScratchSize: 0
; MemoryBound: 0
; FloatMode: 240
; IeeeMode: 1
; LDSByteSize: 0 bytes/workgroup (compile time only)
; SGPRBlocks: 8
; VGPRBlocks: 7
; NumSGPRsForWavesPerEU: 65
; NumVGPRsForWavesPerEU: 57
; AccumOffset: 60
; Occupancy: 8
; WaveLimiterHint : 1
; COMPUTE_PGM_RSRC2:SCRATCH_EN: 0
; COMPUTE_PGM_RSRC2:USER_SGPR: 6
; COMPUTE_PGM_RSRC2:TRAP_HANDLER: 0
; COMPUTE_PGM_RSRC2:TGID_X_EN: 1
; COMPUTE_PGM_RSRC2:TGID_Y_EN: 0
; COMPUTE_PGM_RSRC2:TGID_Z_EN: 0
; COMPUTE_PGM_RSRC2:TIDIG_COMP_CNT: 0
; COMPUTE_PGM_RSRC3_GFX90A:ACCUM_OFFSET: 14
; COMPUTE_PGM_RSRC3_GFX90A:TG_SPLIT: 0
	.section	.text._ZN2at4cuda12_GLOBAL__N_121kernelPointwiseApply2IZNS_6native9templates4cuda28bernoulli_tensor_cuda_kernelIlfEEvRKNS_10TensorBaseES9_NS_15PhiloxCudaStateEEUliRlSB_SB_SB_RKfSD_SD_SD_E_lSC_jLi2ELi2ELi4ELi512ELi2EEEvNS0_6detail10TensorInfoIT0_T2_EENSG_IT1_SI_EESI_T_,"axG",@progbits,_ZN2at4cuda12_GLOBAL__N_121kernelPointwiseApply2IZNS_6native9templates4cuda28bernoulli_tensor_cuda_kernelIlfEEvRKNS_10TensorBaseES9_NS_15PhiloxCudaStateEEUliRlSB_SB_SB_RKfSD_SD_SD_E_lSC_jLi2ELi2ELi4ELi512ELi2EEEvNS0_6detail10TensorInfoIT0_T2_EENSG_IT1_SI_EESI_T_,comdat
	.globl	_ZN2at4cuda12_GLOBAL__N_121kernelPointwiseApply2IZNS_6native9templates4cuda28bernoulli_tensor_cuda_kernelIlfEEvRKNS_10TensorBaseES9_NS_15PhiloxCudaStateEEUliRlSB_SB_SB_RKfSD_SD_SD_E_lSC_jLi2ELi2ELi4ELi512ELi2EEEvNS0_6detail10TensorInfoIT0_T2_EENSG_IT1_SI_EESI_T_ ; -- Begin function _ZN2at4cuda12_GLOBAL__N_121kernelPointwiseApply2IZNS_6native9templates4cuda28bernoulli_tensor_cuda_kernelIlfEEvRKNS_10TensorBaseES9_NS_15PhiloxCudaStateEEUliRlSB_SB_SB_RKfSD_SD_SD_E_lSC_jLi2ELi2ELi4ELi512ELi2EEEvNS0_6detail10TensorInfoIT0_T2_EENSG_IT1_SI_EESI_T_
	.p2align	8
	.type	_ZN2at4cuda12_GLOBAL__N_121kernelPointwiseApply2IZNS_6native9templates4cuda28bernoulli_tensor_cuda_kernelIlfEEvRKNS_10TensorBaseES9_NS_15PhiloxCudaStateEEUliRlSB_SB_SB_RKfSD_SD_SD_E_lSC_jLi2ELi2ELi4ELi512ELi2EEEvNS0_6detail10TensorInfoIT0_T2_EENSG_IT1_SI_EESI_T_,@function
_ZN2at4cuda12_GLOBAL__N_121kernelPointwiseApply2IZNS_6native9templates4cuda28bernoulli_tensor_cuda_kernelIlfEEvRKNS_10TensorBaseES9_NS_15PhiloxCudaStateEEUliRlSB_SB_SB_RKfSD_SD_SD_E_lSC_jLi2ELi2ELi4ELi512ELi2EEEvNS0_6detail10TensorInfoIT0_T2_EENSG_IT1_SI_EESI_T_: ; @_ZN2at4cuda12_GLOBAL__N_121kernelPointwiseApply2IZNS_6native9templates4cuda28bernoulli_tensor_cuda_kernelIlfEEvRKNS_10TensorBaseES9_NS_15PhiloxCudaStateEEUliRlSB_SB_SB_RKfSD_SD_SD_E_lSC_jLi2ELi2ELi4ELi512ELi2EEEvNS0_6detail10TensorInfoIT0_T2_EENSG_IT1_SI_EESI_T_
; %bb.0:
	s_load_dword s2, s[4:5], 0x1e4
	s_load_dword s33, s[4:5], 0x1b0
	s_add_u32 s0, s4, 0x1d8
	s_addc_u32 s1, s5, 0
	s_waitcnt lgkmcnt(0)
	s_and_b32 s18, s2, 0xffff
	s_mul_i32 s6, s6, s18
	v_add_u32_e32 v1, s6, v0
	v_lshlrev_b32_e32 v0, 2, v1
	v_cmp_gt_u32_e32 vcc, s33, v0
	s_and_saveexec_b64 s[2:3], vcc
	s_cbranch_execz .LBB48_59
; %bb.1:
	s_load_dwordx2 s[2:3], s[4:5], 0x0
	s_load_dword s54, s[4:5], 0xc
	s_load_dwordx2 s[6:7], s[4:5], 0x6c
	s_load_dwordx2 s[12:13], s[4:5], 0xd8
	s_load_dword s19, s[0:1], 0x0
	s_load_dword s20, s[4:5], 0x1d0
	;; [unrolled: 1-line block ×3, first 2 shown]
	s_load_dwordx2 s[14:15], s[4:5], 0x144
	s_load_dwordx2 s[16:17], s[4:5], 0x1c8
	s_load_dwordx4 s[8:11], s[4:5], 0x1b8
	s_waitcnt lgkmcnt(0)
	v_cvt_f32_u32_e32 v4, s54
	v_cvt_f32_u32_e32 v7, s55
	s_mov_b32 s56, 0xcd9e8d57
	v_mad_u64_u32 v[2:3], s[0:1], v1, s56, 0
	v_rcp_iflag_f32_e32 v4, v4
	v_mov_b32_e32 v6, v3
	s_bitcmp1_b32 s20, 0
	s_cselect_b64 s[4:5], -1, 0
	v_mul_f32_e32 v3, 0x4f7ffffe, v4
	v_rcp_iflag_f32_e32 v4, v7
	v_cvt_u32_f32_e32 v3, v3
	s_sub_i32 s59, 0, s54
	s_sub_i32 s60, 0, s55
	v_mul_f32_e32 v4, 0x4f7ffffe, v4
	v_cvt_u32_f32_e32 v4, v4
	v_mul_lo_u32 v7, s59, v3
	v_mul_hi_u32 v7, v3, v7
	v_add_u32_e32 v3, v3, v7
	v_mul_lo_u32 v7, s60, v4
	s_mul_i32 s19, s19, s18
	v_mul_hi_u32 v7, v4, v7
	s_mov_b32 s57, 0
	v_mov_b32_e32 v5, 0
	s_lshl_b32 s58, s19, 2
	v_add_u32_e32 v7, v4, v7
	v_sub_u32_e32 v32, s33, v0
	s_mov_b64 s[20:21], 0
	s_mov_b32 s61, 0xd2511f53
	s_mov_b32 s62, 0xf1bbcdc8
                                        ; implicit-def: $sgpr22_sgpr23
                                        ; implicit-def: $sgpr24_sgpr25
                                        ; implicit-def: $sgpr26_sgpr27
                                        ; implicit-def: $sgpr18_sgpr19
                                        ; implicit-def: $sgpr28_sgpr29
                                        ; implicit-def: $sgpr30_sgpr31
                                        ; implicit-def: $sgpr34_sgpr35
                                        ; implicit-def: $sgpr36_sgpr37
	s_branch .LBB48_3
.LBB48_2:                               ;   in Loop: Header=BB48_3 Depth=1
	s_or_b64 exec, exec, s[38:39]
	s_and_b64 s[0:1], exec, s[0:1]
	s_or_b64 s[20:21], s[0:1], s[20:21]
	s_andn2_b64 s[0:1], s[18:19], exec
	s_and_b64 s[18:19], s[36:37], exec
	s_or_b64 s[18:19], s[0:1], s[18:19]
	s_andn2_b64 s[0:1], s[26:27], exec
	s_and_b64 s[26:27], s[34:35], exec
	;; [unrolled: 3-line block ×4, first 2 shown]
	s_or_b64 s[22:23], s[0:1], s[22:23]
	s_andn2_b64 exec, exec, s[20:21]
	s_cbranch_execz .LBB48_55
.LBB48_3:                               ; =>This Inner Loop Header: Depth=1
	v_cmp_lt_i32_e32 vcc, 0, v32
	v_mov_b32_e32 v8, 0
	s_and_saveexec_b64 s[38:39], vcc
	s_cbranch_execz .LBB48_5
; %bb.4:                                ;   in Loop: Header=BB48_3 Depth=1
	s_waitcnt vmcnt(3)
	v_mul_hi_u32 v4, v3, v0
	v_not_b32_e32 v10, v4
	s_waitcnt vmcnt(2)
	v_mad_u64_u32 v[8:9], s[0:1], s59, v4, v[0:1]
	v_add_u32_e32 v9, 1, v4
	v_cmp_le_u32_e64 s[0:1], s54, v8
	v_mad_u64_u32 v[10:11], s[40:41], s54, v10, v[0:1]
	v_cndmask_b32_e64 v4, v4, v9, s[0:1]
	v_cndmask_b32_e64 v8, v8, v10, s[0:1]
	v_add_u32_e32 v9, 1, v4
	v_cmp_le_u32_e64 s[0:1], s54, v8
	v_cndmask_b32_e64 v10, v4, v9, s[0:1]
	v_mad_u64_u32 v[8:9], s[0:1], s59, v10, v[0:1]
	v_mul_lo_u32 v4, v8, s7
	v_mad_u64_u32 v[8:9], s[0:1], v10, s6, v[4:5]
.LBB48_5:                               ;   in Loop: Header=BB48_3 Depth=1
	s_or_b64 exec, exec, s[38:39]
	s_waitcnt vmcnt(3)
	v_mov_b32_e32 v4, 0
	s_and_saveexec_b64 s[0:1], vcc
	s_cbranch_execz .LBB48_7
; %bb.6:                                ;   in Loop: Header=BB48_3 Depth=1
	v_mul_hi_u32 v4, v7, v0
	s_waitcnt vmcnt(2)
	v_not_b32_e32 v9, v4
	v_mad_u64_u32 v[10:11], s[38:39], s60, v4, v[0:1]
	v_add_u32_e32 v11, 1, v4
	v_cmp_le_u32_e32 vcc, s55, v10
	v_mad_u64_u32 v[12:13], s[38:39], s55, v9, v[0:1]
	v_cndmask_b32_e32 v4, v4, v11, vcc
	v_cndmask_b32_e32 v9, v10, v12, vcc
	v_add_u32_e32 v10, 1, v4
	v_cmp_le_u32_e32 vcc, s55, v9
	v_cndmask_b32_e32 v9, v4, v10, vcc
	v_mad_u64_u32 v[10:11], s[38:39], s60, v9, v[0:1]
	v_mul_lo_u32 v4, v10, s15
	v_mad_u64_u32 v[10:11], s[38:39], v9, s14, v[4:5]
	v_mov_b32_e32 v4, v10
.LBB48_7:                               ;   in Loop: Header=BB48_3 Depth=1
	s_or_b64 exec, exec, s[0:1]
	v_pk_mov_b32 v[14:15], 0, 0
	s_waitcnt vmcnt(2)
	v_add_u32_e32 v9, 1, v0
	v_cmp_lt_i32_e32 vcc, 1, v32
	v_pk_mov_b32 v[10:11], v[14:15], v[14:15] op_sel:[0,1]
	s_and_saveexec_b64 s[38:39], vcc
	s_cbranch_execz .LBB48_9
; %bb.8:                                ;   in Loop: Header=BB48_3 Depth=1
	v_mul_hi_u32 v10, v9, v3
	v_mul_lo_u32 v11, v10, s54
	v_sub_u32_e32 v11, v9, v11
	v_add_u32_e32 v12, 1, v10
	v_cmp_le_u32_e64 s[0:1], s54, v11
	v_cndmask_b32_e64 v10, v10, v12, s[0:1]
	v_subrev_u32_e32 v12, s54, v11
	v_cndmask_b32_e64 v11, v11, v12, s[0:1]
	v_add_u32_e32 v12, 1, v10
	v_cmp_le_u32_e64 s[0:1], s54, v11
	v_cndmask_b32_e64 v11, v10, v12, s[0:1]
	v_mul_lo_u32 v10, v11, s54
	v_sub_u32_e32 v10, v9, v10
	v_mul_lo_u32 v10, v10, s7
	v_mad_u64_u32 v[10:11], s[0:1], v11, s6, v[10:11]
	v_mov_b32_e32 v11, v5
.LBB48_9:                               ;   in Loop: Header=BB48_3 Depth=1
	s_or_b64 exec, exec, s[38:39]
	s_and_saveexec_b64 s[0:1], vcc
	s_cbranch_execz .LBB48_11
; %bb.10:                               ;   in Loop: Header=BB48_3 Depth=1
	v_mul_hi_u32 v12, v9, v7
	v_mul_lo_u32 v13, v12, s55
	v_sub_u32_e32 v13, v9, v13
	v_add_u32_e32 v14, 1, v12
	v_cmp_le_u32_e32 vcc, s55, v13
	v_cndmask_b32_e32 v12, v12, v14, vcc
	v_subrev_u32_e32 v14, s55, v13
	v_cndmask_b32_e32 v13, v13, v14, vcc
	v_add_u32_e32 v14, 1, v12
	v_cmp_le_u32_e32 vcc, s55, v13
	v_cndmask_b32_e32 v13, v12, v14, vcc
	v_mul_lo_u32 v12, v13, s55
	v_sub_u32_e32 v9, v9, v12
	v_mul_lo_u32 v12, v9, s15
	v_mad_u64_u32 v[14:15], s[38:39], v13, s14, v[12:13]
	v_mov_b32_e32 v15, v5
.LBB48_11:                              ;   in Loop: Header=BB48_3 Depth=1
	s_or_b64 exec, exec, s[0:1]
	v_pk_mov_b32 v[18:19], 0, 0
	v_add_u32_e32 v9, 2, v0
	v_cmp_lt_i32_e32 vcc, 2, v32
	v_pk_mov_b32 v[12:13], v[18:19], v[18:19] op_sel:[0,1]
	s_and_saveexec_b64 s[38:39], vcc
	s_cbranch_execz .LBB48_13
; %bb.12:                               ;   in Loop: Header=BB48_3 Depth=1
	v_mul_hi_u32 v12, v9, v3
	v_mul_lo_u32 v13, v12, s54
	v_sub_u32_e32 v13, v9, v13
	v_add_u32_e32 v16, 1, v12
	v_cmp_le_u32_e64 s[0:1], s54, v13
	v_cndmask_b32_e64 v12, v12, v16, s[0:1]
	v_subrev_u32_e32 v16, s54, v13
	v_cndmask_b32_e64 v13, v13, v16, s[0:1]
	v_add_u32_e32 v16, 1, v12
	v_cmp_le_u32_e64 s[0:1], s54, v13
	v_cndmask_b32_e64 v13, v12, v16, s[0:1]
	v_mul_lo_u32 v12, v13, s54
	v_sub_u32_e32 v12, v9, v12
	v_mul_lo_u32 v12, v12, s7
	v_mad_u64_u32 v[12:13], s[0:1], v13, s6, v[12:13]
	v_mov_b32_e32 v13, v5
.LBB48_13:                              ;   in Loop: Header=BB48_3 Depth=1
	s_or_b64 exec, exec, s[38:39]
	s_and_saveexec_b64 s[0:1], vcc
	s_cbranch_execz .LBB48_15
; %bb.14:                               ;   in Loop: Header=BB48_3 Depth=1
	v_mul_hi_u32 v16, v9, v7
	v_mul_lo_u32 v17, v16, s55
	v_sub_u32_e32 v17, v9, v17
	v_add_u32_e32 v18, 1, v16
	v_cmp_le_u32_e32 vcc, s55, v17
	v_cndmask_b32_e32 v16, v16, v18, vcc
	v_subrev_u32_e32 v18, s55, v17
	v_cndmask_b32_e32 v17, v17, v18, vcc
	v_add_u32_e32 v18, 1, v16
	v_cmp_le_u32_e32 vcc, s55, v17
	v_cndmask_b32_e32 v17, v16, v18, vcc
	v_mul_lo_u32 v16, v17, s55
	v_sub_u32_e32 v9, v9, v16
	v_mul_lo_u32 v16, v9, s15
	v_mad_u64_u32 v[18:19], s[38:39], v17, s14, v[16:17]
	v_mov_b32_e32 v19, v5
.LBB48_15:                              ;   in Loop: Header=BB48_3 Depth=1
	s_or_b64 exec, exec, s[0:1]
	v_pk_mov_b32 v[20:21], 0, 0
	v_add_u32_e32 v9, 3, v0
	v_cmp_lt_i32_e32 vcc, 3, v32
	v_pk_mov_b32 v[16:17], v[20:21], v[20:21] op_sel:[0,1]
	s_and_saveexec_b64 s[38:39], vcc
	s_cbranch_execz .LBB48_17
; %bb.16:                               ;   in Loop: Header=BB48_3 Depth=1
	v_mul_hi_u32 v16, v9, v3
	v_mul_lo_u32 v17, v16, s54
	v_sub_u32_e32 v17, v9, v17
	v_add_u32_e32 v22, 1, v16
	v_cmp_le_u32_e64 s[0:1], s54, v17
	v_cndmask_b32_e64 v16, v16, v22, s[0:1]
	v_subrev_u32_e32 v22, s54, v17
	v_cndmask_b32_e64 v17, v17, v22, s[0:1]
	v_add_u32_e32 v22, 1, v16
	v_cmp_le_u32_e64 s[0:1], s54, v17
	v_cndmask_b32_e64 v17, v16, v22, s[0:1]
	v_mul_lo_u32 v16, v17, s54
	v_sub_u32_e32 v16, v9, v16
	v_mul_lo_u32 v16, v16, s7
	v_mad_u64_u32 v[16:17], s[0:1], v17, s6, v[16:17]
	v_mov_b32_e32 v17, v5
.LBB48_17:                              ;   in Loop: Header=BB48_3 Depth=1
	s_or_b64 exec, exec, s[38:39]
	s_and_saveexec_b64 s[0:1], vcc
	s_cbranch_execz .LBB48_19
; %bb.18:                               ;   in Loop: Header=BB48_3 Depth=1
	v_mul_hi_u32 v20, v9, v7
	v_mul_lo_u32 v21, v20, s55
	v_sub_u32_e32 v21, v9, v21
	v_add_u32_e32 v22, 1, v20
	v_cmp_le_u32_e32 vcc, s55, v21
	v_cndmask_b32_e32 v20, v20, v22, vcc
	v_subrev_u32_e32 v22, s55, v21
	v_cndmask_b32_e32 v21, v21, v22, vcc
	v_add_u32_e32 v22, 1, v20
	v_cmp_le_u32_e32 vcc, s55, v21
	v_cndmask_b32_e32 v21, v20, v22, vcc
	v_mul_lo_u32 v20, v21, s55
	v_sub_u32_e32 v9, v9, v20
	v_mul_lo_u32 v20, v9, s15
	v_mad_u64_u32 v[20:21], s[38:39], v21, s14, v[20:21]
	v_mov_b32_e32 v21, v5
.LBB48_19:                              ;   in Loop: Header=BB48_3 Depth=1
	s_or_b64 exec, exec, s[0:1]
	v_lshlrev_b64 v[22:23], 2, v[4:5]
	v_mov_b32_e32 v4, s13
	v_add_co_u32_e32 v22, vcc, s12, v22
	v_addc_co_u32_e32 v23, vcc, v4, v23, vcc
	v_lshlrev_b64 v[14:15], 2, v[14:15]
	v_add_co_u32_e32 v14, vcc, s12, v14
	v_addc_co_u32_e32 v15, vcc, v4, v15, vcc
	v_lshlrev_b64 v[18:19], 2, v[18:19]
	v_add_co_u32_e32 v18, vcc, s12, v18
	v_addc_co_u32_e32 v19, vcc, v4, v19, vcc
	v_lshlrev_b64 v[20:21], 2, v[20:21]
	v_add_co_u32_e32 v20, vcc, s12, v20
	v_addc_co_u32_e32 v21, vcc, v4, v21, vcc
	global_load_dword v4, v[22:23], off
	global_load_dword v9, v[14:15], off
	;; [unrolled: 1-line block ×4, first 2 shown]
	s_andn2_b64 vcc, exec, s[4:5]
	v_pk_mov_b32 v[14:15], s[10:11], s[10:11] op_sel:[0,1]
	v_pk_mov_b32 v[18:19], s[8:9], s[8:9] op_sel:[0,1]
	s_cbranch_vccnz .LBB48_21
; %bb.20:                               ;   in Loop: Header=BB48_3 Depth=1
	v_pk_mov_b32 v[14:15], s[10:11], s[10:11] op_sel:[0,1]
	flat_load_dwordx2 v[14:15], v[14:15]
	v_pk_mov_b32 v[18:19], s[8:9], s[8:9] op_sel:[0,1]
	flat_load_dwordx2 v[18:19], v[18:19]
	v_mov_b32_e32 v20, s17
	s_waitcnt vmcnt(0) lgkmcnt(0)
	v_add_co_u32_e32 v14, vcc, s16, v14
	v_addc_co_u32_e32 v15, vcc, v15, v20, vcc
.LBB48_21:                              ;   in Loop: Header=BB48_3 Depth=1
	v_alignbit_b32 v28, v15, v14, 2
	v_lshrrev_b32_e32 v29, 2, v15
	v_xor_b32_e32 v20, v6, v18
	v_and_b32_e32 v35, 3, v14
	v_mad_u64_u32 v[14:15], s[0:1], v28, s61, 0
	v_xor_b32_e32 v20, v20, v29
	v_xor_b32_e32 v15, v15, v19
	v_add_u32_e32 v40, 0xbb67ae85, v19
	v_mad_u64_u32 v[20:21], s[0:1], v20, s61, 0
	v_mad_u64_u32 v[22:23], s[0:1], v15, s56, 0
	v_xor_b32_e32 v21, v40, v21
	v_add_u32_e32 v39, 0x9e3779b9, v18
	v_xor_b32_e32 v15, v2, v23
	v_xor_b32_e32 v21, v21, v14
	v_xor_b32_e32 v15, v15, v39
	v_add_u32_e32 v41, 0x3c6ef372, v18
	v_mad_u64_u32 v[24:25], s[0:1], v21, s56, 0
	v_add_u32_e32 v42, 0x76cf5d0a, v19
	v_mad_u64_u32 v[14:15], s[0:1], v15, s61, 0
	v_xor_b32_e32 v21, v41, v25
	v_xor_b32_e32 v21, v21, v22
	v_xor_b32_e32 v15, v42, v15
	v_xor_b32_e32 v15, v15, v20
	v_add_u32_e32 v44, 0x32370b8f, v19
	v_mad_u64_u32 v[20:21], s[0:1], v21, s61, 0
	v_add_u32_e32 v43, 0xdaa66d2b, v18
	v_mad_u64_u32 v[22:23], s[0:1], v15, s56, 0
	v_xor_b32_e32 v21, v44, v21
	;; [unrolled: 8-line block ×5, first 2 shown]
	v_xor_b32_e32 v21, v21, v22
	v_xor_b32_e32 v15, v50, v15
	;; [unrolled: 1-line block ×3, first 2 shown]
	v_add_u32_e32 v52, 0x1fd5c5a3, v19
	v_mad_u64_u32 v[20:21], s[0:1], v21, s61, 0
	v_xor_b32_e32 v21, v52, v21
	v_xor_b32_e32 v14, v21, v14
	v_add_u32_e32 v51, 0x5384540f, v18
	v_mad_u64_u32 v[26:27], s[0:1], v15, s56, 0
	v_add_co_u32_e32 v37, vcc, s62, v18
	v_mad_u64_u32 v[22:23], s[0:1], v14, s56, 0
	v_xor_b32_e32 v15, v51, v27
	v_xor_b32_e32 v14, v37, v23
	;; [unrolled: 1-line block ×4, first 2 shown]
	v_mad_u64_u32 v[24:25], s[0:1], v15, s61, 0
	v_mad_u64_u32 v[14:15], s[0:1], v14, s61, 0
	v_add_u32_e32 v38, 0x96a522ad, v19
	v_xor_b32_e32 v15, v15, v24
	v_xor_b32_e32 v36, v38, v15
	v_add_co_u32_e32 v15, vcc, 1, v28
	v_cndmask_b32_e64 v24, 0, 1, vcc
	v_addc_co_u32_e32 v30, vcc, 0, v29, vcc
	v_cmp_eq_u32_e32 vcc, 0, v30
	v_cndmask_b32_e32 v24, 0, v24, vcc
	v_add_u32_e32 v28, v24, v1
	v_cmp_eq_u32_e32 vcc, 0, v28
	v_mad_u64_u32 v[26:27], s[0:1], v15, s61, 0
	v_mad_u64_u32 v[28:29], s[0:1], v28, s56, 0
	v_add_u32_e32 v23, 0x8ff34781, v18
	v_cndmask_b32_e32 v24, 0, v24, vcc
	v_xor_b32_e32 v15, v29, v18
	v_xor_b32_e32 v18, v27, v19
	;; [unrolled: 1-line block ×4, first 2 shown]
	v_mad_u64_u32 v[30:31], s[0:1], v24, s56, 0
	v_add_u32_e32 v21, 0xdb3d7428, v19
	v_mad_u64_u32 v[18:19], s[0:1], v15, s61, 0
	v_xor_b32_e32 v15, v39, v31
	v_xor_b32_e32 v15, v15, v28
	v_xor_b32_e32 v19, v40, v19
	v_xor_b32_e32 v19, v19, v26
	v_mad_u64_u32 v[26:27], s[0:1], v15, s61, 0
	v_mad_u64_u32 v[28:29], s[0:1], v19, s56, 0
	v_xor_b32_e32 v19, v42, v27
	v_xor_b32_e32 v15, v41, v29
	v_xor_b32_e32 v24, v19, v18
	v_xor_b32_e32 v15, v15, v30
	v_mad_u64_u32 v[30:31], s[0:1], v24, s56, 0
	;; [unrolled: 6-line block ×7, first 2 shown]
	v_xor_b32_e32 v15, v21, v29
	v_xor_b32_e32 v15, v15, v18
	v_mad_u64_u32 v[30:31], s[0:1], v19, s56, 0
	v_mad_u64_u32 v[18:19], s[0:1], v15, s56, 0
	v_xor_b32_e32 v15, v19, v30
	v_xor_b32_e32 v15, v23, v15
	v_cmp_lt_i32_e32 vcc, 1, v35
                                        ; implicit-def: $vgpr27
	s_and_saveexec_b64 s[0:1], vcc
	s_xor_b64 s[0:1], exec, s[0:1]
	s_cbranch_execz .LBB48_27
; %bb.22:                               ;   in Loop: Header=BB48_3 Depth=1
	v_cmp_lt_i32_e32 vcc, 2, v35
                                        ; implicit-def: $vgpr27
	s_and_saveexec_b64 s[38:39], vcc
	s_xor_b64 s[38:39], exec, s[38:39]
; %bb.23:                               ;   in Loop: Header=BB48_3 Depth=1
	v_xor_b32_e32 v19, v37, v31
	v_xor_b32_e32 v19, v19, v26
	v_mul_hi_u32 v19, v19, s61
	v_xor_b32_e32 v19, v19, v28
	v_xor_b32_e32 v27, v38, v19
                                        ; implicit-def: $vgpr36
; %bb.24:                               ;   in Loop: Header=BB48_3 Depth=1
	s_andn2_saveexec_b64 s[38:39], s[38:39]
; %bb.25:                               ;   in Loop: Header=BB48_3 Depth=1
	v_mov_b32_e32 v27, v18
	v_mov_b32_e32 v18, v15
	;; [unrolled: 1-line block ×4, first 2 shown]
; %bb.26:                               ;   in Loop: Header=BB48_3 Depth=1
	s_or_b64 exec, exec, s[38:39]
                                        ; implicit-def: $vgpr20_vgpr21
                                        ; implicit-def: $vgpr22_vgpr23
                                        ; implicit-def: $vgpr35
                                        ; implicit-def: $vgpr36
                                        ; implicit-def: $vgpr24_vgpr25
                                        ; implicit-def: $vgpr21
                                        ; implicit-def: $vgpr23
.LBB48_27:                              ;   in Loop: Header=BB48_3 Depth=1
	s_andn2_saveexec_b64 s[0:1], s[0:1]
	s_cbranch_execz .LBB48_31
; %bb.28:                               ;   in Loop: Header=BB48_3 Depth=1
	v_xor_b32_e32 v18, v21, v25
	v_xor_b32_e32 v18, v18, v20
	v_mad_u64_u32 v[20:21], s[38:39], v18, s56, 0
	v_xor_b32_e32 v18, v21, v22
	v_xor_b32_e32 v19, v23, v18
	v_cmp_eq_u32_e32 vcc, 1, v35
	v_mov_b32_e32 v27, v14
	v_mov_b32_e32 v18, v36
	;; [unrolled: 1-line block ×3, first 2 shown]
	s_and_saveexec_b64 s[38:39], vcc
; %bb.29:                               ;   in Loop: Header=BB48_3 Depth=1
	v_mov_b32_e32 v27, v15
	v_mov_b32_e32 v18, v14
	;; [unrolled: 1-line block ×4, first 2 shown]
; %bb.30:                               ;   in Loop: Header=BB48_3 Depth=1
	s_or_b64 exec, exec, s[38:39]
	v_mov_b32_e32 v14, v19
	v_mov_b32_e32 v15, v21
.LBB48_31:                              ;   in Loop: Header=BB48_3 Depth=1
	s_or_b64 exec, exec, s[0:1]
	v_min_i32_e32 v19, 4, v32
	v_cmp_lt_i32_e32 vcc, 2, v19
	s_mov_b64 s[38:39], 0
	s_mov_b64 s[50:51], 0
                                        ; implicit-def: $sgpr40_sgpr41
                                        ; implicit-def: $sgpr42_sgpr43
                                        ; implicit-def: $sgpr44_sgpr45
	s_and_saveexec_b64 s[0:1], vcc
	s_xor_b64 s[46:47], exec, s[0:1]
	s_cbranch_execz .LBB48_41
; %bb.32:                               ;   in Loop: Header=BB48_3 Depth=1
	v_cmp_lt_i32_e32 vcc, 3, v19
	s_mov_b64 s[44:45], -1
                                        ; implicit-def: $sgpr40_sgpr41
                                        ; implicit-def: $sgpr48_sgpr49
	s_and_saveexec_b64 s[42:43], vcc
	s_cbranch_execz .LBB48_36
; %bb.33:                               ;   in Loop: Header=BB48_3 Depth=1
	s_waitcnt vmcnt(0)
	v_cmp_le_f32_e32 vcc, 0, v34
	v_cmp_ge_f32_e64 s[0:1], 1.0, v34
	s_and_b64 s[48:49], vcc, s[0:1]
	s_mov_b64 s[40:41], 0
	s_mov_b64 s[0:1], 0
	s_and_saveexec_b64 s[44:45], s[48:49]
	s_cbranch_execz .LBB48_35
; %bb.34:                               ;   in Loop: Header=BB48_3 Depth=1
	v_cvt_f32_u32_e32 v20, v27
	v_mov_b32_e32 v21, 0x2f800000
	v_lshlrev_b64 v[16:17], 3, v[16:17]
	v_add_co_u32_e32 v16, vcc, s2, v16
	v_fmac_f32_e32 v21, 0x2f800000, v20
	v_mov_b32_e32 v20, s3
	v_addc_co_u32_e32 v17, vcc, v20, v17, vcc
	v_cmp_le_f32_e32 vcc, v21, v34
	s_mov_b64 s[0:1], exec
	v_cndmask_b32_e64 v20, 0, 1, vcc
	v_mov_b32_e32 v21, s57
	global_store_dwordx2 v[16:17], v[20:21], off
.LBB48_35:                              ;   in Loop: Header=BB48_3 Depth=1
	s_or_b64 exec, exec, s[44:45]
	s_mov_b64 s[48:49], -1
	s_orn2_b64 s[44:45], s[0:1], exec
.LBB48_36:                              ;   in Loop: Header=BB48_3 Depth=1
	s_or_b64 exec, exec, s[42:43]
	s_mov_b64 s[0:1], 0
	s_mov_b64 s[50:51], s[40:41]
	s_and_saveexec_b64 s[42:43], s[44:45]
	s_cbranch_execz .LBB48_40
; %bb.37:                               ;   in Loop: Header=BB48_3 Depth=1
	s_waitcnt vmcnt(1)
	v_cmp_le_f32_e32 vcc, 0, v33
	v_cmp_ge_f32_e64 s[0:1], 1.0, v33
	s_and_b64 s[44:45], vcc, s[0:1]
	s_mov_b64 s[0:1], 0
	s_and_saveexec_b64 s[50:51], s[44:45]
	s_xor_b64 s[44:45], exec, s[50:51]
	s_cbranch_execz .LBB48_39
; %bb.38:                               ;   in Loop: Header=BB48_3 Depth=1
	v_cvt_f32_u32_e32 v16, v18
	v_mov_b32_e32 v17, 0x2f800000
	v_lshlrev_b64 v[12:13], 3, v[12:13]
	v_add_co_u32_e32 v12, vcc, s2, v12
	v_fmac_f32_e32 v17, 0x2f800000, v16
	v_mov_b32_e32 v16, s3
	v_addc_co_u32_e32 v13, vcc, v16, v13, vcc
	v_cmp_le_f32_e32 vcc, v17, v33
	v_cndmask_b32_e64 v16, 0, 1, vcc
	v_mov_b32_e32 v17, s57
	s_mov_b64 s[0:1], exec
	global_store_dwordx2 v[12:13], v[16:17], off
.LBB48_39:                              ;   in Loop: Header=BB48_3 Depth=1
	s_or_b64 exec, exec, s[44:45]
	s_andn2_b64 s[50:51], s[40:41], exec
	s_or_b64 s[40:41], s[40:41], exec
	s_andn2_b64 s[48:49], s[48:49], exec
	s_and_b64 s[0:1], s[0:1], exec
.LBB48_40:                              ;   in Loop: Header=BB48_3 Depth=1
	s_or_b64 exec, exec, s[42:43]
	s_and_b64 s[44:45], s[50:51], exec
	s_and_b64 s[42:43], s[40:41], exec
	;; [unrolled: 1-line block ×4, first 2 shown]
.LBB48_41:                              ;   in Loop: Header=BB48_3 Depth=1
	s_andn2_saveexec_b64 s[0:1], s[46:47]
; %bb.42:                               ;   in Loop: Header=BB48_3 Depth=1
	v_cmp_lt_i32_e32 vcc, 1, v19
	s_andn2_b64 s[46:47], s[50:51], exec
	s_and_b64 s[48:49], vcc, exec
	s_mov_b64 s[38:39], exec
	s_andn2_b64 s[44:45], s[44:45], exec
	s_andn2_b64 s[42:43], s[42:43], exec
	;; [unrolled: 1-line block ×3, first 2 shown]
	s_or_b64 s[50:51], s[46:47], s[48:49]
; %bb.43:                               ;   in Loop: Header=BB48_3 Depth=1
	s_or_b64 exec, exec, s[0:1]
	s_mov_b64 s[46:47], 0
	s_mov_b64 s[0:1], 0
	;; [unrolled: 1-line block ×3, first 2 shown]
	s_and_saveexec_b64 s[52:53], s[50:51]
	s_cbranch_execnz .LBB48_46
; %bb.44:                               ;   in Loop: Header=BB48_3 Depth=1
	s_or_b64 exec, exec, s[52:53]
	s_and_saveexec_b64 s[50:51], s[38:39]
	s_cbranch_execnz .LBB48_49
.LBB48_45:                              ;   in Loop: Header=BB48_3 Depth=1
	s_or_b64 exec, exec, s[50:51]
	s_and_saveexec_b64 s[38:39], s[0:1]
	s_cbranch_execnz .LBB48_50
	s_branch .LBB48_53
.LBB48_46:                              ;   in Loop: Header=BB48_3 Depth=1
	s_waitcnt vmcnt(2)
	v_cmp_le_f32_e32 vcc, 0, v9
	v_cmp_ge_f32_e64 s[0:1], 1.0, v9
	s_and_b64 s[48:49], vcc, s[0:1]
	s_mov_b64 s[0:1], 0
	s_and_saveexec_b64 s[50:51], s[48:49]
	s_xor_b64 s[48:49], exec, s[50:51]
	s_cbranch_execz .LBB48_48
; %bb.47:                               ;   in Loop: Header=BB48_3 Depth=1
	v_cvt_f32_u32_e32 v12, v15
	v_mov_b32_e32 v13, 0x2f800000
	v_lshlrev_b64 v[10:11], 3, v[10:11]
	v_add_co_u32_e32 v10, vcc, s2, v10
	v_fmac_f32_e32 v13, 0x2f800000, v12
	v_mov_b32_e32 v12, s3
	v_addc_co_u32_e32 v11, vcc, v12, v11, vcc
	v_cmp_le_f32_e32 vcc, v13, v9
	v_cndmask_b32_e64 v12, 0, 1, vcc
	v_mov_b32_e32 v13, s57
	s_mov_b64 s[0:1], exec
	global_store_dwordx2 v[10:11], v[12:13], off
.LBB48_48:                              ;   in Loop: Header=BB48_3 Depth=1
	s_or_b64 exec, exec, s[48:49]
	s_andn2_b64 s[48:49], s[44:45], exec
	s_or_b64 s[44:45], s[44:45], exec
	s_andn2_b64 s[42:43], s[42:43], exec
	s_andn2_b64 s[40:41], s[40:41], exec
	s_and_b64 s[0:1], s[0:1], exec
	s_andn2_b64 s[38:39], s[38:39], exec
	s_or_b64 exec, exec, s[52:53]
	s_and_saveexec_b64 s[50:51], s[38:39]
	s_cbranch_execz .LBB48_45
.LBB48_49:                              ;   in Loop: Header=BB48_3 Depth=1
	v_cmp_eq_u32_e32 vcc, 1, v19
	s_andn2_b64 s[0:1], s[0:1], exec
	s_and_b64 s[38:39], vcc, exec
	s_mov_b64 s[46:47], exec
	s_andn2_b64 s[48:49], s[48:49], exec
	s_andn2_b64 s[44:45], s[44:45], exec
	;; [unrolled: 1-line block ×4, first 2 shown]
	s_or_b64 s[0:1], s[0:1], s[38:39]
	s_or_b64 exec, exec, s[50:51]
	s_and_saveexec_b64 s[38:39], s[0:1]
	s_cbranch_execz .LBB48_53
.LBB48_50:                              ;   in Loop: Header=BB48_3 Depth=1
	s_waitcnt vmcnt(3)
	v_cmp_le_f32_e32 vcc, 0, v4
	v_cmp_ge_f32_e64 s[0:1], 1.0, v4
	s_and_b64 s[52:53], vcc, s[0:1]
	s_mov_b64 s[0:1], 0
	s_and_saveexec_b64 s[50:51], s[52:53]
	s_cbranch_execz .LBB48_52
; %bb.51:                               ;   in Loop: Header=BB48_3 Depth=1
	v_cvt_f32_u32_e32 v10, v14
	s_waitcnt vmcnt(2)
	v_mov_b32_e32 v9, v5
	v_mov_b32_e32 v11, 0x2f800000
	v_lshlrev_b64 v[8:9], 3, v[8:9]
	v_fmac_f32_e32 v11, 0x2f800000, v10
	v_mov_b32_e32 v10, s3
	v_add_co_u32_e32 v8, vcc, s2, v8
	v_addc_co_u32_e32 v9, vcc, v10, v9, vcc
	v_cmp_le_f32_e32 vcc, v11, v4
	s_mov_b64 s[0:1], exec
	v_cndmask_b32_e64 v10, 0, 1, vcc
	v_mov_b32_e32 v11, s57
	global_store_dwordx2 v[8:9], v[10:11], off
.LBB48_52:                              ;   in Loop: Header=BB48_3 Depth=1
	s_or_b64 exec, exec, s[50:51]
	s_andn2_b64 s[46:47], s[46:47], exec
	s_and_b64 s[0:1], s[0:1], exec
	s_or_b64 s[48:49], s[48:49], exec
	s_andn2_b64 s[44:45], s[44:45], exec
	s_andn2_b64 s[42:43], s[42:43], exec
	s_andn2_b64 s[40:41], s[40:41], exec
	s_or_b64 s[46:47], s[46:47], s[0:1]
.LBB48_53:                              ;   in Loop: Header=BB48_3 Depth=1
	s_or_b64 exec, exec, s[38:39]
	s_andn2_b64 s[36:37], s[36:37], exec
	s_and_b64 s[38:39], s[48:49], exec
	s_or_b64 s[36:37], s[36:37], s[38:39]
	s_andn2_b64 s[34:35], s[34:35], exec
	s_and_b64 s[38:39], s[44:45], exec
	s_or_b64 s[34:35], s[34:35], s[38:39]
	;; [unrolled: 3-line block ×3, first 2 shown]
	s_andn2_b64 s[28:29], s[28:29], exec
	s_and_b64 s[38:39], s[40:41], exec
	s_mov_b64 s[0:1], -1
	s_or_b64 s[28:29], s[28:29], s[38:39]
	s_and_saveexec_b64 s[38:39], s[46:47]
	s_cbranch_execz .LBB48_2
; %bb.54:                               ;   in Loop: Header=BB48_3 Depth=1
	v_add_u32_e32 v0, s58, v0
	v_cmp_le_u32_e32 vcc, s33, v0
	v_subrev_u32_e32 v32, s58, v32
	s_andn2_b64 s[36:37], s[36:37], exec
	s_andn2_b64 s[34:35], s[34:35], exec
	;; [unrolled: 1-line block ×4, first 2 shown]
	s_orn2_b64 s[0:1], vcc, exec
	s_branch .LBB48_2
.LBB48_55:
	s_or_b64 exec, exec, s[20:21]
	s_xor_b64 s[6:7], s[26:27], -1
	s_xor_b64 s[8:9], s[24:25], -1
	;; [unrolled: 1-line block ×3, first 2 shown]
	s_mov_b64 s[2:3], 0
	s_and_saveexec_b64 s[4:5], s[0:1]
	s_xor_b64 s[0:1], exec, s[4:5]
	s_cbranch_execnz .LBB48_60
; %bb.56:
	s_andn2_saveexec_b64 s[0:1], s[0:1]
	s_cbranch_execnz .LBB48_68
.LBB48_57:
	s_or_b64 exec, exec, s[0:1]
	s_and_b64 exec, exec, s[2:3]
.LBB48_58:
	; divergent unreachable
.LBB48_59:
	s_endpgm
.LBB48_60:
	s_mov_b64 s[4:5], 0
	s_and_saveexec_b64 s[2:3], s[8:9]
	s_xor_b64 s[2:3], exec, s[2:3]
	s_cbranch_execz .LBB48_66
; %bb.61:
	s_and_saveexec_b64 s[8:9], s[6:7]
	s_xor_b64 s[6:7], exec, s[8:9]
	s_cbranch_execz .LBB48_64
; %bb.62:
	s_and_saveexec_b64 s[8:9], s[18:19]
	s_xor_b64 s[8:9], exec, s[8:9]
	s_cbranch_execnz .LBB48_71
.LBB48_63:
	s_or_b64 exec, exec, s[8:9]
	s_and_b64 s[4:5], s[4:5], exec
.LBB48_64:
	s_andn2_saveexec_b64 s[6:7], s[6:7]
	s_cbranch_execnz .LBB48_70
.LBB48_65:
	s_or_b64 exec, exec, s[6:7]
	s_and_b64 s[4:5], s[4:5], exec
.LBB48_66:
	s_andn2_saveexec_b64 s[2:3], s[2:3]
	s_cbranch_execnz .LBB48_69
.LBB48_67:
	s_or_b64 exec, exec, s[2:3]
	s_and_b64 s[2:3], s[4:5], exec
	s_andn2_saveexec_b64 s[0:1], s[0:1]
	s_cbranch_execz .LBB48_57
.LBB48_68:
	s_or_b64 s[2:3], s[2:3], exec
	s_trap 2
	s_or_b64 exec, exec, s[0:1]
	s_and_b64 exec, exec, s[2:3]
	s_cbranch_execnz .LBB48_58
	s_branch .LBB48_59
.LBB48_69:
	s_or_b64 s[4:5], s[4:5], exec
	s_trap 2
	s_branch .LBB48_67
.LBB48_70:
	s_trap 2
	s_or_b64 s[4:5], s[4:5], exec
	s_branch .LBB48_65
.LBB48_71:
	s_mov_b64 s[4:5], exec
	s_trap 2
	s_branch .LBB48_63
	.section	.rodata,"a",@progbits
	.p2align	6, 0x0
	.amdhsa_kernel _ZN2at4cuda12_GLOBAL__N_121kernelPointwiseApply2IZNS_6native9templates4cuda28bernoulli_tensor_cuda_kernelIlfEEvRKNS_10TensorBaseES9_NS_15PhiloxCudaStateEEUliRlSB_SB_SB_RKfSD_SD_SD_E_lSC_jLi2ELi2ELi4ELi512ELi2EEEvNS0_6detail10TensorInfoIT0_T2_EENSG_IT1_SI_EESI_T_
		.amdhsa_group_segment_fixed_size 0
		.amdhsa_private_segment_fixed_size 0
		.amdhsa_kernarg_size 728
		.amdhsa_user_sgpr_count 6
		.amdhsa_user_sgpr_private_segment_buffer 1
		.amdhsa_user_sgpr_dispatch_ptr 0
		.amdhsa_user_sgpr_queue_ptr 0
		.amdhsa_user_sgpr_kernarg_segment_ptr 1
		.amdhsa_user_sgpr_dispatch_id 0
		.amdhsa_user_sgpr_flat_scratch_init 0
		.amdhsa_user_sgpr_kernarg_preload_length 0
		.amdhsa_user_sgpr_kernarg_preload_offset 0
		.amdhsa_user_sgpr_private_segment_size 0
		.amdhsa_uses_dynamic_stack 0
		.amdhsa_system_sgpr_private_segment_wavefront_offset 0
		.amdhsa_system_sgpr_workgroup_id_x 1
		.amdhsa_system_sgpr_workgroup_id_y 0
		.amdhsa_system_sgpr_workgroup_id_z 0
		.amdhsa_system_sgpr_workgroup_info 0
		.amdhsa_system_vgpr_workitem_id 0
		.amdhsa_next_free_vgpr 53
		.amdhsa_next_free_sgpr 63
		.amdhsa_accum_offset 56
		.amdhsa_reserve_vcc 1
		.amdhsa_reserve_flat_scratch 0
		.amdhsa_float_round_mode_32 0
		.amdhsa_float_round_mode_16_64 0
		.amdhsa_float_denorm_mode_32 3
		.amdhsa_float_denorm_mode_16_64 3
		.amdhsa_dx10_clamp 1
		.amdhsa_ieee_mode 1
		.amdhsa_fp16_overflow 0
		.amdhsa_tg_split 0
		.amdhsa_exception_fp_ieee_invalid_op 0
		.amdhsa_exception_fp_denorm_src 0
		.amdhsa_exception_fp_ieee_div_zero 0
		.amdhsa_exception_fp_ieee_overflow 0
		.amdhsa_exception_fp_ieee_underflow 0
		.amdhsa_exception_fp_ieee_inexact 0
		.amdhsa_exception_int_div_zero 0
	.end_amdhsa_kernel
	.section	.text._ZN2at4cuda12_GLOBAL__N_121kernelPointwiseApply2IZNS_6native9templates4cuda28bernoulli_tensor_cuda_kernelIlfEEvRKNS_10TensorBaseES9_NS_15PhiloxCudaStateEEUliRlSB_SB_SB_RKfSD_SD_SD_E_lSC_jLi2ELi2ELi4ELi512ELi2EEEvNS0_6detail10TensorInfoIT0_T2_EENSG_IT1_SI_EESI_T_,"axG",@progbits,_ZN2at4cuda12_GLOBAL__N_121kernelPointwiseApply2IZNS_6native9templates4cuda28bernoulli_tensor_cuda_kernelIlfEEvRKNS_10TensorBaseES9_NS_15PhiloxCudaStateEEUliRlSB_SB_SB_RKfSD_SD_SD_E_lSC_jLi2ELi2ELi4ELi512ELi2EEEvNS0_6detail10TensorInfoIT0_T2_EENSG_IT1_SI_EESI_T_,comdat
.Lfunc_end48:
	.size	_ZN2at4cuda12_GLOBAL__N_121kernelPointwiseApply2IZNS_6native9templates4cuda28bernoulli_tensor_cuda_kernelIlfEEvRKNS_10TensorBaseES9_NS_15PhiloxCudaStateEEUliRlSB_SB_SB_RKfSD_SD_SD_E_lSC_jLi2ELi2ELi4ELi512ELi2EEEvNS0_6detail10TensorInfoIT0_T2_EENSG_IT1_SI_EESI_T_, .Lfunc_end48-_ZN2at4cuda12_GLOBAL__N_121kernelPointwiseApply2IZNS_6native9templates4cuda28bernoulli_tensor_cuda_kernelIlfEEvRKNS_10TensorBaseES9_NS_15PhiloxCudaStateEEUliRlSB_SB_SB_RKfSD_SD_SD_E_lSC_jLi2ELi2ELi4ELi512ELi2EEEvNS0_6detail10TensorInfoIT0_T2_EENSG_IT1_SI_EESI_T_
                                        ; -- End function
	.section	.AMDGPU.csdata,"",@progbits
; Kernel info:
; codeLenInByte = 3472
; NumSgprs: 67
; NumVgprs: 53
; NumAgprs: 0
; TotalNumVgprs: 53
; ScratchSize: 0
; MemoryBound: 0
; FloatMode: 240
; IeeeMode: 1
; LDSByteSize: 0 bytes/workgroup (compile time only)
; SGPRBlocks: 8
; VGPRBlocks: 6
; NumSGPRsForWavesPerEU: 67
; NumVGPRsForWavesPerEU: 53
; AccumOffset: 56
; Occupancy: 8
; WaveLimiterHint : 1
; COMPUTE_PGM_RSRC2:SCRATCH_EN: 0
; COMPUTE_PGM_RSRC2:USER_SGPR: 6
; COMPUTE_PGM_RSRC2:TRAP_HANDLER: 0
; COMPUTE_PGM_RSRC2:TGID_X_EN: 1
; COMPUTE_PGM_RSRC2:TGID_Y_EN: 0
; COMPUTE_PGM_RSRC2:TGID_Z_EN: 0
; COMPUTE_PGM_RSRC2:TIDIG_COMP_CNT: 0
; COMPUTE_PGM_RSRC3_GFX90A:ACCUM_OFFSET: 13
; COMPUTE_PGM_RSRC3_GFX90A:TG_SPLIT: 0
	.section	.text._ZN2at4cuda12_GLOBAL__N_121kernelPointwiseApply2IZNS_6native9templates4cuda28bernoulli_tensor_cuda_kernelIlfEEvRKNS_10TensorBaseES9_NS_15PhiloxCudaStateEEUliRlSB_SB_SB_RKfSD_SD_SD_E_lSC_jLi2ELin1ELi4ELi512ELi2EEEvNS0_6detail10TensorInfoIT0_T2_EENSG_IT1_SI_EESI_T_,"axG",@progbits,_ZN2at4cuda12_GLOBAL__N_121kernelPointwiseApply2IZNS_6native9templates4cuda28bernoulli_tensor_cuda_kernelIlfEEvRKNS_10TensorBaseES9_NS_15PhiloxCudaStateEEUliRlSB_SB_SB_RKfSD_SD_SD_E_lSC_jLi2ELin1ELi4ELi512ELi2EEEvNS0_6detail10TensorInfoIT0_T2_EENSG_IT1_SI_EESI_T_,comdat
	.globl	_ZN2at4cuda12_GLOBAL__N_121kernelPointwiseApply2IZNS_6native9templates4cuda28bernoulli_tensor_cuda_kernelIlfEEvRKNS_10TensorBaseES9_NS_15PhiloxCudaStateEEUliRlSB_SB_SB_RKfSD_SD_SD_E_lSC_jLi2ELin1ELi4ELi512ELi2EEEvNS0_6detail10TensorInfoIT0_T2_EENSG_IT1_SI_EESI_T_ ; -- Begin function _ZN2at4cuda12_GLOBAL__N_121kernelPointwiseApply2IZNS_6native9templates4cuda28bernoulli_tensor_cuda_kernelIlfEEvRKNS_10TensorBaseES9_NS_15PhiloxCudaStateEEUliRlSB_SB_SB_RKfSD_SD_SD_E_lSC_jLi2ELin1ELi4ELi512ELi2EEEvNS0_6detail10TensorInfoIT0_T2_EENSG_IT1_SI_EESI_T_
	.p2align	8
	.type	_ZN2at4cuda12_GLOBAL__N_121kernelPointwiseApply2IZNS_6native9templates4cuda28bernoulli_tensor_cuda_kernelIlfEEvRKNS_10TensorBaseES9_NS_15PhiloxCudaStateEEUliRlSB_SB_SB_RKfSD_SD_SD_E_lSC_jLi2ELin1ELi4ELi512ELi2EEEvNS0_6detail10TensorInfoIT0_T2_EENSG_IT1_SI_EESI_T_,@function
_ZN2at4cuda12_GLOBAL__N_121kernelPointwiseApply2IZNS_6native9templates4cuda28bernoulli_tensor_cuda_kernelIlfEEvRKNS_10TensorBaseES9_NS_15PhiloxCudaStateEEUliRlSB_SB_SB_RKfSD_SD_SD_E_lSC_jLi2ELin1ELi4ELi512ELi2EEEvNS0_6detail10TensorInfoIT0_T2_EENSG_IT1_SI_EESI_T_: ; @_ZN2at4cuda12_GLOBAL__N_121kernelPointwiseApply2IZNS_6native9templates4cuda28bernoulli_tensor_cuda_kernelIlfEEvRKNS_10TensorBaseES9_NS_15PhiloxCudaStateEEUliRlSB_SB_SB_RKfSD_SD_SD_E_lSC_jLi2ELin1ELi4ELi512ELi2EEEvNS0_6detail10TensorInfoIT0_T2_EENSG_IT1_SI_EESI_T_
; %bb.0:
	s_load_dword s2, s[4:5], 0x1e4
	s_load_dword s33, s[4:5], 0x1b0
	s_add_u32 s0, s4, 0x1d8
	s_addc_u32 s1, s5, 0
	s_waitcnt lgkmcnt(0)
	s_and_b32 s2, s2, 0xffff
	s_mul_i32 s6, s6, s2
	v_add_u32_e32 v5, s6, v0
	v_lshlrev_b32_e32 v30, 2, v5
	v_cmp_gt_u32_e32 vcc, s33, v30
	s_and_saveexec_b64 s[6:7], vcc
	s_cbranch_execz .LBB49_73
; %bb.1:
	s_load_dword s3, s[0:1], 0x0
	s_load_dwordx2 s[6:7], s[4:5], 0x1c8
	s_load_dwordx4 s[8:11], s[4:5], 0x1b8
	s_load_dword s20, s[4:5], 0x1a8
	s_load_dwordx2 s[12:13], s[4:5], 0x0
	s_load_dword s56, s[4:5], 0xc
	s_waitcnt lgkmcnt(0)
	s_mul_i32 s22, s3, s2
	s_load_dword s2, s[4:5], 0x1d0
	s_load_dword s57, s[4:5], 0x144
	s_add_u32 s18, s4, 0xd8
	s_addc_u32 s19, s5, 0
	v_cvt_f32_u32_e32 v0, s56
	s_cmp_gt_i32 s20, 1
	s_mov_b32 s58, 0xcd9e8d57
	s_cselect_b64 s[0:1], -1, 0
	v_rcp_iflag_f32_e32 v2, v0
	s_waitcnt lgkmcnt(0)
	s_bitcmp1_b32 s2, 0
	v_mad_u64_u32 v[0:1], s[2:3], v5, s58, 0
	v_mul_f32_e32 v2, 0x4f7ffffe, v2
	v_cvt_u32_f32_e32 v2, v2
	s_load_dwordx2 s[14:15], s[4:5], 0x6c
	s_load_dwordx2 s[16:17], s[4:5], 0xd8
	s_cselect_b64 s[4:5], -1, 0
	s_mov_b32 s21, 0
	s_sub_i32 s2, 0, s56
	s_add_i32 s60, s20, 1
	s_add_i32 s20, s20, -1
	v_mov_b32_e32 v4, v1
	s_lshl_b32 s59, s22, 2
	v_mul_lo_u32 v1, s2, v2
	s_lshl_b64 s[2:3], s[20:21], 2
	s_add_u32 s2, s2, s18
	s_addc_u32 s3, s3, s19
	v_mul_hi_u32 v1, v2, v1
	s_add_u32 s22, s2, 8
	v_mov_b32_e32 v3, 0
	v_add_u32_e32 v1, v2, v1
	s_addc_u32 s23, s3, 0
	s_mov_b64 s[24:25], 0
	v_cndmask_b32_e64 v31, 0, 1, s[0:1]
	s_mov_b32 s20, 0xd2511f53
	s_mov_b32 s61, 0xf1bbcdc8
                                        ; implicit-def: $sgpr26_sgpr27
                                        ; implicit-def: $sgpr28_sgpr29
                                        ; implicit-def: $sgpr30_sgpr31
                                        ; implicit-def: $sgpr18_sgpr19
                                        ; implicit-def: $sgpr34_sgpr35
                                        ; implicit-def: $sgpr36_sgpr37
                                        ; implicit-def: $sgpr38_sgpr39
                                        ; implicit-def: $sgpr40_sgpr41
	s_branch .LBB49_3
.LBB49_2:                               ;   in Loop: Header=BB49_3 Depth=1
	s_or_b64 exec, exec, s[2:3]
	s_and_b64 s[0:1], exec, s[0:1]
	s_or_b64 s[24:25], s[0:1], s[24:25]
	s_andn2_b64 s[0:1], s[18:19], exec
	s_and_b64 s[2:3], s[40:41], exec
	s_or_b64 s[18:19], s[0:1], s[2:3]
	s_andn2_b64 s[0:1], s[30:31], exec
	s_and_b64 s[2:3], s[38:39], exec
	s_or_b64 s[30:31], s[0:1], s[2:3]
	s_andn2_b64 s[0:1], s[28:29], exec
	s_and_b64 s[2:3], s[36:37], exec
	s_or_b64 s[28:29], s[0:1], s[2:3]
	s_andn2_b64 s[0:1], s[26:27], exec
	s_and_b64 s[2:3], s[34:35], exec
	s_or_b64 s[26:27], s[0:1], s[2:3]
	s_andn2_b64 exec, exec, s[24:25]
	s_cbranch_execz .LBB49_69
.LBB49_3:                               ; =>This Loop Header: Depth=1
                                        ;     Child Loop BB49_8 Depth 2
                                        ;     Child Loop BB49_15 Depth 2
	;; [unrolled: 1-line block ×4, first 2 shown]
	v_sub_u32_e32 v32, s33, v30
	v_cmp_lt_i32_e32 vcc, 0, v32
	v_mov_b32_e32 v6, 0
	s_and_saveexec_b64 s[2:3], vcc
	s_cbranch_execz .LBB49_5
; %bb.4:                                ;   in Loop: Header=BB49_3 Depth=1
	s_waitcnt vmcnt(3)
	v_mul_hi_u32 v2, v30, v1
	v_mul_lo_u32 v6, v2, s56
	v_sub_u32_e32 v6, v30, v6
	s_waitcnt vmcnt(2)
	v_add_u32_e32 v7, 1, v2
	v_cmp_le_u32_e64 s[0:1], s56, v6
	v_cndmask_b32_e64 v2, v2, v7, s[0:1]
	v_subrev_u32_e32 v7, s56, v6
	v_cndmask_b32_e64 v6, v6, v7, s[0:1]
	v_add_u32_e32 v7, 1, v2
	v_cmp_le_u32_e64 s[0:1], s56, v6
	v_cndmask_b32_e64 v6, v2, v7, s[0:1]
	v_mul_lo_u32 v2, v6, s56
	v_sub_u32_e32 v2, v30, v2
	s_waitcnt lgkmcnt(0)
	v_mul_lo_u32 v2, v2, s15
	v_mad_u64_u32 v[6:7], s[0:1], v6, s14, v[2:3]
.LBB49_5:                               ;   in Loop: Header=BB49_3 Depth=1
	s_or_b64 exec, exec, s[2:3]
	s_waitcnt vmcnt(3)
	v_mov_b32_e32 v2, 0
	v_cmp_ne_u32_e64 s[0:1], 1, v31
	s_and_saveexec_b64 s[2:3], vcc
	s_cbranch_execz .LBB49_10
; %bb.6:                                ;   in Loop: Header=BB49_3 Depth=1
	s_and_b64 vcc, exec, s[0:1]
	v_mov_b32_e32 v8, 0
	v_mov_b32_e32 v2, v30
	s_cbranch_vccnz .LBB49_9
; %bb.7:                                ;   in Loop: Header=BB49_3 Depth=1
	v_mov_b32_e32 v8, 0
	s_mov_b64 s[42:43], s[22:23]
	s_mov_b32 s44, s60
	v_mov_b32_e32 v2, v30
.LBB49_8:                               ;   Parent Loop BB49_3 Depth=1
                                        ; =>  This Inner Loop Header: Depth=2
	s_load_dword s45, s[42:43], 0x0
	s_load_dword s46, s[42:43], 0x64
	s_waitcnt vmcnt(2)
	v_mov_b32_e32 v7, v2
	s_add_i32 s44, s44, -1
	s_waitcnt lgkmcnt(0)
	v_cvt_f32_u32_e32 v2, s45
	s_sub_i32 s47, 0, s45
	s_add_u32 s42, s42, -4
	s_addc_u32 s43, s43, -1
	v_rcp_iflag_f32_e32 v2, v2
	s_cmp_gt_u32 s44, 2
	v_mul_f32_e32 v2, 0x4f7ffffe, v2
	v_cvt_u32_f32_e32 v2, v2
	s_waitcnt vmcnt(1)
	v_mul_lo_u32 v9, s47, v2
	v_mul_hi_u32 v9, v2, v9
	v_add_u32_e32 v2, v2, v9
	v_mul_hi_u32 v2, v7, v2
	v_mul_lo_u32 v9, v2, s45
	v_sub_u32_e32 v9, v7, v9
	v_add_u32_e32 v10, 1, v2
	v_cmp_le_u32_e32 vcc, s45, v9
	v_cndmask_b32_e32 v2, v2, v10, vcc
	v_subrev_u32_e32 v10, s45, v9
	v_cndmask_b32_e32 v9, v9, v10, vcc
	v_add_u32_e32 v10, 1, v2
	v_cmp_le_u32_e32 vcc, s45, v9
	v_cndmask_b32_e32 v2, v2, v10, vcc
	v_mul_lo_u32 v9, v2, s45
	v_sub_u32_e32 v7, v7, v9
	v_mad_u64_u32 v[8:9], s[46:47], s46, v7, v[8:9]
	s_cbranch_scc1 .LBB49_8
.LBB49_9:                               ;   in Loop: Header=BB49_3 Depth=1
	s_waitcnt vmcnt(1)
	v_mad_u64_u32 v[8:9], s[42:43], s57, v2, v[8:9]
	v_mov_b32_e32 v2, v8
.LBB49_10:                              ;   in Loop: Header=BB49_3 Depth=1
	s_or_b64 exec, exec, s[2:3]
	s_waitcnt vmcnt(2)
	v_or_b32_e32 v7, 1, v30
	v_cmp_lt_i32_e32 vcc, 1, v32
	v_mov_b32_e32 v12, 0
	v_mov_b32_e32 v8, 0
	s_and_saveexec_b64 s[42:43], vcc
	s_cbranch_execz .LBB49_12
; %bb.11:                               ;   in Loop: Header=BB49_3 Depth=1
	v_mul_hi_u32 v8, v7, v1
	s_waitcnt vmcnt(1)
	v_mul_lo_u32 v9, v8, s56
	v_sub_u32_e32 v9, v7, v9
	v_add_u32_e32 v10, 1, v8
	v_cmp_le_u32_e64 s[2:3], s56, v9
	v_cndmask_b32_e64 v8, v8, v10, s[2:3]
	v_subrev_u32_e32 v10, s56, v9
	v_cndmask_b32_e64 v9, v9, v10, s[2:3]
	v_add_u32_e32 v10, 1, v8
	v_cmp_le_u32_e64 s[2:3], s56, v9
	v_cndmask_b32_e64 v9, v8, v10, s[2:3]
	v_mul_lo_u32 v8, v9, s56
	v_sub_u32_e32 v8, v7, v8
	s_waitcnt lgkmcnt(0)
	v_mul_lo_u32 v8, v8, s15
	v_mad_u64_u32 v[8:9], s[2:3], v9, s14, v[8:9]
.LBB49_12:                              ;   in Loop: Header=BB49_3 Depth=1
	s_or_b64 exec, exec, s[42:43]
	s_and_saveexec_b64 s[2:3], vcc
	s_cbranch_execz .LBB49_17
; %bb.13:                               ;   in Loop: Header=BB49_3 Depth=1
	s_and_b64 vcc, exec, s[0:1]
	v_mov_b32_e32 v10, 0
	s_cbranch_vccnz .LBB49_16
; %bb.14:                               ;   in Loop: Header=BB49_3 Depth=1
	v_mov_b32_e32 v10, 0
	s_mov_b64 s[42:43], s[22:23]
	s_mov_b32 s44, s60
.LBB49_15:                              ;   Parent Loop BB49_3 Depth=1
                                        ; =>  This Inner Loop Header: Depth=2
	s_load_dword s45, s[42:43], 0x0
	s_load_dword s46, s[42:43], 0x64
	s_waitcnt vmcnt(1)
	v_mov_b32_e32 v9, v7
	s_add_i32 s44, s44, -1
	s_waitcnt lgkmcnt(0)
	v_cvt_f32_u32_e32 v7, s45
	s_sub_i32 s47, 0, s45
	s_add_u32 s42, s42, -4
	s_addc_u32 s43, s43, -1
	v_rcp_iflag_f32_e32 v7, v7
	s_cmp_gt_u32 s44, 2
	v_mul_f32_e32 v7, 0x4f7ffffe, v7
	v_cvt_u32_f32_e32 v7, v7
	s_waitcnt vmcnt(0)
	v_mul_lo_u32 v11, s47, v7
	v_mul_hi_u32 v11, v7, v11
	v_add_u32_e32 v7, v7, v11
	v_mul_hi_u32 v7, v9, v7
	v_mul_lo_u32 v11, v7, s45
	v_sub_u32_e32 v11, v9, v11
	v_add_u32_e32 v12, 1, v7
	v_cmp_le_u32_e32 vcc, s45, v11
	v_cndmask_b32_e32 v7, v7, v12, vcc
	v_subrev_u32_e32 v12, s45, v11
	v_cndmask_b32_e32 v11, v11, v12, vcc
	v_add_u32_e32 v12, 1, v7
	v_cmp_le_u32_e32 vcc, s45, v11
	v_cndmask_b32_e32 v7, v7, v12, vcc
	v_mul_lo_u32 v11, v7, s45
	v_sub_u32_e32 v9, v9, v11
	v_mad_u64_u32 v[10:11], s[46:47], s46, v9, v[10:11]
	s_cbranch_scc1 .LBB49_15
.LBB49_16:                              ;   in Loop: Header=BB49_3 Depth=1
	s_waitcnt vmcnt(0)
	v_mad_u64_u32 v[12:13], s[42:43], s57, v7, v[10:11]
.LBB49_17:                              ;   in Loop: Header=BB49_3 Depth=1
	s_or_b64 exec, exec, s[2:3]
	v_or_b32_e32 v7, 2, v30
	v_cmp_lt_i32_e32 vcc, 2, v32
	v_mov_b32_e32 v10, 0
	s_and_saveexec_b64 s[42:43], vcc
	s_cbranch_execz .LBB49_19
; %bb.18:                               ;   in Loop: Header=BB49_3 Depth=1
	s_waitcnt vmcnt(1)
	v_mul_hi_u32 v9, v7, v1
	v_mul_lo_u32 v10, v9, s56
	v_sub_u32_e32 v10, v7, v10
	s_waitcnt vmcnt(0)
	v_add_u32_e32 v11, 1, v9
	v_cmp_le_u32_e64 s[2:3], s56, v10
	v_cndmask_b32_e64 v9, v9, v11, s[2:3]
	v_subrev_u32_e32 v11, s56, v10
	v_cndmask_b32_e64 v10, v10, v11, s[2:3]
	v_add_u32_e32 v11, 1, v9
	v_cmp_le_u32_e64 s[2:3], s56, v10
	v_cndmask_b32_e64 v9, v9, v11, s[2:3]
	v_mul_lo_u32 v10, v9, s56
	v_sub_u32_e32 v10, v7, v10
	s_waitcnt lgkmcnt(0)
	v_mul_lo_u32 v10, v10, s15
	v_mad_u64_u32 v[10:11], s[2:3], v9, s14, v[10:11]
.LBB49_19:                              ;   in Loop: Header=BB49_3 Depth=1
	s_or_b64 exec, exec, s[42:43]
	v_pk_mov_b32 v[16:17], 0, 0
	s_and_saveexec_b64 s[2:3], vcc
	s_cbranch_execz .LBB49_24
; %bb.20:                               ;   in Loop: Header=BB49_3 Depth=1
	s_and_b64 vcc, exec, s[0:1]
	v_mov_b32_e32 v14, 0
	s_cbranch_vccnz .LBB49_23
; %bb.21:                               ;   in Loop: Header=BB49_3 Depth=1
	v_mov_b32_e32 v14, 0
	s_mov_b64 s[42:43], s[22:23]
	s_mov_b32 s44, s60
.LBB49_22:                              ;   Parent Loop BB49_3 Depth=1
                                        ; =>  This Inner Loop Header: Depth=2
	s_load_dword s45, s[42:43], 0x0
	s_load_dword s46, s[42:43], 0x64
	s_waitcnt vmcnt(1)
	v_mov_b32_e32 v9, v7
	s_add_i32 s44, s44, -1
	s_waitcnt lgkmcnt(0)
	v_cvt_f32_u32_e32 v7, s45
	s_sub_i32 s47, 0, s45
	s_add_u32 s42, s42, -4
	s_addc_u32 s43, s43, -1
	v_rcp_iflag_f32_e32 v7, v7
	s_cmp_gt_u32 s44, 2
	v_mul_f32_e32 v7, 0x4f7ffffe, v7
	v_cvt_u32_f32_e32 v7, v7
	s_waitcnt vmcnt(0)
	v_mul_lo_u32 v11, s47, v7
	v_mul_hi_u32 v11, v7, v11
	v_add_u32_e32 v7, v7, v11
	v_mul_hi_u32 v7, v9, v7
	v_mul_lo_u32 v11, v7, s45
	v_sub_u32_e32 v11, v9, v11
	v_add_u32_e32 v13, 1, v7
	v_cmp_le_u32_e32 vcc, s45, v11
	v_cndmask_b32_e32 v7, v7, v13, vcc
	v_subrev_u32_e32 v13, s45, v11
	v_cndmask_b32_e32 v11, v11, v13, vcc
	v_add_u32_e32 v13, 1, v7
	v_cmp_le_u32_e32 vcc, s45, v11
	v_cndmask_b32_e32 v7, v7, v13, vcc
	v_mul_lo_u32 v11, v7, s45
	v_sub_u32_e32 v9, v9, v11
	v_mad_u64_u32 v[14:15], s[46:47], s46, v9, v[14:15]
	s_cbranch_scc1 .LBB49_22
.LBB49_23:                              ;   in Loop: Header=BB49_3 Depth=1
	v_mad_u64_u32 v[16:17], s[42:43], s57, v7, v[14:15]
	v_mov_b32_e32 v17, v3
.LBB49_24:                              ;   in Loop: Header=BB49_3 Depth=1
	s_or_b64 exec, exec, s[2:3]
	v_pk_mov_b32 v[18:19], 0, 0
	v_or_b32_e32 v7, 3, v30
	v_cmp_lt_i32_e32 vcc, 3, v32
	v_pk_mov_b32 v[14:15], v[18:19], v[18:19] op_sel:[0,1]
	s_and_saveexec_b64 s[42:43], vcc
	s_cbranch_execz .LBB49_26
; %bb.25:                               ;   in Loop: Header=BB49_3 Depth=1
	s_waitcnt vmcnt(1)
	v_mul_hi_u32 v9, v7, v1
	s_waitcnt vmcnt(0)
	v_mul_lo_u32 v11, v9, s56
	v_sub_u32_e32 v11, v7, v11
	v_add_u32_e32 v13, 1, v9
	v_cmp_le_u32_e64 s[2:3], s56, v11
	v_cndmask_b32_e64 v9, v9, v13, s[2:3]
	v_subrev_u32_e32 v13, s56, v11
	v_cndmask_b32_e64 v11, v11, v13, s[2:3]
	v_add_u32_e32 v13, 1, v9
	v_cmp_le_u32_e64 s[2:3], s56, v11
	v_cndmask_b32_e64 v9, v9, v13, s[2:3]
	v_mul_lo_u32 v11, v9, s56
	v_sub_u32_e32 v11, v7, v11
	s_waitcnt lgkmcnt(0)
	v_mul_lo_u32 v14, v11, s15
	v_mad_u64_u32 v[14:15], s[2:3], v9, s14, v[14:15]
	v_mov_b32_e32 v15, v3
.LBB49_26:                              ;   in Loop: Header=BB49_3 Depth=1
	s_or_b64 exec, exec, s[42:43]
	s_and_saveexec_b64 s[2:3], vcc
	s_cbranch_execz .LBB49_31
; %bb.27:                               ;   in Loop: Header=BB49_3 Depth=1
	s_and_b64 vcc, exec, s[0:1]
	v_mov_b32_e32 v18, 0
	s_cbranch_vccnz .LBB49_30
; %bb.28:                               ;   in Loop: Header=BB49_3 Depth=1
	v_mov_b32_e32 v18, 0
	s_mov_b64 s[0:1], s[22:23]
	s_mov_b32 s42, s60
.LBB49_29:                              ;   Parent Loop BB49_3 Depth=1
                                        ; =>  This Inner Loop Header: Depth=2
	s_load_dword s43, s[0:1], 0x0
	s_load_dword s44, s[0:1], 0x64
	s_waitcnt vmcnt(1)
	v_mov_b32_e32 v9, v7
	s_add_i32 s42, s42, -1
	s_waitcnt lgkmcnt(0)
	v_cvt_f32_u32_e32 v7, s43
	s_sub_i32 s45, 0, s43
	s_add_u32 s0, s0, -4
	s_addc_u32 s1, s1, -1
	v_rcp_iflag_f32_e32 v7, v7
	s_cmp_gt_u32 s42, 2
	v_mul_f32_e32 v7, 0x4f7ffffe, v7
	v_cvt_u32_f32_e32 v7, v7
	s_waitcnt vmcnt(0)
	v_mul_lo_u32 v11, s45, v7
	v_mul_hi_u32 v11, v7, v11
	v_add_u32_e32 v7, v7, v11
	v_mul_hi_u32 v7, v9, v7
	v_mul_lo_u32 v11, v7, s43
	v_sub_u32_e32 v11, v9, v11
	v_add_u32_e32 v13, 1, v7
	v_cmp_le_u32_e32 vcc, s43, v11
	v_cndmask_b32_e32 v7, v7, v13, vcc
	v_subrev_u32_e32 v13, s43, v11
	v_cndmask_b32_e32 v11, v11, v13, vcc
	v_add_u32_e32 v13, 1, v7
	v_cmp_le_u32_e32 vcc, s43, v11
	v_cndmask_b32_e32 v7, v7, v13, vcc
	v_mul_lo_u32 v11, v7, s43
	v_sub_u32_e32 v9, v9, v11
	v_mad_u64_u32 v[18:19], s[44:45], s44, v9, v[18:19]
	s_cbranch_scc1 .LBB49_29
.LBB49_30:                              ;   in Loop: Header=BB49_3 Depth=1
	v_mad_u64_u32 v[18:19], s[0:1], s57, v7, v[18:19]
	v_mov_b32_e32 v19, v3
.LBB49_31:                              ;   in Loop: Header=BB49_3 Depth=1
	s_or_b64 exec, exec, s[2:3]
	v_lshlrev_b64 v[20:21], 2, v[2:3]
	s_waitcnt lgkmcnt(0)
	v_mov_b32_e32 v2, s17
	v_add_co_u32_e32 v20, vcc, s16, v20
	v_mov_b32_e32 v13, v3
	v_addc_co_u32_e32 v21, vcc, v2, v21, vcc
	v_lshlrev_b64 v[12:13], 2, v[12:13]
	v_add_co_u32_e32 v12, vcc, s16, v12
	v_addc_co_u32_e32 v13, vcc, v2, v13, vcc
	v_lshlrev_b64 v[16:17], 2, v[16:17]
	v_add_co_u32_e32 v16, vcc, s16, v16
	;; [unrolled: 3-line block ×3, first 2 shown]
	v_addc_co_u32_e32 v19, vcc, v2, v19, vcc
	global_load_dword v2, v[20:21], off
	global_load_dword v7, v[12:13], off
	;; [unrolled: 1-line block ×4, first 2 shown]
	s_andn2_b64 vcc, exec, s[4:5]
	v_pk_mov_b32 v[12:13], s[10:11], s[10:11] op_sel:[0,1]
	v_pk_mov_b32 v[16:17], s[8:9], s[8:9] op_sel:[0,1]
	s_cbranch_vccnz .LBB49_33
; %bb.32:                               ;   in Loop: Header=BB49_3 Depth=1
	v_pk_mov_b32 v[12:13], s[10:11], s[10:11] op_sel:[0,1]
	flat_load_dwordx2 v[12:13], v[12:13]
	v_pk_mov_b32 v[16:17], s[8:9], s[8:9] op_sel:[0,1]
	flat_load_dwordx2 v[16:17], v[16:17]
	v_mov_b32_e32 v18, s7
	s_waitcnt vmcnt(0) lgkmcnt(0)
	v_add_co_u32_e32 v12, vcc, s6, v12
	v_addc_co_u32_e32 v13, vcc, v13, v18, vcc
.LBB49_33:                              ;   in Loop: Header=BB49_3 Depth=1
	v_alignbit_b32 v26, v13, v12, 2
	v_lshrrev_b32_e32 v27, 2, v13
	v_xor_b32_e32 v18, v4, v16
	v_and_b32_e32 v33, 3, v12
	v_mad_u64_u32 v[12:13], s[0:1], v26, s20, 0
	v_xor_b32_e32 v18, v18, v27
	v_xor_b32_e32 v13, v13, v17
	v_add_u32_e32 v38, 0xbb67ae85, v17
	v_mad_u64_u32 v[18:19], s[0:1], v18, s20, 0
	v_mad_u64_u32 v[20:21], s[0:1], v13, s58, 0
	v_xor_b32_e32 v19, v38, v19
	v_add_u32_e32 v37, 0x9e3779b9, v16
	v_xor_b32_e32 v13, v0, v21
	v_xor_b32_e32 v19, v19, v12
	v_xor_b32_e32 v13, v13, v37
	v_add_u32_e32 v39, 0x3c6ef372, v16
	v_mad_u64_u32 v[22:23], s[0:1], v19, s58, 0
	v_add_u32_e32 v40, 0x76cf5d0a, v17
	v_mad_u64_u32 v[12:13], s[0:1], v13, s20, 0
	v_xor_b32_e32 v19, v39, v23
	v_xor_b32_e32 v19, v19, v20
	v_xor_b32_e32 v13, v40, v13
	v_xor_b32_e32 v13, v13, v18
	v_add_u32_e32 v42, 0x32370b8f, v17
	v_mad_u64_u32 v[18:19], s[0:1], v19, s20, 0
	v_add_u32_e32 v41, 0xdaa66d2b, v16
	v_mad_u64_u32 v[20:21], s[0:1], v13, s58, 0
	v_xor_b32_e32 v19, v42, v19
	;; [unrolled: 8-line block ×5, first 2 shown]
	v_xor_b32_e32 v19, v19, v20
	v_xor_b32_e32 v13, v48, v13
	;; [unrolled: 1-line block ×3, first 2 shown]
	v_add_u32_e32 v50, 0x1fd5c5a3, v17
	v_mad_u64_u32 v[18:19], s[0:1], v19, s20, 0
	v_xor_b32_e32 v19, v50, v19
	v_xor_b32_e32 v12, v19, v12
	v_add_u32_e32 v49, 0x5384540f, v16
	v_mad_u64_u32 v[24:25], s[0:1], v13, s58, 0
	v_add_co_u32_e32 v35, vcc, s61, v16
	v_mad_u64_u32 v[20:21], s[0:1], v12, s58, 0
	v_xor_b32_e32 v13, v49, v25
	v_xor_b32_e32 v12, v35, v21
	;; [unrolled: 1-line block ×4, first 2 shown]
	v_mad_u64_u32 v[22:23], s[0:1], v13, s20, 0
	v_mad_u64_u32 v[12:13], s[0:1], v12, s20, 0
	v_add_u32_e32 v36, 0x96a522ad, v17
	v_xor_b32_e32 v13, v13, v22
	v_xor_b32_e32 v34, v36, v13
	v_add_co_u32_e32 v13, vcc, 1, v26
	v_cndmask_b32_e64 v22, 0, 1, vcc
	v_addc_co_u32_e32 v28, vcc, 0, v27, vcc
	v_cmp_eq_u32_e32 vcc, 0, v28
	v_cndmask_b32_e32 v22, 0, v22, vcc
	v_add_u32_e32 v26, v22, v5
	v_cmp_eq_u32_e32 vcc, 0, v26
	v_mad_u64_u32 v[24:25], s[0:1], v13, s20, 0
	v_mad_u64_u32 v[26:27], s[0:1], v26, s58, 0
	v_add_u32_e32 v21, 0x8ff34781, v16
	v_cndmask_b32_e32 v22, 0, v22, vcc
	v_xor_b32_e32 v13, v27, v16
	v_xor_b32_e32 v16, v25, v17
	;; [unrolled: 1-line block ×4, first 2 shown]
	v_mad_u64_u32 v[28:29], s[0:1], v22, s58, 0
	v_add_u32_e32 v19, 0xdb3d7428, v17
	v_mad_u64_u32 v[16:17], s[0:1], v13, s20, 0
	v_xor_b32_e32 v13, v37, v29
	v_xor_b32_e32 v13, v13, v26
	v_xor_b32_e32 v17, v38, v17
	v_xor_b32_e32 v17, v17, v24
	v_mad_u64_u32 v[24:25], s[0:1], v13, s20, 0
	v_mad_u64_u32 v[26:27], s[0:1], v17, s58, 0
	v_xor_b32_e32 v17, v40, v25
	v_xor_b32_e32 v13, v39, v27
	v_xor_b32_e32 v22, v17, v16
	v_xor_b32_e32 v13, v13, v28
	v_mad_u64_u32 v[28:29], s[0:1], v22, s58, 0
	;; [unrolled: 6-line block ×7, first 2 shown]
	v_xor_b32_e32 v13, v19, v27
	v_xor_b32_e32 v13, v13, v16
	v_mad_u64_u32 v[28:29], s[0:1], v17, s58, 0
	v_mad_u64_u32 v[16:17], s[0:1], v13, s58, 0
	v_xor_b32_e32 v13, v17, v28
	v_xor_b32_e32 v13, v21, v13
	v_cmp_lt_i32_e32 vcc, 1, v33
                                        ; implicit-def: $vgpr25
	s_and_saveexec_b64 s[0:1], vcc
	s_xor_b64 s[0:1], exec, s[0:1]
	s_cbranch_execz .LBB49_39
; %bb.34:                               ;   in Loop: Header=BB49_3 Depth=1
	v_cmp_lt_i32_e32 vcc, 2, v33
                                        ; implicit-def: $vgpr25
	s_and_saveexec_b64 s[2:3], vcc
	s_xor_b64 s[2:3], exec, s[2:3]
; %bb.35:                               ;   in Loop: Header=BB49_3 Depth=1
	v_xor_b32_e32 v17, v35, v29
	v_xor_b32_e32 v17, v17, v24
	v_mul_hi_u32 v17, v17, s20
	v_xor_b32_e32 v17, v17, v26
	v_xor_b32_e32 v25, v36, v17
                                        ; implicit-def: $vgpr34
; %bb.36:                               ;   in Loop: Header=BB49_3 Depth=1
	s_andn2_saveexec_b64 s[2:3], s[2:3]
; %bb.37:                               ;   in Loop: Header=BB49_3 Depth=1
	v_mov_b32_e32 v25, v16
	v_mov_b32_e32 v16, v13
	;; [unrolled: 1-line block ×4, first 2 shown]
; %bb.38:                               ;   in Loop: Header=BB49_3 Depth=1
	s_or_b64 exec, exec, s[2:3]
                                        ; implicit-def: $vgpr18_vgpr19
                                        ; implicit-def: $vgpr20_vgpr21
                                        ; implicit-def: $vgpr33
                                        ; implicit-def: $vgpr34
                                        ; implicit-def: $vgpr22_vgpr23
                                        ; implicit-def: $vgpr19
                                        ; implicit-def: $vgpr21
.LBB49_39:                              ;   in Loop: Header=BB49_3 Depth=1
	s_andn2_saveexec_b64 s[0:1], s[0:1]
	s_cbranch_execz .LBB49_43
; %bb.40:                               ;   in Loop: Header=BB49_3 Depth=1
	v_xor_b32_e32 v16, v19, v23
	v_xor_b32_e32 v16, v16, v18
	v_mad_u64_u32 v[18:19], s[2:3], v16, s58, 0
	v_xor_b32_e32 v16, v19, v20
	v_xor_b32_e32 v17, v21, v16
	v_cmp_eq_u32_e32 vcc, 1, v33
	v_mov_b32_e32 v25, v12
	v_mov_b32_e32 v16, v34
	;; [unrolled: 1-line block ×3, first 2 shown]
	s_and_saveexec_b64 s[2:3], vcc
; %bb.41:                               ;   in Loop: Header=BB49_3 Depth=1
	v_mov_b32_e32 v25, v13
	v_mov_b32_e32 v16, v12
	v_mov_b32_e32 v19, v34
	v_mov_b32_e32 v17, v18
; %bb.42:                               ;   in Loop: Header=BB49_3 Depth=1
	s_or_b64 exec, exec, s[2:3]
	v_mov_b32_e32 v12, v17
	v_mov_b32_e32 v13, v19
.LBB49_43:                              ;   in Loop: Header=BB49_3 Depth=1
	s_or_b64 exec, exec, s[0:1]
	v_min_i32_e32 v17, 4, v32
	v_cmp_lt_i32_e32 vcc, 2, v17
	s_mov_b64 s[2:3], 0
	s_mov_b64 s[52:53], 0
	;; [unrolled: 1-line block ×3, first 2 shown]
                                        ; implicit-def: $sgpr44_sgpr45
                                        ; implicit-def: $sgpr46_sgpr47
                                        ; implicit-def: $sgpr48_sgpr49
	s_and_saveexec_b64 s[0:1], vcc
	s_xor_b64 s[50:51], exec, s[0:1]
	s_cbranch_execz .LBB49_55
; %bb.44:                               ;   in Loop: Header=BB49_3 Depth=1
	v_cmp_lt_i32_e32 vcc, 3, v17
	s_mov_b64 s[0:1], -1
	s_mov_b64 s[54:55], 0
                                        ; implicit-def: $sgpr42_sgpr43
                                        ; implicit-def: $sgpr44_sgpr45
	s_and_saveexec_b64 s[46:47], vcc
	s_cbranch_execz .LBB49_50
; %bb.45:                               ;   in Loop: Header=BB49_3 Depth=1
	v_cmp_eq_u32_e32 vcc, 4, v17
	s_mov_b64 s[0:1], 0
	s_mov_b64 s[54:55], -1
                                        ; implicit-def: $sgpr42_sgpr43
                                        ; implicit-def: $sgpr44_sgpr45
	s_and_saveexec_b64 s[48:49], vcc
	s_cbranch_execz .LBB49_49
; %bb.46:                               ;   in Loop: Header=BB49_3 Depth=1
	s_waitcnt vmcnt(0)
	v_cmp_le_f32_e32 vcc, 0, v11
	v_cmp_ge_f32_e64 s[0:1], 1.0, v11
	s_and_b64 s[54:55], vcc, s[0:1]
	s_mov_b64 s[42:43], 0
	s_mov_b64 s[0:1], 0
	s_and_saveexec_b64 s[44:45], s[54:55]
	s_cbranch_execz .LBB49_48
; %bb.47:                               ;   in Loop: Header=BB49_3 Depth=1
	v_cvt_f32_u32_e32 v18, v25
	v_mov_b32_e32 v19, 0x2f800000
	v_lshlrev_b64 v[14:15], 3, v[14:15]
	v_add_co_u32_e32 v14, vcc, s12, v14
	v_fmac_f32_e32 v19, 0x2f800000, v18
	v_mov_b32_e32 v18, s13
	v_addc_co_u32_e32 v15, vcc, v18, v15, vcc
	v_cmp_le_f32_e32 vcc, v19, v11
	s_mov_b64 s[0:1], exec
	v_cndmask_b32_e64 v18, 0, 1, vcc
	v_mov_b32_e32 v19, s21
	global_store_dwordx2 v[14:15], v[18:19], off
.LBB49_48:                              ;   in Loop: Header=BB49_3 Depth=1
	s_or_b64 exec, exec, s[44:45]
	s_mov_b64 s[44:45], -1
	s_xor_b64 s[54:55], exec, -1
	s_and_b64 s[0:1], s[0:1], exec
.LBB49_49:                              ;   in Loop: Header=BB49_3 Depth=1
	s_or_b64 exec, exec, s[48:49]
	s_and_b64 s[54:55], s[54:55], exec
	s_orn2_b64 s[0:1], s[0:1], exec
.LBB49_50:                              ;   in Loop: Header=BB49_3 Depth=1
	s_or_b64 exec, exec, s[46:47]
	s_mov_b64 s[48:49], s[42:43]
	s_and_saveexec_b64 s[46:47], s[0:1]
	s_cbranch_execz .LBB49_54
; %bb.51:                               ;   in Loop: Header=BB49_3 Depth=1
	s_waitcnt vmcnt(1)
	v_cmp_le_f32_e32 vcc, 0, v9
	v_cmp_ge_f32_e64 s[0:1], 1.0, v9
	s_and_b64 s[48:49], vcc, s[0:1]
	s_mov_b64 s[0:1], 0
	s_and_saveexec_b64 s[52:53], s[48:49]
	s_xor_b64 s[48:49], exec, s[52:53]
	s_cbranch_execz .LBB49_53
; %bb.52:                               ;   in Loop: Header=BB49_3 Depth=1
	v_cvt_f32_u32_e32 v14, v16
	s_waitcnt vmcnt(0)
	v_mov_b32_e32 v11, v3
	v_mov_b32_e32 v15, 0x2f800000
	v_lshlrev_b64 v[10:11], 3, v[10:11]
	v_fmac_f32_e32 v15, 0x2f800000, v14
	v_mov_b32_e32 v14, s13
	v_add_co_u32_e32 v10, vcc, s12, v10
	v_addc_co_u32_e32 v11, vcc, v14, v11, vcc
	v_cmp_le_f32_e32 vcc, v15, v9
	v_cndmask_b32_e64 v14, 0, 1, vcc
	v_mov_b32_e32 v15, s21
	s_mov_b64 s[0:1], exec
	global_store_dwordx2 v[10:11], v[14:15], off
.LBB49_53:                              ;   in Loop: Header=BB49_3 Depth=1
	s_or_b64 exec, exec, s[48:49]
	s_andn2_b64 s[48:49], s[42:43], exec
	s_or_b64 s[42:43], s[42:43], exec
	s_andn2_b64 s[44:45], s[44:45], exec
	s_and_b64 s[52:53], s[0:1], exec
.LBB49_54:                              ;   in Loop: Header=BB49_3 Depth=1
	s_or_b64 exec, exec, s[46:47]
	s_and_b64 s[48:49], s[48:49], exec
	s_and_b64 s[46:47], s[42:43], exec
	;; [unrolled: 1-line block ×5, first 2 shown]
.LBB49_55:                              ;   in Loop: Header=BB49_3 Depth=1
	s_andn2_saveexec_b64 s[0:1], s[50:51]
; %bb.56:                               ;   in Loop: Header=BB49_3 Depth=1
	v_cmp_lt_i32_e32 vcc, 1, v17
	s_andn2_b64 s[50:51], s[52:53], exec
	s_and_b64 s[52:53], vcc, exec
	s_mov_b64 s[2:3], exec
	s_andn2_b64 s[48:49], s[48:49], exec
	s_andn2_b64 s[46:47], s[46:47], exec
	;; [unrolled: 1-line block ×3, first 2 shown]
	s_or_b64 s[52:53], s[50:51], s[52:53]
; %bb.57:                               ;   in Loop: Header=BB49_3 Depth=1
	s_or_b64 exec, exec, s[0:1]
	s_mov_b64 s[0:1], 0
	s_mov_b64 s[50:51], s[48:49]
	s_and_saveexec_b64 s[54:55], s[52:53]
	s_cbranch_execnz .LBB49_60
; %bb.58:                               ;   in Loop: Header=BB49_3 Depth=1
	s_or_b64 exec, exec, s[54:55]
	s_and_saveexec_b64 s[52:53], s[2:3]
	s_cbranch_execnz .LBB49_63
.LBB49_59:                              ;   in Loop: Header=BB49_3 Depth=1
	s_or_b64 exec, exec, s[52:53]
	s_and_saveexec_b64 s[2:3], s[0:1]
	s_cbranch_execnz .LBB49_64
	s_branch .LBB49_67
.LBB49_60:                              ;   in Loop: Header=BB49_3 Depth=1
	s_waitcnt vmcnt(2)
	v_cmp_le_f32_e32 vcc, 0, v7
	v_cmp_ge_f32_e64 s[0:1], 1.0, v7
	s_and_b64 s[50:51], vcc, s[0:1]
	s_mov_b64 s[0:1], 0
	s_and_saveexec_b64 s[52:53], s[50:51]
	s_xor_b64 s[50:51], exec, s[52:53]
	s_cbranch_execz .LBB49_62
; %bb.61:                               ;   in Loop: Header=BB49_3 Depth=1
	v_cvt_f32_u32_e32 v10, v13
	s_waitcnt vmcnt(1)
	v_mov_b32_e32 v9, v3
	s_waitcnt vmcnt(0)
	v_mov_b32_e32 v11, 0x2f800000
	v_lshlrev_b64 v[8:9], 3, v[8:9]
	v_fmac_f32_e32 v11, 0x2f800000, v10
	v_mov_b32_e32 v10, s13
	v_add_co_u32_e32 v8, vcc, s12, v8
	v_addc_co_u32_e32 v9, vcc, v10, v9, vcc
	v_cmp_le_f32_e32 vcc, v11, v7
	v_cndmask_b32_e64 v10, 0, 1, vcc
	v_mov_b32_e32 v11, s21
	s_mov_b64 s[0:1], exec
	global_store_dwordx2 v[8:9], v[10:11], off
.LBB49_62:                              ;   in Loop: Header=BB49_3 Depth=1
	s_or_b64 exec, exec, s[50:51]
	s_andn2_b64 s[50:51], s[48:49], exec
	s_or_b64 s[48:49], s[48:49], exec
	s_andn2_b64 s[46:47], s[46:47], exec
	s_andn2_b64 s[44:45], s[44:45], exec
	s_and_b64 s[0:1], s[0:1], exec
	s_andn2_b64 s[2:3], s[2:3], exec
	s_or_b64 exec, exec, s[54:55]
	s_and_saveexec_b64 s[52:53], s[2:3]
	s_cbranch_execz .LBB49_59
.LBB49_63:                              ;   in Loop: Header=BB49_3 Depth=1
	v_cmp_eq_u32_e32 vcc, 1, v17
	s_andn2_b64 s[0:1], s[0:1], exec
	s_and_b64 s[2:3], vcc, exec
	s_andn2_b64 s[50:51], s[50:51], exec
	s_andn2_b64 s[48:49], s[48:49], exec
	;; [unrolled: 1-line block ×4, first 2 shown]
	s_or_b64 s[42:43], s[42:43], exec
	s_or_b64 s[0:1], s[0:1], s[2:3]
	s_or_b64 exec, exec, s[52:53]
	s_and_saveexec_b64 s[2:3], s[0:1]
	s_cbranch_execz .LBB49_67
.LBB49_64:                              ;   in Loop: Header=BB49_3 Depth=1
	s_waitcnt vmcnt(3)
	v_cmp_le_f32_e32 vcc, 0, v2
	v_cmp_ge_f32_e64 s[0:1], 1.0, v2
	s_and_b64 s[54:55], vcc, s[0:1]
	s_mov_b64 s[0:1], 0
	s_and_saveexec_b64 s[52:53], s[54:55]
	s_cbranch_execz .LBB49_66
; %bb.65:                               ;   in Loop: Header=BB49_3 Depth=1
	v_cvt_f32_u32_e32 v8, v12
	s_waitcnt vmcnt(2)
	v_mov_b32_e32 v7, v3
	s_waitcnt vmcnt(1)
	v_mov_b32_e32 v9, 0x2f800000
	v_lshlrev_b64 v[6:7], 3, v[6:7]
	v_fmac_f32_e32 v9, 0x2f800000, v8
	v_mov_b32_e32 v8, s13
	v_add_co_u32_e32 v6, vcc, s12, v6
	v_addc_co_u32_e32 v7, vcc, v8, v7, vcc
	v_cmp_le_f32_e32 vcc, v9, v2
	s_mov_b64 s[0:1], exec
	v_cndmask_b32_e64 v8, 0, 1, vcc
	v_mov_b32_e32 v9, s21
	global_store_dwordx2 v[6:7], v[8:9], off
.LBB49_66:                              ;   in Loop: Header=BB49_3 Depth=1
	s_or_b64 exec, exec, s[52:53]
	s_andn2_b64 s[42:43], s[42:43], exec
	s_and_b64 s[0:1], s[0:1], exec
	s_or_b64 s[50:51], s[50:51], exec
	s_andn2_b64 s[48:49], s[48:49], exec
	s_andn2_b64 s[46:47], s[46:47], exec
	;; [unrolled: 1-line block ×3, first 2 shown]
	s_or_b64 s[42:43], s[42:43], s[0:1]
.LBB49_67:                              ;   in Loop: Header=BB49_3 Depth=1
	s_or_b64 exec, exec, s[2:3]
	s_andn2_b64 s[2:3], s[40:41], exec
	s_and_b64 s[40:41], s[50:51], exec
	s_or_b64 s[40:41], s[2:3], s[40:41]
	s_andn2_b64 s[2:3], s[38:39], exec
	s_and_b64 s[38:39], s[48:49], exec
	s_or_b64 s[38:39], s[2:3], s[38:39]
	s_andn2_b64 s[2:3], s[36:37], exec
	s_and_b64 s[36:37], s[46:47], exec
	s_or_b64 s[36:37], s[2:3], s[36:37]
	s_andn2_b64 s[2:3], s[34:35], exec
	s_and_b64 s[34:35], s[44:45], exec
	s_mov_b64 s[0:1], -1
	s_or_b64 s[34:35], s[2:3], s[34:35]
	s_and_saveexec_b64 s[2:3], s[42:43]
	s_cbranch_execz .LBB49_2
; %bb.68:                               ;   in Loop: Header=BB49_3 Depth=1
	v_add_u32_e32 v30, s59, v30
	v_cmp_le_u32_e32 vcc, s33, v30
	s_andn2_b64 s[40:41], s[40:41], exec
	s_andn2_b64 s[38:39], s[38:39], exec
	;; [unrolled: 1-line block ×4, first 2 shown]
	s_orn2_b64 s[0:1], vcc, exec
	s_branch .LBB49_2
.LBB49_69:
	s_or_b64 exec, exec, s[24:25]
	s_xor_b64 s[6:7], s[30:31], -1
	s_xor_b64 s[8:9], s[28:29], -1
	;; [unrolled: 1-line block ×3, first 2 shown]
	s_mov_b64 s[2:3], 0
	s_and_saveexec_b64 s[4:5], s[0:1]
	s_xor_b64 s[0:1], exec, s[4:5]
	s_cbranch_execnz .LBB49_74
; %bb.70:
	s_andn2_saveexec_b64 s[0:1], s[0:1]
	s_cbranch_execnz .LBB49_82
.LBB49_71:
	s_or_b64 exec, exec, s[0:1]
	s_and_b64 exec, exec, s[2:3]
.LBB49_72:
	; divergent unreachable
.LBB49_73:
	s_endpgm
.LBB49_74:
	s_mov_b64 s[4:5], 0
	s_and_saveexec_b64 s[2:3], s[8:9]
	s_xor_b64 s[2:3], exec, s[2:3]
	s_cbranch_execz .LBB49_80
; %bb.75:
	s_and_saveexec_b64 s[8:9], s[6:7]
	s_xor_b64 s[6:7], exec, s[8:9]
	s_cbranch_execz .LBB49_78
; %bb.76:
	s_and_saveexec_b64 s[8:9], s[18:19]
	s_xor_b64 s[8:9], exec, s[8:9]
	s_cbranch_execnz .LBB49_85
.LBB49_77:
	s_or_b64 exec, exec, s[8:9]
	s_and_b64 s[4:5], s[4:5], exec
.LBB49_78:
	s_andn2_saveexec_b64 s[6:7], s[6:7]
	s_cbranch_execnz .LBB49_84
.LBB49_79:
	s_or_b64 exec, exec, s[6:7]
	s_and_b64 s[4:5], s[4:5], exec
.LBB49_80:
	s_andn2_saveexec_b64 s[2:3], s[2:3]
	s_cbranch_execnz .LBB49_83
.LBB49_81:
	s_or_b64 exec, exec, s[2:3]
	s_and_b64 s[2:3], s[4:5], exec
	s_andn2_saveexec_b64 s[0:1], s[0:1]
	s_cbranch_execz .LBB49_71
.LBB49_82:
	s_or_b64 s[2:3], s[2:3], exec
	s_trap 2
	s_or_b64 exec, exec, s[0:1]
	s_and_b64 exec, exec, s[2:3]
	s_cbranch_execnz .LBB49_72
	s_branch .LBB49_73
.LBB49_83:
	s_or_b64 s[4:5], s[4:5], exec
	s_trap 2
	s_branch .LBB49_81
.LBB49_84:
	s_trap 2
	s_or_b64 s[4:5], s[4:5], exec
	s_branch .LBB49_79
.LBB49_85:
	s_mov_b64 s[4:5], exec
	s_trap 2
	s_branch .LBB49_77
	.section	.rodata,"a",@progbits
	.p2align	6, 0x0
	.amdhsa_kernel _ZN2at4cuda12_GLOBAL__N_121kernelPointwiseApply2IZNS_6native9templates4cuda28bernoulli_tensor_cuda_kernelIlfEEvRKNS_10TensorBaseES9_NS_15PhiloxCudaStateEEUliRlSB_SB_SB_RKfSD_SD_SD_E_lSC_jLi2ELin1ELi4ELi512ELi2EEEvNS0_6detail10TensorInfoIT0_T2_EENSG_IT1_SI_EESI_T_
		.amdhsa_group_segment_fixed_size 0
		.amdhsa_private_segment_fixed_size 0
		.amdhsa_kernarg_size 728
		.amdhsa_user_sgpr_count 6
		.amdhsa_user_sgpr_private_segment_buffer 1
		.amdhsa_user_sgpr_dispatch_ptr 0
		.amdhsa_user_sgpr_queue_ptr 0
		.amdhsa_user_sgpr_kernarg_segment_ptr 1
		.amdhsa_user_sgpr_dispatch_id 0
		.amdhsa_user_sgpr_flat_scratch_init 0
		.amdhsa_user_sgpr_kernarg_preload_length 0
		.amdhsa_user_sgpr_kernarg_preload_offset 0
		.amdhsa_user_sgpr_private_segment_size 0
		.amdhsa_uses_dynamic_stack 0
		.amdhsa_system_sgpr_private_segment_wavefront_offset 0
		.amdhsa_system_sgpr_workgroup_id_x 1
		.amdhsa_system_sgpr_workgroup_id_y 0
		.amdhsa_system_sgpr_workgroup_id_z 0
		.amdhsa_system_sgpr_workgroup_info 0
		.amdhsa_system_vgpr_workitem_id 0
		.amdhsa_next_free_vgpr 51
		.amdhsa_next_free_sgpr 62
		.amdhsa_accum_offset 52
		.amdhsa_reserve_vcc 1
		.amdhsa_reserve_flat_scratch 0
		.amdhsa_float_round_mode_32 0
		.amdhsa_float_round_mode_16_64 0
		.amdhsa_float_denorm_mode_32 3
		.amdhsa_float_denorm_mode_16_64 3
		.amdhsa_dx10_clamp 1
		.amdhsa_ieee_mode 1
		.amdhsa_fp16_overflow 0
		.amdhsa_tg_split 0
		.amdhsa_exception_fp_ieee_invalid_op 0
		.amdhsa_exception_fp_denorm_src 0
		.amdhsa_exception_fp_ieee_div_zero 0
		.amdhsa_exception_fp_ieee_overflow 0
		.amdhsa_exception_fp_ieee_underflow 0
		.amdhsa_exception_fp_ieee_inexact 0
		.amdhsa_exception_int_div_zero 0
	.end_amdhsa_kernel
	.section	.text._ZN2at4cuda12_GLOBAL__N_121kernelPointwiseApply2IZNS_6native9templates4cuda28bernoulli_tensor_cuda_kernelIlfEEvRKNS_10TensorBaseES9_NS_15PhiloxCudaStateEEUliRlSB_SB_SB_RKfSD_SD_SD_E_lSC_jLi2ELin1ELi4ELi512ELi2EEEvNS0_6detail10TensorInfoIT0_T2_EENSG_IT1_SI_EESI_T_,"axG",@progbits,_ZN2at4cuda12_GLOBAL__N_121kernelPointwiseApply2IZNS_6native9templates4cuda28bernoulli_tensor_cuda_kernelIlfEEvRKNS_10TensorBaseES9_NS_15PhiloxCudaStateEEUliRlSB_SB_SB_RKfSD_SD_SD_E_lSC_jLi2ELin1ELi4ELi512ELi2EEEvNS0_6detail10TensorInfoIT0_T2_EENSG_IT1_SI_EESI_T_,comdat
.Lfunc_end49:
	.size	_ZN2at4cuda12_GLOBAL__N_121kernelPointwiseApply2IZNS_6native9templates4cuda28bernoulli_tensor_cuda_kernelIlfEEvRKNS_10TensorBaseES9_NS_15PhiloxCudaStateEEUliRlSB_SB_SB_RKfSD_SD_SD_E_lSC_jLi2ELin1ELi4ELi512ELi2EEEvNS0_6detail10TensorInfoIT0_T2_EENSG_IT1_SI_EESI_T_, .Lfunc_end49-_ZN2at4cuda12_GLOBAL__N_121kernelPointwiseApply2IZNS_6native9templates4cuda28bernoulli_tensor_cuda_kernelIlfEEvRKNS_10TensorBaseES9_NS_15PhiloxCudaStateEEUliRlSB_SB_SB_RKfSD_SD_SD_E_lSC_jLi2ELin1ELi4ELi512ELi2EEEvNS0_6detail10TensorInfoIT0_T2_EENSG_IT1_SI_EESI_T_
                                        ; -- End function
	.section	.AMDGPU.csdata,"",@progbits
; Kernel info:
; codeLenInByte = 4068
; NumSgprs: 66
; NumVgprs: 51
; NumAgprs: 0
; TotalNumVgprs: 51
; ScratchSize: 0
; MemoryBound: 0
; FloatMode: 240
; IeeeMode: 1
; LDSByteSize: 0 bytes/workgroup (compile time only)
; SGPRBlocks: 8
; VGPRBlocks: 6
; NumSGPRsForWavesPerEU: 66
; NumVGPRsForWavesPerEU: 51
; AccumOffset: 52
; Occupancy: 8
; WaveLimiterHint : 1
; COMPUTE_PGM_RSRC2:SCRATCH_EN: 0
; COMPUTE_PGM_RSRC2:USER_SGPR: 6
; COMPUTE_PGM_RSRC2:TRAP_HANDLER: 0
; COMPUTE_PGM_RSRC2:TGID_X_EN: 1
; COMPUTE_PGM_RSRC2:TGID_Y_EN: 0
; COMPUTE_PGM_RSRC2:TGID_Z_EN: 0
; COMPUTE_PGM_RSRC2:TIDIG_COMP_CNT: 0
; COMPUTE_PGM_RSRC3_GFX90A:ACCUM_OFFSET: 12
; COMPUTE_PGM_RSRC3_GFX90A:TG_SPLIT: 0
	.section	.text._ZN2at4cuda12_GLOBAL__N_121kernelPointwiseApply2IZNS_6native9templates4cuda28bernoulli_tensor_cuda_kernelIlfEEvRKNS_10TensorBaseES9_NS_15PhiloxCudaStateEEUliRlSB_SB_SB_RKfSD_SD_SD_E_lSC_jLin1ELi1ELi4ELi512ELi2EEEvNS0_6detail10TensorInfoIT0_T2_EENSG_IT1_SI_EESI_T_,"axG",@progbits,_ZN2at4cuda12_GLOBAL__N_121kernelPointwiseApply2IZNS_6native9templates4cuda28bernoulli_tensor_cuda_kernelIlfEEvRKNS_10TensorBaseES9_NS_15PhiloxCudaStateEEUliRlSB_SB_SB_RKfSD_SD_SD_E_lSC_jLin1ELi1ELi4ELi512ELi2EEEvNS0_6detail10TensorInfoIT0_T2_EENSG_IT1_SI_EESI_T_,comdat
	.globl	_ZN2at4cuda12_GLOBAL__N_121kernelPointwiseApply2IZNS_6native9templates4cuda28bernoulli_tensor_cuda_kernelIlfEEvRKNS_10TensorBaseES9_NS_15PhiloxCudaStateEEUliRlSB_SB_SB_RKfSD_SD_SD_E_lSC_jLin1ELi1ELi4ELi512ELi2EEEvNS0_6detail10TensorInfoIT0_T2_EENSG_IT1_SI_EESI_T_ ; -- Begin function _ZN2at4cuda12_GLOBAL__N_121kernelPointwiseApply2IZNS_6native9templates4cuda28bernoulli_tensor_cuda_kernelIlfEEvRKNS_10TensorBaseES9_NS_15PhiloxCudaStateEEUliRlSB_SB_SB_RKfSD_SD_SD_E_lSC_jLin1ELi1ELi4ELi512ELi2EEEvNS0_6detail10TensorInfoIT0_T2_EENSG_IT1_SI_EESI_T_
	.p2align	8
	.type	_ZN2at4cuda12_GLOBAL__N_121kernelPointwiseApply2IZNS_6native9templates4cuda28bernoulli_tensor_cuda_kernelIlfEEvRKNS_10TensorBaseES9_NS_15PhiloxCudaStateEEUliRlSB_SB_SB_RKfSD_SD_SD_E_lSC_jLin1ELi1ELi4ELi512ELi2EEEvNS0_6detail10TensorInfoIT0_T2_EENSG_IT1_SI_EESI_T_,@function
_ZN2at4cuda12_GLOBAL__N_121kernelPointwiseApply2IZNS_6native9templates4cuda28bernoulli_tensor_cuda_kernelIlfEEvRKNS_10TensorBaseES9_NS_15PhiloxCudaStateEEUliRlSB_SB_SB_RKfSD_SD_SD_E_lSC_jLin1ELi1ELi4ELi512ELi2EEEvNS0_6detail10TensorInfoIT0_T2_EENSG_IT1_SI_EESI_T_: ; @_ZN2at4cuda12_GLOBAL__N_121kernelPointwiseApply2IZNS_6native9templates4cuda28bernoulli_tensor_cuda_kernelIlfEEvRKNS_10TensorBaseES9_NS_15PhiloxCudaStateEEUliRlSB_SB_SB_RKfSD_SD_SD_E_lSC_jLin1ELi1ELi4ELi512ELi2EEEvNS0_6detail10TensorInfoIT0_T2_EENSG_IT1_SI_EESI_T_
; %bb.0:
	s_load_dword s2, s[4:5], 0x1e4
	s_load_dword s33, s[4:5], 0x1b0
	s_add_u32 s0, s4, 0x1d8
	s_addc_u32 s1, s5, 0
	s_waitcnt lgkmcnt(0)
	s_and_b32 s2, s2, 0xffff
	s_mul_i32 s6, s6, s2
	v_add_u32_e32 v5, s6, v0
	v_lshlrev_b32_e32 v30, 2, v5
	v_cmp_gt_u32_e32 vcc, s33, v30
	s_and_saveexec_b64 s[6:7], vcc
	s_cbranch_execz .LBB50_65
; %bb.1:
	s_load_dword s3, s[0:1], 0x0
	s_load_dword s56, s[4:5], 0x144
	s_load_dwordx4 s[12:15], s[4:5], 0x1b8
	s_load_dwordx2 s[10:11], s[4:5], 0xd8
	s_load_dword s6, s[4:5], 0xd0
	s_waitcnt lgkmcnt(0)
	s_mul_i32 s7, s3, s2
	s_load_dwordx2 s[16:17], s[4:5], 0x1c8
	s_load_dword s2, s[4:5], 0x1d0
	s_load_dword s57, s[4:5], 0x6c
	s_mov_b32 s58, 0xcd9e8d57
	s_mov_b32 s25, 0
	s_cmp_gt_i32 s6, 1
	s_cselect_b64 s[0:1], -1, 0
	s_waitcnt lgkmcnt(0)
	s_bitcmp1_b32 s2, 0
	s_cselect_b64 s[22:23], -1, 0
	v_mad_u64_u32 v[0:1], s[2:3], v5, s58, 0
	s_add_i32 s24, s6, -1
	s_load_dwordx2 s[20:21], s[4:5], 0x0
	s_lshl_b32 s59, s7, 2
	s_add_i32 s60, s6, 1
	s_lshl_b64 s[2:3], s[24:25], 2
	s_add_u32 s2, s2, s4
	s_addc_u32 s3, s3, s5
	v_mov_b32_e32 v4, v1
	s_add_u32 s26, s2, 8
	v_cndmask_b32_e64 v1, 0, 1, s[0:1]
	v_mov_b32_e32 v3, 0
	s_addc_u32 s27, s3, 0
	s_mov_b64 s[28:29], 0
	s_mov_b32 s24, 0xd2511f53
	v_cmp_ne_u32_e64 s[0:1], 1, v1
	s_mov_b32 s61, 0xf1bbcdc8
                                        ; implicit-def: $sgpr30_sgpr31
                                        ; implicit-def: $sgpr34_sgpr35
                                        ; implicit-def: $sgpr36_sgpr37
                                        ; implicit-def: $sgpr18_sgpr19
                                        ; implicit-def: $sgpr38_sgpr39
                                        ; implicit-def: $sgpr40_sgpr41
                                        ; implicit-def: $sgpr42_sgpr43
                                        ; implicit-def: $sgpr44_sgpr45
	s_branch .LBB50_3
.LBB50_2:                               ;   in Loop: Header=BB50_3 Depth=1
	s_or_b64 exec, exec, s[4:5]
	s_and_b64 s[2:3], exec, s[2:3]
	s_or_b64 s[28:29], s[2:3], s[28:29]
	s_andn2_b64 s[2:3], s[18:19], exec
	s_and_b64 s[4:5], s[44:45], exec
	s_or_b64 s[18:19], s[2:3], s[4:5]
	s_andn2_b64 s[2:3], s[36:37], exec
	s_and_b64 s[4:5], s[42:43], exec
	;; [unrolled: 3-line block ×4, first 2 shown]
	s_or_b64 s[30:31], s[2:3], s[4:5]
	s_andn2_b64 exec, exec, s[28:29]
	s_cbranch_execz .LBB50_61
.LBB50_3:                               ; =>This Loop Header: Depth=1
                                        ;     Child Loop BB50_6 Depth 2
                                        ;     Child Loop BB50_11 Depth 2
	;; [unrolled: 1-line block ×4, first 2 shown]
	v_sub_u32_e32 v1, s33, v30
	v_cmp_lt_i32_e64 s[2:3], 0, v1
	v_mov_b32_e32 v6, 0
	s_and_saveexec_b64 s[4:5], s[2:3]
	s_cbranch_execz .LBB50_8
; %bb.4:                                ;   in Loop: Header=BB50_3 Depth=1
	s_and_b64 vcc, exec, s[0:1]
	v_mov_b32_e32 v6, 0
	s_waitcnt vmcnt(3)
	v_mov_b32_e32 v2, v30
	s_cbranch_vccnz .LBB50_7
; %bb.5:                                ;   in Loop: Header=BB50_3 Depth=1
	v_mov_b32_e32 v6, 0
	s_mov_b64 s[6:7], s[26:27]
	s_mov_b32 s8, s60
	v_mov_b32_e32 v2, v30
.LBB50_6:                               ;   Parent Loop BB50_3 Depth=1
                                        ; =>  This Inner Loop Header: Depth=2
	s_load_dword s9, s[6:7], 0x0
	s_load_dword s46, s[6:7], 0x64
	s_waitcnt vmcnt(2)
	v_mov_b32_e32 v7, v2
	s_add_i32 s8, s8, -1
	s_waitcnt lgkmcnt(0)
	v_cvt_f32_u32_e32 v2, s9
	s_sub_i32 s47, 0, s9
	s_add_u32 s6, s6, -4
	s_addc_u32 s7, s7, -1
	v_rcp_iflag_f32_e32 v2, v2
	s_cmp_gt_u32 s8, 2
	v_mul_f32_e32 v2, 0x4f7ffffe, v2
	v_cvt_u32_f32_e32 v2, v2
	v_mul_lo_u32 v8, s47, v2
	v_mul_hi_u32 v8, v2, v8
	v_add_u32_e32 v2, v2, v8
	v_mul_hi_u32 v2, v7, v2
	v_mul_lo_u32 v8, v2, s9
	v_sub_u32_e32 v8, v7, v8
	v_add_u32_e32 v9, 1, v2
	v_cmp_le_u32_e32 vcc, s9, v8
	v_cndmask_b32_e32 v2, v2, v9, vcc
	v_subrev_u32_e32 v9, s9, v8
	v_cndmask_b32_e32 v8, v8, v9, vcc
	v_add_u32_e32 v9, 1, v2
	v_cmp_le_u32_e32 vcc, s9, v8
	v_cndmask_b32_e32 v2, v2, v9, vcc
	v_mul_lo_u32 v8, v2, s9
	v_sub_u32_e32 v7, v7, v8
	v_mad_u64_u32 v[6:7], s[46:47], s46, v7, v[6:7]
	s_cbranch_scc1 .LBB50_6
.LBB50_7:                               ;   in Loop: Header=BB50_3 Depth=1
	s_waitcnt vmcnt(2)
	v_mad_u64_u32 v[6:7], s[6:7], s57, v2, v[6:7]
.LBB50_8:                               ;   in Loop: Header=BB50_3 Depth=1
	s_or_b64 exec, exec, s[4:5]
	v_cmp_lt_i32_e64 s[4:5], 1, v1
	v_pk_mov_b32 v[8:9], 0, 0
	s_and_saveexec_b64 s[6:7], s[4:5]
	s_cbranch_execz .LBB50_13
; %bb.9:                                ;   in Loop: Header=BB50_3 Depth=1
	s_waitcnt vmcnt(3)
	v_or_b32_e32 v2, 1, v30
	s_and_b64 vcc, exec, s[0:1]
	v_mov_b32_e32 v8, 0
	s_cbranch_vccnz .LBB50_12
; %bb.10:                               ;   in Loop: Header=BB50_3 Depth=1
	v_mov_b32_e32 v8, 0
	s_mov_b64 s[8:9], s[26:27]
	s_mov_b32 s46, s60
.LBB50_11:                              ;   Parent Loop BB50_3 Depth=1
                                        ; =>  This Inner Loop Header: Depth=2
	s_load_dword s47, s[8:9], 0x0
	s_load_dword s48, s[8:9], 0x64
	s_waitcnt vmcnt(2)
	v_mov_b32_e32 v7, v2
	s_add_i32 s46, s46, -1
	s_waitcnt lgkmcnt(0)
	v_cvt_f32_u32_e32 v2, s47
	s_sub_i32 s49, 0, s47
	s_add_u32 s8, s8, -4
	s_addc_u32 s9, s9, -1
	v_rcp_iflag_f32_e32 v2, v2
	s_cmp_gt_u32 s46, 2
	v_mul_f32_e32 v2, 0x4f7ffffe, v2
	v_cvt_u32_f32_e32 v2, v2
	v_mul_lo_u32 v9, s49, v2
	v_mul_hi_u32 v9, v2, v9
	v_add_u32_e32 v2, v2, v9
	v_mul_hi_u32 v2, v7, v2
	v_mul_lo_u32 v9, v2, s47
	v_sub_u32_e32 v9, v7, v9
	v_add_u32_e32 v10, 1, v2
	v_cmp_le_u32_e32 vcc, s47, v9
	v_cndmask_b32_e32 v2, v2, v10, vcc
	v_subrev_u32_e32 v10, s47, v9
	v_cndmask_b32_e32 v9, v9, v10, vcc
	v_add_u32_e32 v10, 1, v2
	v_cmp_le_u32_e32 vcc, s47, v9
	v_cndmask_b32_e32 v2, v2, v10, vcc
	v_mul_lo_u32 v9, v2, s47
	v_sub_u32_e32 v7, v7, v9
	v_mad_u64_u32 v[8:9], s[48:49], s48, v7, v[8:9]
	s_cbranch_scc1 .LBB50_11
.LBB50_12:                              ;   in Loop: Header=BB50_3 Depth=1
	v_mad_u64_u32 v[8:9], s[8:9], s57, v2, v[8:9]
	v_mov_b32_e32 v9, v3
.LBB50_13:                              ;   in Loop: Header=BB50_3 Depth=1
	s_or_b64 exec, exec, s[6:7]
	v_cmp_lt_i32_e64 s[6:7], 2, v1
	v_pk_mov_b32 v[10:11], 0, 0
	s_and_saveexec_b64 s[8:9], s[6:7]
	s_cbranch_execz .LBB50_18
; %bb.14:                               ;   in Loop: Header=BB50_3 Depth=1
	s_waitcnt vmcnt(3)
	v_or_b32_e32 v2, 2, v30
	s_and_b64 vcc, exec, s[0:1]
	v_mov_b32_e32 v10, 0
	s_cbranch_vccnz .LBB50_17
; %bb.15:                               ;   in Loop: Header=BB50_3 Depth=1
	v_mov_b32_e32 v10, 0
	s_mov_b64 s[46:47], s[26:27]
	s_mov_b32 s48, s60
.LBB50_16:                              ;   Parent Loop BB50_3 Depth=1
                                        ; =>  This Inner Loop Header: Depth=2
	s_load_dword s49, s[46:47], 0x0
	s_load_dword s50, s[46:47], 0x64
	s_waitcnt vmcnt(2)
	v_mov_b32_e32 v7, v2
	s_add_i32 s48, s48, -1
	s_waitcnt lgkmcnt(0)
	v_cvt_f32_u32_e32 v2, s49
	s_sub_i32 s51, 0, s49
	s_add_u32 s46, s46, -4
	s_addc_u32 s47, s47, -1
	v_rcp_iflag_f32_e32 v2, v2
	s_cmp_gt_u32 s48, 2
	v_mul_f32_e32 v2, 0x4f7ffffe, v2
	v_cvt_u32_f32_e32 v2, v2
	v_mul_lo_u32 v11, s51, v2
	v_mul_hi_u32 v11, v2, v11
	v_add_u32_e32 v2, v2, v11
	v_mul_hi_u32 v2, v7, v2
	v_mul_lo_u32 v11, v2, s49
	v_sub_u32_e32 v11, v7, v11
	v_add_u32_e32 v12, 1, v2
	v_cmp_le_u32_e32 vcc, s49, v11
	v_cndmask_b32_e32 v2, v2, v12, vcc
	v_subrev_u32_e32 v12, s49, v11
	v_cndmask_b32_e32 v11, v11, v12, vcc
	v_add_u32_e32 v12, 1, v2
	v_cmp_le_u32_e32 vcc, s49, v11
	v_cndmask_b32_e32 v2, v2, v12, vcc
	v_mul_lo_u32 v11, v2, s49
	v_sub_u32_e32 v7, v7, v11
	v_mad_u64_u32 v[10:11], s[50:51], s50, v7, v[10:11]
	s_cbranch_scc1 .LBB50_16
.LBB50_17:                              ;   in Loop: Header=BB50_3 Depth=1
	v_mad_u64_u32 v[10:11], s[46:47], s57, v2, v[10:11]
	v_mov_b32_e32 v11, v3
.LBB50_18:                              ;   in Loop: Header=BB50_3 Depth=1
	s_or_b64 exec, exec, s[8:9]
	v_cmp_lt_i32_e64 s[8:9], 3, v1
	v_pk_mov_b32 v[14:15], 0, 0
	s_and_saveexec_b64 s[46:47], s[8:9]
	s_cbranch_execz .LBB50_23
; %bb.19:                               ;   in Loop: Header=BB50_3 Depth=1
	s_waitcnt vmcnt(3)
	v_or_b32_e32 v2, 3, v30
	s_and_b64 vcc, exec, s[0:1]
	v_mov_b32_e32 v12, 0
	s_cbranch_vccnz .LBB50_22
; %bb.20:                               ;   in Loop: Header=BB50_3 Depth=1
	v_mov_b32_e32 v12, 0
	s_mov_b64 s[48:49], s[26:27]
	s_mov_b32 s50, s60
.LBB50_21:                              ;   Parent Loop BB50_3 Depth=1
                                        ; =>  This Inner Loop Header: Depth=2
	s_load_dword s51, s[48:49], 0x0
	s_load_dword s52, s[48:49], 0x64
	s_waitcnt vmcnt(2)
	v_mov_b32_e32 v7, v2
	s_add_i32 s50, s50, -1
	s_waitcnt lgkmcnt(0)
	v_cvt_f32_u32_e32 v2, s51
	s_sub_i32 s53, 0, s51
	s_add_u32 s48, s48, -4
	s_addc_u32 s49, s49, -1
	v_rcp_iflag_f32_e32 v2, v2
	s_cmp_gt_u32 s50, 2
	v_mul_f32_e32 v2, 0x4f7ffffe, v2
	v_cvt_u32_f32_e32 v2, v2
	v_mul_lo_u32 v13, s53, v2
	v_mul_hi_u32 v13, v2, v13
	v_add_u32_e32 v2, v2, v13
	v_mul_hi_u32 v2, v7, v2
	v_mul_lo_u32 v13, v2, s51
	v_sub_u32_e32 v13, v7, v13
	v_add_u32_e32 v14, 1, v2
	v_cmp_le_u32_e32 vcc, s51, v13
	v_cndmask_b32_e32 v2, v2, v14, vcc
	v_subrev_u32_e32 v14, s51, v13
	v_cndmask_b32_e32 v13, v13, v14, vcc
	v_add_u32_e32 v14, 1, v2
	v_cmp_le_u32_e32 vcc, s51, v13
	v_cndmask_b32_e32 v2, v2, v14, vcc
	v_mul_lo_u32 v13, v2, s51
	v_sub_u32_e32 v7, v7, v13
	v_mad_u64_u32 v[12:13], s[52:53], s52, v7, v[12:13]
	s_cbranch_scc1 .LBB50_21
.LBB50_22:                              ;   in Loop: Header=BB50_3 Depth=1
	v_mad_u64_u32 v[14:15], s[48:49], s57, v2, v[12:13]
	v_mov_b32_e32 v15, v3
.LBB50_23:                              ;   in Loop: Header=BB50_3 Depth=1
	s_or_b64 exec, exec, s[46:47]
	s_waitcnt vmcnt(3)
	v_mul_lo_u32 v2, v30, s56
	s_waitcnt vmcnt(2)
	v_add_u32_e32 v7, s56, v2
	v_cndmask_b32_e64 v2, 0, v2, s[2:3]
	v_lshlrev_b64 v[12:13], 2, v[2:3]
	v_mov_b32_e32 v22, s11
	v_add_co_u32_e32 v12, vcc, s10, v12
	v_cndmask_b32_e64 v2, 0, v7, s[4:5]
	v_add_u32_e32 v18, s56, v7
	v_addc_co_u32_e32 v13, vcc, v22, v13, vcc
	v_lshlrev_b64 v[16:17], 2, v[2:3]
	v_add_co_u32_e32 v16, vcc, s10, v16
	v_cndmask_b32_e64 v2, 0, v18, s[6:7]
	v_add_u32_e32 v20, s56, v18
	v_addc_co_u32_e32 v17, vcc, v22, v17, vcc
	v_lshlrev_b64 v[18:19], 2, v[2:3]
	v_add_co_u32_e32 v18, vcc, s10, v18
	v_cndmask_b32_e64 v2, 0, v20, s[8:9]
	v_addc_co_u32_e32 v19, vcc, v22, v19, vcc
	v_lshlrev_b64 v[20:21], 2, v[2:3]
	v_add_co_u32_e32 v20, vcc, s10, v20
	v_addc_co_u32_e32 v21, vcc, v22, v21, vcc
	global_load_dword v2, v[12:13], off
	global_load_dword v7, v[16:17], off
	;; [unrolled: 1-line block ×4, first 2 shown]
	s_andn2_b64 vcc, exec, s[22:23]
	v_pk_mov_b32 v[12:13], s[14:15], s[14:15] op_sel:[0,1]
	v_pk_mov_b32 v[16:17], s[12:13], s[12:13] op_sel:[0,1]
	s_cbranch_vccnz .LBB50_25
; %bb.24:                               ;   in Loop: Header=BB50_3 Depth=1
	v_pk_mov_b32 v[12:13], s[14:15], s[14:15] op_sel:[0,1]
	flat_load_dwordx2 v[12:13], v[12:13]
	v_pk_mov_b32 v[16:17], s[12:13], s[12:13] op_sel:[0,1]
	flat_load_dwordx2 v[16:17], v[16:17]
	v_mov_b32_e32 v18, s17
	s_waitcnt vmcnt(0) lgkmcnt(0)
	v_add_co_u32_e32 v12, vcc, s16, v12
	v_addc_co_u32_e32 v13, vcc, v13, v18, vcc
.LBB50_25:                              ;   in Loop: Header=BB50_3 Depth=1
	v_alignbit_b32 v26, v13, v12, 2
	v_lshrrev_b32_e32 v27, 2, v13
	v_xor_b32_e32 v18, v4, v16
	v_and_b32_e32 v33, 3, v12
	v_mad_u64_u32 v[12:13], s[2:3], v26, s24, 0
	v_xor_b32_e32 v18, v18, v27
	v_xor_b32_e32 v13, v13, v17
	v_add_u32_e32 v38, 0xbb67ae85, v17
	v_mad_u64_u32 v[18:19], s[2:3], v18, s24, 0
	v_mad_u64_u32 v[20:21], s[2:3], v13, s58, 0
	v_xor_b32_e32 v19, v38, v19
	v_add_u32_e32 v37, 0x9e3779b9, v16
	v_xor_b32_e32 v13, v0, v21
	v_xor_b32_e32 v19, v19, v12
	v_xor_b32_e32 v13, v13, v37
	v_add_u32_e32 v39, 0x3c6ef372, v16
	v_mad_u64_u32 v[22:23], s[2:3], v19, s58, 0
	v_add_u32_e32 v40, 0x76cf5d0a, v17
	v_mad_u64_u32 v[12:13], s[2:3], v13, s24, 0
	v_xor_b32_e32 v19, v39, v23
	v_xor_b32_e32 v19, v19, v20
	v_xor_b32_e32 v13, v40, v13
	v_xor_b32_e32 v13, v13, v18
	v_add_u32_e32 v42, 0x32370b8f, v17
	v_mad_u64_u32 v[18:19], s[2:3], v19, s24, 0
	v_add_u32_e32 v41, 0xdaa66d2b, v16
	v_mad_u64_u32 v[20:21], s[2:3], v13, s58, 0
	v_xor_b32_e32 v19, v42, v19
	;; [unrolled: 8-line block ×5, first 2 shown]
	v_xor_b32_e32 v19, v19, v20
	v_xor_b32_e32 v13, v48, v13
	;; [unrolled: 1-line block ×3, first 2 shown]
	v_add_u32_e32 v50, 0x1fd5c5a3, v17
	v_mad_u64_u32 v[18:19], s[2:3], v19, s24, 0
	v_xor_b32_e32 v19, v50, v19
	v_xor_b32_e32 v12, v19, v12
	v_add_u32_e32 v49, 0x5384540f, v16
	v_mad_u64_u32 v[24:25], s[2:3], v13, s58, 0
	v_add_co_u32_e32 v35, vcc, s61, v16
	v_mad_u64_u32 v[20:21], s[2:3], v12, s58, 0
	v_xor_b32_e32 v13, v49, v25
	v_xor_b32_e32 v12, v35, v21
	;; [unrolled: 1-line block ×4, first 2 shown]
	v_mad_u64_u32 v[22:23], s[2:3], v13, s24, 0
	v_mad_u64_u32 v[12:13], s[2:3], v12, s24, 0
	v_add_u32_e32 v36, 0x96a522ad, v17
	v_xor_b32_e32 v13, v13, v22
	v_xor_b32_e32 v34, v36, v13
	v_add_co_u32_e32 v13, vcc, 1, v26
	v_cndmask_b32_e64 v22, 0, 1, vcc
	v_addc_co_u32_e32 v28, vcc, 0, v27, vcc
	v_cmp_eq_u32_e32 vcc, 0, v28
	v_cndmask_b32_e32 v22, 0, v22, vcc
	v_add_u32_e32 v26, v22, v5
	v_cmp_eq_u32_e32 vcc, 0, v26
	v_mad_u64_u32 v[24:25], s[2:3], v13, s24, 0
	v_mad_u64_u32 v[26:27], s[2:3], v26, s58, 0
	v_add_u32_e32 v21, 0x8ff34781, v16
	v_cndmask_b32_e32 v22, 0, v22, vcc
	v_xor_b32_e32 v13, v27, v16
	v_xor_b32_e32 v16, v25, v17
	;; [unrolled: 1-line block ×4, first 2 shown]
	v_mad_u64_u32 v[28:29], s[2:3], v22, s58, 0
	v_add_u32_e32 v19, 0xdb3d7428, v17
	v_mad_u64_u32 v[16:17], s[2:3], v13, s24, 0
	v_xor_b32_e32 v13, v37, v29
	v_xor_b32_e32 v13, v13, v26
	v_xor_b32_e32 v17, v38, v17
	v_xor_b32_e32 v17, v17, v24
	v_mad_u64_u32 v[24:25], s[2:3], v13, s24, 0
	v_mad_u64_u32 v[26:27], s[2:3], v17, s58, 0
	v_xor_b32_e32 v17, v40, v25
	v_xor_b32_e32 v13, v39, v27
	v_xor_b32_e32 v22, v17, v16
	v_xor_b32_e32 v13, v13, v28
	v_mad_u64_u32 v[28:29], s[2:3], v22, s58, 0
	;; [unrolled: 6-line block ×7, first 2 shown]
	v_xor_b32_e32 v13, v19, v27
	v_xor_b32_e32 v13, v13, v16
	v_mad_u64_u32 v[28:29], s[2:3], v17, s58, 0
	v_mad_u64_u32 v[16:17], s[2:3], v13, s58, 0
	v_xor_b32_e32 v13, v17, v28
	v_xor_b32_e32 v13, v21, v13
	v_cmp_lt_i32_e32 vcc, 1, v33
                                        ; implicit-def: $vgpr17
	s_and_saveexec_b64 s[2:3], vcc
	s_xor_b64 s[2:3], exec, s[2:3]
	s_cbranch_execz .LBB50_31
; %bb.26:                               ;   in Loop: Header=BB50_3 Depth=1
	v_cmp_lt_i32_e32 vcc, 2, v33
                                        ; implicit-def: $vgpr17
	s_and_saveexec_b64 s[4:5], vcc
	s_xor_b64 s[4:5], exec, s[4:5]
; %bb.27:                               ;   in Loop: Header=BB50_3 Depth=1
	v_xor_b32_e32 v17, v35, v29
	v_xor_b32_e32 v17, v17, v24
	v_mul_hi_u32 v17, v17, s24
	v_xor_b32_e32 v17, v17, v26
	v_xor_b32_e32 v17, v36, v17
                                        ; implicit-def: $vgpr34
; %bb.28:                               ;   in Loop: Header=BB50_3 Depth=1
	s_andn2_saveexec_b64 s[4:5], s[4:5]
; %bb.29:                               ;   in Loop: Header=BB50_3 Depth=1
	v_mov_b32_e32 v17, v16
	v_mov_b32_e32 v16, v13
	;; [unrolled: 1-line block ×4, first 2 shown]
; %bb.30:                               ;   in Loop: Header=BB50_3 Depth=1
	s_or_b64 exec, exec, s[4:5]
                                        ; implicit-def: $vgpr18_vgpr19
                                        ; implicit-def: $vgpr20_vgpr21
                                        ; implicit-def: $vgpr33
                                        ; implicit-def: $vgpr34
                                        ; implicit-def: $vgpr22_vgpr23
                                        ; implicit-def: $vgpr19
                                        ; implicit-def: $vgpr21
.LBB50_31:                              ;   in Loop: Header=BB50_3 Depth=1
	s_andn2_saveexec_b64 s[2:3], s[2:3]
	s_cbranch_execz .LBB50_35
; %bb.32:                               ;   in Loop: Header=BB50_3 Depth=1
	v_xor_b32_e32 v16, v19, v23
	v_xor_b32_e32 v16, v16, v18
	v_mad_u64_u32 v[18:19], s[4:5], v16, s58, 0
	v_xor_b32_e32 v16, v19, v20
	v_xor_b32_e32 v19, v21, v16
	v_cmp_eq_u32_e32 vcc, 1, v33
	v_mov_b32_e32 v17, v12
	v_mov_b32_e32 v16, v34
	;; [unrolled: 1-line block ×3, first 2 shown]
	s_and_saveexec_b64 s[4:5], vcc
; %bb.33:                               ;   in Loop: Header=BB50_3 Depth=1
	v_mov_b32_e32 v17, v13
	v_mov_b32_e32 v16, v12
	;; [unrolled: 1-line block ×4, first 2 shown]
; %bb.34:                               ;   in Loop: Header=BB50_3 Depth=1
	s_or_b64 exec, exec, s[4:5]
	v_mov_b32_e32 v12, v19
	v_mov_b32_e32 v13, v20
.LBB50_35:                              ;   in Loop: Header=BB50_3 Depth=1
	s_or_b64 exec, exec, s[2:3]
	v_min_i32_e32 v1, 4, v1
	v_cmp_lt_i32_e32 vcc, 2, v1
	s_mov_b64 s[4:5], 0
	s_mov_b64 s[52:53], 0
	;; [unrolled: 1-line block ×3, first 2 shown]
                                        ; implicit-def: $sgpr8_sgpr9
                                        ; implicit-def: $sgpr46_sgpr47
                                        ; implicit-def: $sgpr48_sgpr49
	s_and_saveexec_b64 s[2:3], vcc
	s_xor_b64 s[50:51], exec, s[2:3]
	s_cbranch_execz .LBB50_47
; %bb.36:                               ;   in Loop: Header=BB50_3 Depth=1
	v_cmp_lt_i32_e32 vcc, 3, v1
	s_mov_b64 s[2:3], -1
	s_mov_b64 s[54:55], 0
                                        ; implicit-def: $sgpr6_sgpr7
                                        ; implicit-def: $sgpr8_sgpr9
	s_and_saveexec_b64 s[46:47], vcc
	s_cbranch_execz .LBB50_42
; %bb.37:                               ;   in Loop: Header=BB50_3 Depth=1
	v_cmp_eq_u32_e32 vcc, 4, v1
	s_mov_b64 s[2:3], 0
	s_mov_b64 s[54:55], -1
                                        ; implicit-def: $sgpr6_sgpr7
                                        ; implicit-def: $sgpr8_sgpr9
	s_and_saveexec_b64 s[48:49], vcc
	s_cbranch_execz .LBB50_41
; %bb.38:                               ;   in Loop: Header=BB50_3 Depth=1
	s_waitcnt vmcnt(0)
	v_cmp_le_f32_e32 vcc, 0, v32
	v_cmp_ge_f32_e64 s[2:3], 1.0, v32
	s_and_b64 s[54:55], vcc, s[2:3]
	s_mov_b64 s[6:7], 0
	s_mov_b64 s[2:3], 0
	s_and_saveexec_b64 s[8:9], s[54:55]
	s_cbranch_execz .LBB50_40
; %bb.39:                               ;   in Loop: Header=BB50_3 Depth=1
	v_cvt_f32_u32_e32 v17, v17
	v_mov_b32_e32 v18, 0x2f800000
	v_lshlrev_b64 v[14:15], 3, v[14:15]
	s_waitcnt lgkmcnt(0)
	v_add_co_u32_e32 v14, vcc, s20, v14
	v_fmac_f32_e32 v18, 0x2f800000, v17
	v_mov_b32_e32 v17, s21
	v_addc_co_u32_e32 v15, vcc, v17, v15, vcc
	v_cmp_le_f32_e32 vcc, v18, v32
	s_mov_b64 s[2:3], exec
	v_cndmask_b32_e64 v18, 0, 1, vcc
	v_mov_b32_e32 v19, s25
	global_store_dwordx2 v[14:15], v[18:19], off
.LBB50_40:                              ;   in Loop: Header=BB50_3 Depth=1
	s_or_b64 exec, exec, s[8:9]
	s_mov_b64 s[8:9], -1
	s_xor_b64 s[54:55], exec, -1
	s_and_b64 s[2:3], s[2:3], exec
.LBB50_41:                              ;   in Loop: Header=BB50_3 Depth=1
	s_or_b64 exec, exec, s[48:49]
	s_and_b64 s[54:55], s[54:55], exec
	s_orn2_b64 s[2:3], s[2:3], exec
.LBB50_42:                              ;   in Loop: Header=BB50_3 Depth=1
	s_or_b64 exec, exec, s[46:47]
	s_mov_b64 s[48:49], s[6:7]
	s_and_saveexec_b64 s[46:47], s[2:3]
	s_cbranch_execz .LBB50_46
; %bb.43:                               ;   in Loop: Header=BB50_3 Depth=1
	s_waitcnt vmcnt(1)
	v_cmp_le_f32_e32 vcc, 0, v31
	v_cmp_ge_f32_e64 s[2:3], 1.0, v31
	s_and_b64 s[48:49], vcc, s[2:3]
	s_mov_b64 s[2:3], 0
	s_and_saveexec_b64 s[52:53], s[48:49]
	s_xor_b64 s[48:49], exec, s[52:53]
	s_cbranch_execz .LBB50_45
; %bb.44:                               ;   in Loop: Header=BB50_3 Depth=1
	v_cvt_f32_u32_e32 v14, v16
	v_mov_b32_e32 v15, 0x2f800000
	v_lshlrev_b64 v[10:11], 3, v[10:11]
	s_waitcnt lgkmcnt(0)
	v_add_co_u32_e32 v10, vcc, s20, v10
	v_fmac_f32_e32 v15, 0x2f800000, v14
	v_mov_b32_e32 v14, s21
	v_addc_co_u32_e32 v11, vcc, v14, v11, vcc
	v_cmp_le_f32_e32 vcc, v15, v31
	v_cndmask_b32_e64 v14, 0, 1, vcc
	v_mov_b32_e32 v15, s25
	s_mov_b64 s[2:3], exec
	global_store_dwordx2 v[10:11], v[14:15], off
.LBB50_45:                              ;   in Loop: Header=BB50_3 Depth=1
	s_or_b64 exec, exec, s[48:49]
	s_andn2_b64 s[48:49], s[6:7], exec
	s_or_b64 s[6:7], s[6:7], exec
	s_andn2_b64 s[8:9], s[8:9], exec
	s_and_b64 s[52:53], s[2:3], exec
.LBB50_46:                              ;   in Loop: Header=BB50_3 Depth=1
	s_or_b64 exec, exec, s[46:47]
	s_and_b64 s[48:49], s[48:49], exec
	s_and_b64 s[46:47], s[6:7], exec
	;; [unrolled: 1-line block ×5, first 2 shown]
.LBB50_47:                              ;   in Loop: Header=BB50_3 Depth=1
	s_andn2_saveexec_b64 s[2:3], s[50:51]
; %bb.48:                               ;   in Loop: Header=BB50_3 Depth=1
	v_cmp_lt_i32_e32 vcc, 1, v1
	s_andn2_b64 s[50:51], s[52:53], exec
	s_and_b64 s[52:53], vcc, exec
	s_mov_b64 s[4:5], exec
	s_andn2_b64 s[48:49], s[48:49], exec
	s_andn2_b64 s[46:47], s[46:47], exec
	;; [unrolled: 1-line block ×3, first 2 shown]
	s_or_b64 s[52:53], s[50:51], s[52:53]
; %bb.49:                               ;   in Loop: Header=BB50_3 Depth=1
	s_or_b64 exec, exec, s[2:3]
	s_mov_b64 s[2:3], 0
	s_mov_b64 s[50:51], s[48:49]
	s_and_saveexec_b64 s[54:55], s[52:53]
	s_cbranch_execnz .LBB50_52
; %bb.50:                               ;   in Loop: Header=BB50_3 Depth=1
	s_or_b64 exec, exec, s[54:55]
	s_and_saveexec_b64 s[52:53], s[4:5]
	s_cbranch_execnz .LBB50_55
.LBB50_51:                              ;   in Loop: Header=BB50_3 Depth=1
	s_or_b64 exec, exec, s[52:53]
	s_and_saveexec_b64 s[4:5], s[2:3]
	s_cbranch_execnz .LBB50_56
	s_branch .LBB50_59
.LBB50_52:                              ;   in Loop: Header=BB50_3 Depth=1
	s_waitcnt vmcnt(2)
	v_cmp_le_f32_e32 vcc, 0, v7
	v_cmp_ge_f32_e64 s[2:3], 1.0, v7
	s_and_b64 s[50:51], vcc, s[2:3]
	s_mov_b64 s[2:3], 0
	s_and_saveexec_b64 s[52:53], s[50:51]
	s_xor_b64 s[50:51], exec, s[52:53]
	s_cbranch_execz .LBB50_54
; %bb.53:                               ;   in Loop: Header=BB50_3 Depth=1
	v_cvt_f32_u32_e32 v10, v13
	v_mov_b32_e32 v11, 0x2f800000
	v_lshlrev_b64 v[8:9], 3, v[8:9]
	s_waitcnt lgkmcnt(0)
	v_add_co_u32_e32 v8, vcc, s20, v8
	v_fmac_f32_e32 v11, 0x2f800000, v10
	v_mov_b32_e32 v10, s21
	v_addc_co_u32_e32 v9, vcc, v10, v9, vcc
	v_cmp_le_f32_e32 vcc, v11, v7
	v_cndmask_b32_e64 v10, 0, 1, vcc
	v_mov_b32_e32 v11, s25
	s_mov_b64 s[2:3], exec
	global_store_dwordx2 v[8:9], v[10:11], off
.LBB50_54:                              ;   in Loop: Header=BB50_3 Depth=1
	s_or_b64 exec, exec, s[50:51]
	s_andn2_b64 s[50:51], s[48:49], exec
	s_or_b64 s[48:49], s[48:49], exec
	s_andn2_b64 s[46:47], s[46:47], exec
	s_andn2_b64 s[8:9], s[8:9], exec
	s_and_b64 s[2:3], s[2:3], exec
	s_andn2_b64 s[4:5], s[4:5], exec
	s_or_b64 exec, exec, s[54:55]
	s_and_saveexec_b64 s[52:53], s[4:5]
	s_cbranch_execz .LBB50_51
.LBB50_55:                              ;   in Loop: Header=BB50_3 Depth=1
	v_cmp_eq_u32_e32 vcc, 1, v1
	s_andn2_b64 s[2:3], s[2:3], exec
	s_and_b64 s[4:5], vcc, exec
	s_andn2_b64 s[50:51], s[50:51], exec
	s_andn2_b64 s[48:49], s[48:49], exec
	;; [unrolled: 1-line block ×4, first 2 shown]
	s_or_b64 s[6:7], s[6:7], exec
	s_or_b64 s[2:3], s[2:3], s[4:5]
	s_or_b64 exec, exec, s[52:53]
	s_and_saveexec_b64 s[4:5], s[2:3]
	s_cbranch_execz .LBB50_59
.LBB50_56:                              ;   in Loop: Header=BB50_3 Depth=1
	s_waitcnt vmcnt(3)
	v_cmp_le_f32_e32 vcc, 0, v2
	v_cmp_ge_f32_e64 s[2:3], 1.0, v2
	s_and_b64 s[54:55], vcc, s[2:3]
	s_mov_b64 s[2:3], 0
	s_and_saveexec_b64 s[52:53], s[54:55]
	s_cbranch_execz .LBB50_58
; %bb.57:                               ;   in Loop: Header=BB50_3 Depth=1
	v_cvt_f32_u32_e32 v1, v12
	s_waitcnt vmcnt(2)
	v_mov_b32_e32 v7, v3
	v_mov_b32_e32 v8, 0x2f800000
	v_lshlrev_b64 v[6:7], 3, v[6:7]
	v_fmac_f32_e32 v8, 0x2f800000, v1
	s_waitcnt lgkmcnt(0)
	v_mov_b32_e32 v1, s21
	v_add_co_u32_e32 v6, vcc, s20, v6
	v_addc_co_u32_e32 v7, vcc, v1, v7, vcc
	v_cmp_le_f32_e32 vcc, v8, v2
	s_mov_b64 s[2:3], exec
	v_cndmask_b32_e64 v8, 0, 1, vcc
	v_mov_b32_e32 v9, s25
	global_store_dwordx2 v[6:7], v[8:9], off
.LBB50_58:                              ;   in Loop: Header=BB50_3 Depth=1
	s_or_b64 exec, exec, s[52:53]
	s_andn2_b64 s[6:7], s[6:7], exec
	s_and_b64 s[2:3], s[2:3], exec
	s_or_b64 s[50:51], s[50:51], exec
	s_andn2_b64 s[48:49], s[48:49], exec
	s_andn2_b64 s[46:47], s[46:47], exec
	;; [unrolled: 1-line block ×3, first 2 shown]
	s_or_b64 s[6:7], s[6:7], s[2:3]
.LBB50_59:                              ;   in Loop: Header=BB50_3 Depth=1
	s_or_b64 exec, exec, s[4:5]
	s_andn2_b64 s[4:5], s[44:45], exec
	s_and_b64 s[44:45], s[50:51], exec
	s_or_b64 s[44:45], s[4:5], s[44:45]
	s_andn2_b64 s[4:5], s[42:43], exec
	s_and_b64 s[42:43], s[48:49], exec
	s_or_b64 s[42:43], s[4:5], s[42:43]
	;; [unrolled: 3-line block ×3, first 2 shown]
	s_andn2_b64 s[4:5], s[38:39], exec
	s_and_b64 s[8:9], s[8:9], exec
	s_mov_b64 s[2:3], -1
	s_or_b64 s[38:39], s[4:5], s[8:9]
	s_and_saveexec_b64 s[4:5], s[6:7]
	s_cbranch_execz .LBB50_2
; %bb.60:                               ;   in Loop: Header=BB50_3 Depth=1
	v_add_u32_e32 v30, s59, v30
	v_cmp_le_u32_e32 vcc, s33, v30
	s_andn2_b64 s[44:45], s[44:45], exec
	s_andn2_b64 s[42:43], s[42:43], exec
	;; [unrolled: 1-line block ×4, first 2 shown]
	s_orn2_b64 s[2:3], vcc, exec
	s_branch .LBB50_2
.LBB50_61:
	s_or_b64 exec, exec, s[28:29]
	s_xor_b64 s[6:7], s[36:37], -1
	s_xor_b64 s[8:9], s[34:35], -1
	;; [unrolled: 1-line block ×3, first 2 shown]
	s_mov_b64 s[2:3], 0
	s_and_saveexec_b64 s[4:5], s[0:1]
	s_xor_b64 s[0:1], exec, s[4:5]
	s_cbranch_execnz .LBB50_66
; %bb.62:
	s_andn2_saveexec_b64 s[0:1], s[0:1]
	s_cbranch_execnz .LBB50_74
.LBB50_63:
	s_or_b64 exec, exec, s[0:1]
	s_and_b64 exec, exec, s[2:3]
.LBB50_64:
	; divergent unreachable
.LBB50_65:
	s_endpgm
.LBB50_66:
	s_mov_b64 s[4:5], 0
	s_and_saveexec_b64 s[2:3], s[8:9]
	s_xor_b64 s[2:3], exec, s[2:3]
	s_cbranch_execz .LBB50_72
; %bb.67:
	s_and_saveexec_b64 s[8:9], s[6:7]
	s_xor_b64 s[6:7], exec, s[8:9]
	s_cbranch_execz .LBB50_70
; %bb.68:
	s_and_saveexec_b64 s[8:9], s[18:19]
	s_xor_b64 s[8:9], exec, s[8:9]
	s_cbranch_execnz .LBB50_77
.LBB50_69:
	s_or_b64 exec, exec, s[8:9]
	s_and_b64 s[4:5], s[4:5], exec
.LBB50_70:
	s_andn2_saveexec_b64 s[6:7], s[6:7]
	s_cbranch_execnz .LBB50_76
.LBB50_71:
	s_or_b64 exec, exec, s[6:7]
	s_and_b64 s[4:5], s[4:5], exec
.LBB50_72:
	s_andn2_saveexec_b64 s[2:3], s[2:3]
	s_cbranch_execnz .LBB50_75
.LBB50_73:
	s_or_b64 exec, exec, s[2:3]
	s_and_b64 s[2:3], s[4:5], exec
	s_andn2_saveexec_b64 s[0:1], s[0:1]
	s_cbranch_execz .LBB50_63
.LBB50_74:
	s_or_b64 s[2:3], s[2:3], exec
	s_trap 2
	s_or_b64 exec, exec, s[0:1]
	s_and_b64 exec, exec, s[2:3]
	s_cbranch_execnz .LBB50_64
	s_branch .LBB50_65
.LBB50_75:
	s_or_b64 s[4:5], s[4:5], exec
	s_trap 2
	s_branch .LBB50_73
.LBB50_76:
	s_trap 2
	s_or_b64 s[4:5], s[4:5], exec
	s_branch .LBB50_71
.LBB50_77:
	s_mov_b64 s[4:5], exec
	s_trap 2
	s_branch .LBB50_69
	.section	.rodata,"a",@progbits
	.p2align	6, 0x0
	.amdhsa_kernel _ZN2at4cuda12_GLOBAL__N_121kernelPointwiseApply2IZNS_6native9templates4cuda28bernoulli_tensor_cuda_kernelIlfEEvRKNS_10TensorBaseES9_NS_15PhiloxCudaStateEEUliRlSB_SB_SB_RKfSD_SD_SD_E_lSC_jLin1ELi1ELi4ELi512ELi2EEEvNS0_6detail10TensorInfoIT0_T2_EENSG_IT1_SI_EESI_T_
		.amdhsa_group_segment_fixed_size 0
		.amdhsa_private_segment_fixed_size 0
		.amdhsa_kernarg_size 728
		.amdhsa_user_sgpr_count 6
		.amdhsa_user_sgpr_private_segment_buffer 1
		.amdhsa_user_sgpr_dispatch_ptr 0
		.amdhsa_user_sgpr_queue_ptr 0
		.amdhsa_user_sgpr_kernarg_segment_ptr 1
		.amdhsa_user_sgpr_dispatch_id 0
		.amdhsa_user_sgpr_flat_scratch_init 0
		.amdhsa_user_sgpr_kernarg_preload_length 0
		.amdhsa_user_sgpr_kernarg_preload_offset 0
		.amdhsa_user_sgpr_private_segment_size 0
		.amdhsa_uses_dynamic_stack 0
		.amdhsa_system_sgpr_private_segment_wavefront_offset 0
		.amdhsa_system_sgpr_workgroup_id_x 1
		.amdhsa_system_sgpr_workgroup_id_y 0
		.amdhsa_system_sgpr_workgroup_id_z 0
		.amdhsa_system_sgpr_workgroup_info 0
		.amdhsa_system_vgpr_workitem_id 0
		.amdhsa_next_free_vgpr 51
		.amdhsa_next_free_sgpr 62
		.amdhsa_accum_offset 52
		.amdhsa_reserve_vcc 1
		.amdhsa_reserve_flat_scratch 0
		.amdhsa_float_round_mode_32 0
		.amdhsa_float_round_mode_16_64 0
		.amdhsa_float_denorm_mode_32 3
		.amdhsa_float_denorm_mode_16_64 3
		.amdhsa_dx10_clamp 1
		.amdhsa_ieee_mode 1
		.amdhsa_fp16_overflow 0
		.amdhsa_tg_split 0
		.amdhsa_exception_fp_ieee_invalid_op 0
		.amdhsa_exception_fp_denorm_src 0
		.amdhsa_exception_fp_ieee_div_zero 0
		.amdhsa_exception_fp_ieee_overflow 0
		.amdhsa_exception_fp_ieee_underflow 0
		.amdhsa_exception_fp_ieee_inexact 0
		.amdhsa_exception_int_div_zero 0
	.end_amdhsa_kernel
	.section	.text._ZN2at4cuda12_GLOBAL__N_121kernelPointwiseApply2IZNS_6native9templates4cuda28bernoulli_tensor_cuda_kernelIlfEEvRKNS_10TensorBaseES9_NS_15PhiloxCudaStateEEUliRlSB_SB_SB_RKfSD_SD_SD_E_lSC_jLin1ELi1ELi4ELi512ELi2EEEvNS0_6detail10TensorInfoIT0_T2_EENSG_IT1_SI_EESI_T_,"axG",@progbits,_ZN2at4cuda12_GLOBAL__N_121kernelPointwiseApply2IZNS_6native9templates4cuda28bernoulli_tensor_cuda_kernelIlfEEvRKNS_10TensorBaseES9_NS_15PhiloxCudaStateEEUliRlSB_SB_SB_RKfSD_SD_SD_E_lSC_jLin1ELi1ELi4ELi512ELi2EEEvNS0_6detail10TensorInfoIT0_T2_EENSG_IT1_SI_EESI_T_,comdat
.Lfunc_end50:
	.size	_ZN2at4cuda12_GLOBAL__N_121kernelPointwiseApply2IZNS_6native9templates4cuda28bernoulli_tensor_cuda_kernelIlfEEvRKNS_10TensorBaseES9_NS_15PhiloxCudaStateEEUliRlSB_SB_SB_RKfSD_SD_SD_E_lSC_jLin1ELi1ELi4ELi512ELi2EEEvNS0_6detail10TensorInfoIT0_T2_EENSG_IT1_SI_EESI_T_, .Lfunc_end50-_ZN2at4cuda12_GLOBAL__N_121kernelPointwiseApply2IZNS_6native9templates4cuda28bernoulli_tensor_cuda_kernelIlfEEvRKNS_10TensorBaseES9_NS_15PhiloxCudaStateEEUliRlSB_SB_SB_RKfSD_SD_SD_E_lSC_jLin1ELi1ELi4ELi512ELi2EEEvNS0_6detail10TensorInfoIT0_T2_EENSG_IT1_SI_EESI_T_
                                        ; -- End function
	.section	.AMDGPU.csdata,"",@progbits
; Kernel info:
; codeLenInByte = 3540
; NumSgprs: 66
; NumVgprs: 51
; NumAgprs: 0
; TotalNumVgprs: 51
; ScratchSize: 0
; MemoryBound: 0
; FloatMode: 240
; IeeeMode: 1
; LDSByteSize: 0 bytes/workgroup (compile time only)
; SGPRBlocks: 8
; VGPRBlocks: 6
; NumSGPRsForWavesPerEU: 66
; NumVGPRsForWavesPerEU: 51
; AccumOffset: 52
; Occupancy: 8
; WaveLimiterHint : 1
; COMPUTE_PGM_RSRC2:SCRATCH_EN: 0
; COMPUTE_PGM_RSRC2:USER_SGPR: 6
; COMPUTE_PGM_RSRC2:TRAP_HANDLER: 0
; COMPUTE_PGM_RSRC2:TGID_X_EN: 1
; COMPUTE_PGM_RSRC2:TGID_Y_EN: 0
; COMPUTE_PGM_RSRC2:TGID_Z_EN: 0
; COMPUTE_PGM_RSRC2:TIDIG_COMP_CNT: 0
; COMPUTE_PGM_RSRC3_GFX90A:ACCUM_OFFSET: 12
; COMPUTE_PGM_RSRC3_GFX90A:TG_SPLIT: 0
	.section	.text._ZN2at4cuda12_GLOBAL__N_121kernelPointwiseApply2IZNS_6native9templates4cuda28bernoulli_tensor_cuda_kernelIlfEEvRKNS_10TensorBaseES9_NS_15PhiloxCudaStateEEUliRlSB_SB_SB_RKfSD_SD_SD_E_lSC_jLin1ELi2ELi4ELi512ELi2EEEvNS0_6detail10TensorInfoIT0_T2_EENSG_IT1_SI_EESI_T_,"axG",@progbits,_ZN2at4cuda12_GLOBAL__N_121kernelPointwiseApply2IZNS_6native9templates4cuda28bernoulli_tensor_cuda_kernelIlfEEvRKNS_10TensorBaseES9_NS_15PhiloxCudaStateEEUliRlSB_SB_SB_RKfSD_SD_SD_E_lSC_jLin1ELi2ELi4ELi512ELi2EEEvNS0_6detail10TensorInfoIT0_T2_EENSG_IT1_SI_EESI_T_,comdat
	.globl	_ZN2at4cuda12_GLOBAL__N_121kernelPointwiseApply2IZNS_6native9templates4cuda28bernoulli_tensor_cuda_kernelIlfEEvRKNS_10TensorBaseES9_NS_15PhiloxCudaStateEEUliRlSB_SB_SB_RKfSD_SD_SD_E_lSC_jLin1ELi2ELi4ELi512ELi2EEEvNS0_6detail10TensorInfoIT0_T2_EENSG_IT1_SI_EESI_T_ ; -- Begin function _ZN2at4cuda12_GLOBAL__N_121kernelPointwiseApply2IZNS_6native9templates4cuda28bernoulli_tensor_cuda_kernelIlfEEvRKNS_10TensorBaseES9_NS_15PhiloxCudaStateEEUliRlSB_SB_SB_RKfSD_SD_SD_E_lSC_jLin1ELi2ELi4ELi512ELi2EEEvNS0_6detail10TensorInfoIT0_T2_EENSG_IT1_SI_EESI_T_
	.p2align	8
	.type	_ZN2at4cuda12_GLOBAL__N_121kernelPointwiseApply2IZNS_6native9templates4cuda28bernoulli_tensor_cuda_kernelIlfEEvRKNS_10TensorBaseES9_NS_15PhiloxCudaStateEEUliRlSB_SB_SB_RKfSD_SD_SD_E_lSC_jLin1ELi2ELi4ELi512ELi2EEEvNS0_6detail10TensorInfoIT0_T2_EENSG_IT1_SI_EESI_T_,@function
_ZN2at4cuda12_GLOBAL__N_121kernelPointwiseApply2IZNS_6native9templates4cuda28bernoulli_tensor_cuda_kernelIlfEEvRKNS_10TensorBaseES9_NS_15PhiloxCudaStateEEUliRlSB_SB_SB_RKfSD_SD_SD_E_lSC_jLin1ELi2ELi4ELi512ELi2EEEvNS0_6detail10TensorInfoIT0_T2_EENSG_IT1_SI_EESI_T_: ; @_ZN2at4cuda12_GLOBAL__N_121kernelPointwiseApply2IZNS_6native9templates4cuda28bernoulli_tensor_cuda_kernelIlfEEvRKNS_10TensorBaseES9_NS_15PhiloxCudaStateEEUliRlSB_SB_SB_RKfSD_SD_SD_E_lSC_jLin1ELi2ELi4ELi512ELi2EEEvNS0_6detail10TensorInfoIT0_T2_EENSG_IT1_SI_EESI_T_
; %bb.0:
	s_load_dword s2, s[4:5], 0x1e4
	s_load_dword s33, s[4:5], 0x1b0
	s_add_u32 s0, s4, 0x1d8
	s_addc_u32 s1, s5, 0
	s_waitcnt lgkmcnt(0)
	s_and_b32 s2, s2, 0xffff
	s_mul_i32 s6, s6, s2
	v_add_u32_e32 v5, s6, v0
	v_lshlrev_b32_e32 v30, 2, v5
	v_cmp_gt_u32_e32 vcc, s33, v30
	s_and_saveexec_b64 s[6:7], vcc
	s_cbranch_execz .LBB51_73
; %bb.1:
	s_load_dword s58, s[4:5], 0xe4
	s_load_dwordx2 s[6:7], s[4:5], 0x144
	s_load_dword s3, s[0:1], 0x0
	s_load_dwordx2 s[12:13], s[4:5], 0xd8
	;; [unrolled: 2-line block ×3, first 2 shown]
	s_load_dwordx4 s[8:11], s[4:5], 0x1b8
	s_waitcnt lgkmcnt(0)
	v_cvt_f32_u32_e32 v0, s58
	s_mul_i32 s22, s3, s2
	s_load_dword s2, s[4:5], 0x1d0
	s_load_dword s59, s[4:5], 0x6c
	s_cmp_gt_i32 s20, 1
	v_rcp_iflag_f32_e32 v2, v0
	s_mov_b32 s60, 0xcd9e8d57
	s_cselect_b64 s[0:1], -1, 0
	s_waitcnt lgkmcnt(0)
	s_bitcmp1_b32 s2, 0
	v_mul_f32_e32 v2, 0x4f7ffffe, v2
	v_cvt_u32_f32_e32 v2, v2
	v_mad_u64_u32 v[0:1], s[2:3], v5, s60, 0
	s_cselect_b64 s[18:19], -1, 0
	s_mov_b32 s21, 0
	s_sub_i32 s2, 0, s58
	s_add_i32 s62, s20, 1
	s_add_i32 s20, s20, -1
	s_load_dwordx2 s[16:17], s[4:5], 0x0
	v_mov_b32_e32 v4, v1
	s_lshl_b32 s61, s22, 2
	v_mul_lo_u32 v1, s2, v2
	s_lshl_b64 s[2:3], s[20:21], 2
	s_add_u32 s2, s2, s4
	v_mul_hi_u32 v1, v2, v1
	s_addc_u32 s3, s3, s5
	v_add_u32_e32 v1, v2, v1
	s_add_u32 s22, s2, 8
	v_cndmask_b32_e64 v2, 0, 1, s[0:1]
	v_mov_b32_e32 v3, 0
	s_addc_u32 s23, s3, 0
	s_mov_b64 s[24:25], 0
	s_mov_b32 s20, 0xd2511f53
	v_cmp_ne_u32_e64 s[0:1], 1, v2
	s_mov_b32 s63, 0xf1bbcdc8
                                        ; implicit-def: $sgpr26_sgpr27
                                        ; implicit-def: $sgpr28_sgpr29
                                        ; implicit-def: $sgpr30_sgpr31
                                        ; implicit-def: $sgpr4_sgpr5
                                        ; implicit-def: $sgpr34_sgpr35
                                        ; implicit-def: $sgpr36_sgpr37
                                        ; implicit-def: $sgpr38_sgpr39
                                        ; implicit-def: $sgpr40_sgpr41
	s_branch .LBB51_3
.LBB51_2:                               ;   in Loop: Header=BB51_3 Depth=1
	s_or_b64 exec, exec, s[42:43]
	s_and_b64 s[2:3], exec, s[2:3]
	s_or_b64 s[24:25], s[2:3], s[24:25]
	s_andn2_b64 s[2:3], s[4:5], exec
	s_and_b64 s[4:5], s[40:41], exec
	s_or_b64 s[4:5], s[2:3], s[4:5]
	s_andn2_b64 s[2:3], s[30:31], exec
	s_and_b64 s[30:31], s[38:39], exec
	;; [unrolled: 3-line block ×4, first 2 shown]
	s_or_b64 s[26:27], s[2:3], s[26:27]
	s_andn2_b64 exec, exec, s[24:25]
	s_cbranch_execz .LBB51_69
.LBB51_3:                               ; =>This Loop Header: Depth=1
                                        ;     Child Loop BB51_6 Depth 2
                                        ;     Child Loop BB51_13 Depth 2
	;; [unrolled: 1-line block ×4, first 2 shown]
	v_sub_u32_e32 v31, s33, v30
	v_cmp_lt_i32_e64 s[2:3], 0, v31
	v_mov_b32_e32 v6, 0
	s_and_saveexec_b64 s[42:43], s[2:3]
	s_cbranch_execz .LBB51_8
; %bb.4:                                ;   in Loop: Header=BB51_3 Depth=1
	s_and_b64 vcc, exec, s[0:1]
	v_mov_b32_e32 v6, 0
	s_waitcnt vmcnt(3)
	v_mov_b32_e32 v2, v30
	s_cbranch_vccnz .LBB51_7
; %bb.5:                                ;   in Loop: Header=BB51_3 Depth=1
	v_mov_b32_e32 v6, 0
	s_mov_b64 s[44:45], s[22:23]
	s_mov_b32 s46, s62
	v_mov_b32_e32 v2, v30
.LBB51_6:                               ;   Parent Loop BB51_3 Depth=1
                                        ; =>  This Inner Loop Header: Depth=2
	s_load_dword s47, s[44:45], 0x0
	s_load_dword s48, s[44:45], 0x64
	s_waitcnt vmcnt(2)
	v_mov_b32_e32 v7, v2
	s_add_i32 s46, s46, -1
	s_waitcnt lgkmcnt(0)
	v_cvt_f32_u32_e32 v2, s47
	s_sub_i32 s49, 0, s47
	s_add_u32 s44, s44, -4
	s_addc_u32 s45, s45, -1
	v_rcp_iflag_f32_e32 v2, v2
	s_cmp_gt_u32 s46, 2
	v_mul_f32_e32 v2, 0x4f7ffffe, v2
	v_cvt_u32_f32_e32 v2, v2
	v_mul_lo_u32 v8, s49, v2
	v_mul_hi_u32 v8, v2, v8
	v_add_u32_e32 v2, v2, v8
	v_mul_hi_u32 v2, v7, v2
	v_mul_lo_u32 v8, v2, s47
	v_sub_u32_e32 v8, v7, v8
	s_waitcnt vmcnt(1)
	v_add_u32_e32 v9, 1, v2
	v_cmp_le_u32_e32 vcc, s47, v8
	v_cndmask_b32_e32 v2, v2, v9, vcc
	v_subrev_u32_e32 v9, s47, v8
	v_cndmask_b32_e32 v8, v8, v9, vcc
	v_add_u32_e32 v9, 1, v2
	v_cmp_le_u32_e32 vcc, s47, v8
	v_cndmask_b32_e32 v2, v2, v9, vcc
	v_mul_lo_u32 v8, v2, s47
	v_sub_u32_e32 v7, v7, v8
	v_mad_u64_u32 v[6:7], s[48:49], s48, v7, v[6:7]
	s_cbranch_scc1 .LBB51_6
.LBB51_7:                               ;   in Loop: Header=BB51_3 Depth=1
	s_waitcnt vmcnt(2)
	v_mad_u64_u32 v[6:7], s[44:45], s59, v2, v[6:7]
.LBB51_8:                               ;   in Loop: Header=BB51_3 Depth=1
	s_or_b64 exec, exec, s[42:43]
	v_mov_b32_e32 v8, 0
	s_waitcnt vmcnt(3)
	v_mov_b32_e32 v2, 0
	s_and_saveexec_b64 s[42:43], s[2:3]
	s_cbranch_execz .LBB51_10
; %bb.9:                                ;   in Loop: Header=BB51_3 Depth=1
	v_mul_hi_u32 v2, v30, v1
	s_waitcnt vmcnt(2)
	v_mul_lo_u32 v7, v2, s58
	v_sub_u32_e32 v7, v30, v7
	s_waitcnt vmcnt(1)
	v_add_u32_e32 v9, 1, v2
	v_cmp_le_u32_e32 vcc, s58, v7
	v_cndmask_b32_e32 v2, v2, v9, vcc
	v_subrev_u32_e32 v9, s58, v7
	v_cndmask_b32_e32 v7, v7, v9, vcc
	v_add_u32_e32 v9, 1, v2
	v_cmp_le_u32_e32 vcc, s58, v7
	v_cndmask_b32_e32 v7, v2, v9, vcc
	v_mul_lo_u32 v2, v7, s58
	v_sub_u32_e32 v2, v30, v2
	v_mul_lo_u32 v2, v2, s7
	v_mad_u64_u32 v[10:11], s[2:3], v7, s6, v[2:3]
	v_mov_b32_e32 v2, v10
.LBB51_10:                              ;   in Loop: Header=BB51_3 Depth=1
	s_or_b64 exec, exec, s[42:43]
	s_waitcnt vmcnt(2)
	v_or_b32_e32 v7, 1, v30
	v_cmp_lt_i32_e64 s[2:3], 1, v31
	s_and_saveexec_b64 s[42:43], s[2:3]
	s_cbranch_execz .LBB51_15
; %bb.11:                               ;   in Loop: Header=BB51_3 Depth=1
	s_and_b64 vcc, exec, s[0:1]
	v_mov_b32_e32 v8, 0
	v_mov_b32_e32 v10, v7
	s_cbranch_vccnz .LBB51_14
; %bb.12:                               ;   in Loop: Header=BB51_3 Depth=1
	v_mov_b32_e32 v8, 0
	s_mov_b64 s[44:45], s[22:23]
	s_mov_b32 s46, s62
	v_mov_b32_e32 v10, v7
.LBB51_13:                              ;   Parent Loop BB51_3 Depth=1
                                        ; =>  This Inner Loop Header: Depth=2
	s_load_dword s47, s[44:45], 0x0
	s_load_dword s48, s[44:45], 0x64
	s_waitcnt vmcnt(1)
	v_mov_b32_e32 v9, v10
	s_add_i32 s46, s46, -1
	s_waitcnt lgkmcnt(0)
	v_cvt_f32_u32_e32 v10, s47
	s_sub_i32 s49, 0, s47
	s_add_u32 s44, s44, -4
	s_addc_u32 s45, s45, -1
	v_rcp_iflag_f32_e32 v10, v10
	s_cmp_gt_u32 s46, 2
	v_mul_f32_e32 v10, 0x4f7ffffe, v10
	v_cvt_u32_f32_e32 v10, v10
	v_mul_lo_u32 v11, s49, v10
	v_mul_hi_u32 v11, v10, v11
	v_add_u32_e32 v10, v10, v11
	v_mul_hi_u32 v10, v9, v10
	v_mul_lo_u32 v11, v10, s47
	v_sub_u32_e32 v11, v9, v11
	v_add_u32_e32 v12, 1, v10
	v_cmp_le_u32_e32 vcc, s47, v11
	v_cndmask_b32_e32 v10, v10, v12, vcc
	v_subrev_u32_e32 v12, s47, v11
	v_cndmask_b32_e32 v11, v11, v12, vcc
	v_add_u32_e32 v12, 1, v10
	v_cmp_le_u32_e32 vcc, s47, v11
	v_cndmask_b32_e32 v10, v10, v12, vcc
	v_mul_lo_u32 v11, v10, s47
	v_sub_u32_e32 v9, v9, v11
	v_mad_u64_u32 v[8:9], s[48:49], s48, v9, v[8:9]
	s_cbranch_scc1 .LBB51_13
.LBB51_14:                              ;   in Loop: Header=BB51_3 Depth=1
	s_waitcnt vmcnt(1)
	v_mad_u64_u32 v[8:9], s[44:45], s59, v10, v[8:9]
.LBB51_15:                              ;   in Loop: Header=BB51_3 Depth=1
	s_or_b64 exec, exec, s[42:43]
	v_mov_b32_e32 v12, 0
	s_and_saveexec_b64 s[42:43], s[2:3]
	s_cbranch_execz .LBB51_17
; %bb.16:                               ;   in Loop: Header=BB51_3 Depth=1
	s_waitcnt vmcnt(1)
	v_mul_hi_u32 v9, v7, v1
	v_mul_lo_u32 v10, v9, s58
	v_sub_u32_e32 v10, v7, v10
	v_add_u32_e32 v11, 1, v9
	v_cmp_le_u32_e32 vcc, s58, v10
	v_cndmask_b32_e32 v9, v9, v11, vcc
	v_subrev_u32_e32 v11, s58, v10
	v_cndmask_b32_e32 v10, v10, v11, vcc
	v_add_u32_e32 v11, 1, v9
	v_cmp_le_u32_e32 vcc, s58, v10
	v_cndmask_b32_e32 v9, v9, v11, vcc
	v_mul_lo_u32 v10, v9, s58
	v_sub_u32_e32 v7, v7, v10
	v_mul_lo_u32 v10, v7, s7
	v_mad_u64_u32 v[12:13], s[2:3], v9, s6, v[10:11]
.LBB51_17:                              ;   in Loop: Header=BB51_3 Depth=1
	s_or_b64 exec, exec, s[42:43]
	v_or_b32_e32 v7, 2, v30
	v_cmp_lt_i32_e64 s[2:3], 2, v31
	v_pk_mov_b32 v[10:11], 0, 0
	s_and_saveexec_b64 s[42:43], s[2:3]
	s_cbranch_execz .LBB51_22
; %bb.18:                               ;   in Loop: Header=BB51_3 Depth=1
	s_and_b64 vcc, exec, s[0:1]
	v_mov_b32_e32 v10, 0
	s_waitcnt vmcnt(1)
	v_mov_b32_e32 v9, v7
	s_cbranch_vccnz .LBB51_21
; %bb.19:                               ;   in Loop: Header=BB51_3 Depth=1
	v_mov_b32_e32 v10, 0
	s_mov_b64 s[44:45], s[22:23]
	s_mov_b32 s46, s62
	v_mov_b32_e32 v9, v7
.LBB51_20:                              ;   Parent Loop BB51_3 Depth=1
                                        ; =>  This Inner Loop Header: Depth=2
	s_load_dword s47, s[44:45], 0x0
	s_load_dword s48, s[44:45], 0x64
	v_mov_b32_e32 v11, v9
	s_add_i32 s46, s46, -1
	s_waitcnt lgkmcnt(0)
	v_cvt_f32_u32_e32 v9, s47
	s_sub_i32 s49, 0, s47
	s_add_u32 s44, s44, -4
	s_addc_u32 s45, s45, -1
	v_rcp_iflag_f32_e32 v9, v9
	s_cmp_gt_u32 s46, 2
	v_mul_f32_e32 v9, 0x4f7ffffe, v9
	v_cvt_u32_f32_e32 v9, v9
	v_mul_lo_u32 v13, s49, v9
	v_mul_hi_u32 v13, v9, v13
	v_add_u32_e32 v9, v9, v13
	v_mul_hi_u32 v9, v11, v9
	v_mul_lo_u32 v13, v9, s47
	v_sub_u32_e32 v13, v11, v13
	v_add_u32_e32 v14, 1, v9
	v_cmp_le_u32_e32 vcc, s47, v13
	v_cndmask_b32_e32 v9, v9, v14, vcc
	v_subrev_u32_e32 v14, s47, v13
	v_cndmask_b32_e32 v13, v13, v14, vcc
	v_add_u32_e32 v14, 1, v9
	v_cmp_le_u32_e32 vcc, s47, v13
	v_cndmask_b32_e32 v9, v9, v14, vcc
	v_mul_lo_u32 v13, v9, s47
	v_sub_u32_e32 v11, v11, v13
	v_mad_u64_u32 v[10:11], s[48:49], s48, v11, v[10:11]
	s_cbranch_scc1 .LBB51_20
.LBB51_21:                              ;   in Loop: Header=BB51_3 Depth=1
	v_mad_u64_u32 v[10:11], s[44:45], s59, v9, v[10:11]
	v_mov_b32_e32 v11, v3
.LBB51_22:                              ;   in Loop: Header=BB51_3 Depth=1
	s_or_b64 exec, exec, s[42:43]
	v_pk_mov_b32 v[14:15], 0, 0
	v_pk_mov_b32 v[16:17], v[14:15], v[14:15] op_sel:[0,1]
	s_and_saveexec_b64 s[42:43], s[2:3]
	s_cbranch_execz .LBB51_24
; %bb.23:                               ;   in Loop: Header=BB51_3 Depth=1
	s_waitcnt vmcnt(1)
	v_mul_hi_u32 v9, v7, v1
	v_mul_lo_u32 v13, v9, s58
	v_sub_u32_e32 v13, v7, v13
	v_add_u32_e32 v16, 1, v9
	v_cmp_le_u32_e32 vcc, s58, v13
	v_cndmask_b32_e32 v9, v9, v16, vcc
	v_subrev_u32_e32 v16, s58, v13
	v_cndmask_b32_e32 v13, v13, v16, vcc
	v_add_u32_e32 v16, 1, v9
	v_cmp_le_u32_e32 vcc, s58, v13
	v_cndmask_b32_e32 v9, v9, v16, vcc
	v_mul_lo_u32 v13, v9, s58
	v_sub_u32_e32 v7, v7, v13
	v_mul_lo_u32 v16, v7, s7
	v_mad_u64_u32 v[16:17], s[2:3], v9, s6, v[16:17]
	v_mov_b32_e32 v17, v3
.LBB51_24:                              ;   in Loop: Header=BB51_3 Depth=1
	s_or_b64 exec, exec, s[42:43]
	v_or_b32_e32 v7, 3, v30
	v_cmp_lt_i32_e64 s[2:3], 3, v31
	s_and_saveexec_b64 s[42:43], s[2:3]
	s_cbranch_execz .LBB51_29
; %bb.25:                               ;   in Loop: Header=BB51_3 Depth=1
	s_and_b64 vcc, exec, s[0:1]
	v_mov_b32_e32 v14, 0
	s_waitcnt vmcnt(1)
	v_mov_b32_e32 v9, v7
	s_cbranch_vccnz .LBB51_28
; %bb.26:                               ;   in Loop: Header=BB51_3 Depth=1
	v_mov_b32_e32 v14, 0
	s_mov_b64 s[44:45], s[22:23]
	s_mov_b32 s46, s62
	v_mov_b32_e32 v9, v7
.LBB51_27:                              ;   Parent Loop BB51_3 Depth=1
                                        ; =>  This Inner Loop Header: Depth=2
	s_load_dword s47, s[44:45], 0x0
	s_load_dword s48, s[44:45], 0x64
	v_mov_b32_e32 v13, v9
	s_add_i32 s46, s46, -1
	s_waitcnt lgkmcnt(0)
	v_cvt_f32_u32_e32 v9, s47
	s_sub_i32 s49, 0, s47
	s_add_u32 s44, s44, -4
	s_addc_u32 s45, s45, -1
	v_rcp_iflag_f32_e32 v9, v9
	s_cmp_gt_u32 s46, 2
	v_mul_f32_e32 v9, 0x4f7ffffe, v9
	v_cvt_u32_f32_e32 v9, v9
	v_mul_lo_u32 v15, s49, v9
	v_mul_hi_u32 v15, v9, v15
	v_add_u32_e32 v9, v9, v15
	v_mul_hi_u32 v9, v13, v9
	v_mul_lo_u32 v15, v9, s47
	v_sub_u32_e32 v15, v13, v15
	v_add_u32_e32 v18, 1, v9
	v_cmp_le_u32_e32 vcc, s47, v15
	v_cndmask_b32_e32 v9, v9, v18, vcc
	v_subrev_u32_e32 v18, s47, v15
	v_cndmask_b32_e32 v15, v15, v18, vcc
	v_add_u32_e32 v18, 1, v9
	v_cmp_le_u32_e32 vcc, s47, v15
	v_cndmask_b32_e32 v9, v9, v18, vcc
	v_mul_lo_u32 v15, v9, s47
	v_sub_u32_e32 v13, v13, v15
	v_mad_u64_u32 v[14:15], s[48:49], s48, v13, v[14:15]
	s_cbranch_scc1 .LBB51_27
.LBB51_28:                              ;   in Loop: Header=BB51_3 Depth=1
	v_mad_u64_u32 v[14:15], s[44:45], s59, v9, v[14:15]
	v_mov_b32_e32 v15, v3
.LBB51_29:                              ;   in Loop: Header=BB51_3 Depth=1
	s_or_b64 exec, exec, s[42:43]
	v_pk_mov_b32 v[18:19], 0, 0
	s_and_saveexec_b64 s[42:43], s[2:3]
	s_cbranch_execz .LBB51_31
; %bb.30:                               ;   in Loop: Header=BB51_3 Depth=1
	s_waitcnt vmcnt(1)
	v_mul_hi_u32 v9, v7, v1
	v_mul_lo_u32 v13, v9, s58
	v_sub_u32_e32 v13, v7, v13
	v_add_u32_e32 v18, 1, v9
	v_cmp_le_u32_e32 vcc, s58, v13
	v_cndmask_b32_e32 v9, v9, v18, vcc
	v_subrev_u32_e32 v18, s58, v13
	v_cndmask_b32_e32 v13, v13, v18, vcc
	v_add_u32_e32 v18, 1, v9
	v_cmp_le_u32_e32 vcc, s58, v13
	v_cndmask_b32_e32 v9, v9, v18, vcc
	v_mul_lo_u32 v13, v9, s58
	v_sub_u32_e32 v7, v7, v13
	v_mul_lo_u32 v18, v7, s7
	v_mad_u64_u32 v[18:19], s[2:3], v9, s6, v[18:19]
	v_mov_b32_e32 v19, v3
.LBB51_31:                              ;   in Loop: Header=BB51_3 Depth=1
	s_or_b64 exec, exec, s[42:43]
	v_lshlrev_b64 v[20:21], 2, v[2:3]
	v_mov_b32_e32 v2, s13
	v_add_co_u32_e32 v20, vcc, s12, v20
	v_mov_b32_e32 v13, v3
	v_addc_co_u32_e32 v21, vcc, v2, v21, vcc
	v_lshlrev_b64 v[12:13], 2, v[12:13]
	v_add_co_u32_e32 v12, vcc, s12, v12
	v_addc_co_u32_e32 v13, vcc, v2, v13, vcc
	v_lshlrev_b64 v[16:17], 2, v[16:17]
	v_add_co_u32_e32 v16, vcc, s12, v16
	v_addc_co_u32_e32 v17, vcc, v2, v17, vcc
	v_lshlrev_b64 v[18:19], 2, v[18:19]
	v_add_co_u32_e32 v18, vcc, s12, v18
	v_addc_co_u32_e32 v19, vcc, v2, v19, vcc
	global_load_dword v2, v[20:21], off
	global_load_dword v7, v[12:13], off
	;; [unrolled: 1-line block ×4, first 2 shown]
	s_andn2_b64 vcc, exec, s[18:19]
	v_pk_mov_b32 v[12:13], s[10:11], s[10:11] op_sel:[0,1]
	v_pk_mov_b32 v[16:17], s[8:9], s[8:9] op_sel:[0,1]
	s_cbranch_vccnz .LBB51_33
; %bb.32:                               ;   in Loop: Header=BB51_3 Depth=1
	v_pk_mov_b32 v[12:13], s[10:11], s[10:11] op_sel:[0,1]
	flat_load_dwordx2 v[12:13], v[12:13]
	v_pk_mov_b32 v[16:17], s[8:9], s[8:9] op_sel:[0,1]
	flat_load_dwordx2 v[16:17], v[16:17]
	v_mov_b32_e32 v18, s15
	s_waitcnt vmcnt(0) lgkmcnt(0)
	v_add_co_u32_e32 v12, vcc, s14, v12
	v_addc_co_u32_e32 v13, vcc, v13, v18, vcc
.LBB51_33:                              ;   in Loop: Header=BB51_3 Depth=1
	v_alignbit_b32 v26, v13, v12, 2
	v_lshrrev_b32_e32 v27, 2, v13
	v_xor_b32_e32 v18, v4, v16
	v_and_b32_e32 v33, 3, v12
	v_mad_u64_u32 v[12:13], s[2:3], v26, s20, 0
	v_xor_b32_e32 v18, v18, v27
	v_xor_b32_e32 v13, v13, v17
	v_add_u32_e32 v38, 0xbb67ae85, v17
	v_mad_u64_u32 v[18:19], s[2:3], v18, s20, 0
	v_mad_u64_u32 v[20:21], s[2:3], v13, s60, 0
	v_xor_b32_e32 v19, v38, v19
	v_add_u32_e32 v37, 0x9e3779b9, v16
	v_xor_b32_e32 v13, v0, v21
	v_xor_b32_e32 v19, v19, v12
	v_xor_b32_e32 v13, v13, v37
	v_add_u32_e32 v39, 0x3c6ef372, v16
	v_mad_u64_u32 v[22:23], s[2:3], v19, s60, 0
	v_add_u32_e32 v40, 0x76cf5d0a, v17
	v_mad_u64_u32 v[12:13], s[2:3], v13, s20, 0
	v_xor_b32_e32 v19, v39, v23
	v_xor_b32_e32 v19, v19, v20
	v_xor_b32_e32 v13, v40, v13
	v_xor_b32_e32 v13, v13, v18
	v_add_u32_e32 v42, 0x32370b8f, v17
	v_mad_u64_u32 v[18:19], s[2:3], v19, s20, 0
	v_add_u32_e32 v41, 0xdaa66d2b, v16
	v_mad_u64_u32 v[20:21], s[2:3], v13, s60, 0
	v_xor_b32_e32 v19, v42, v19
	;; [unrolled: 8-line block ×5, first 2 shown]
	v_xor_b32_e32 v19, v19, v20
	v_xor_b32_e32 v13, v48, v13
	;; [unrolled: 1-line block ×3, first 2 shown]
	v_add_u32_e32 v50, 0x1fd5c5a3, v17
	v_mad_u64_u32 v[18:19], s[2:3], v19, s20, 0
	v_xor_b32_e32 v19, v50, v19
	v_xor_b32_e32 v12, v19, v12
	v_add_u32_e32 v49, 0x5384540f, v16
	v_mad_u64_u32 v[24:25], s[2:3], v13, s60, 0
	v_add_co_u32_e32 v35, vcc, s63, v16
	v_mad_u64_u32 v[20:21], s[2:3], v12, s60, 0
	v_xor_b32_e32 v13, v49, v25
	v_xor_b32_e32 v12, v35, v21
	;; [unrolled: 1-line block ×4, first 2 shown]
	v_mad_u64_u32 v[22:23], s[2:3], v13, s20, 0
	v_mad_u64_u32 v[12:13], s[2:3], v12, s20, 0
	v_add_u32_e32 v36, 0x96a522ad, v17
	v_xor_b32_e32 v13, v13, v22
	v_xor_b32_e32 v34, v36, v13
	v_add_co_u32_e32 v13, vcc, 1, v26
	v_cndmask_b32_e64 v22, 0, 1, vcc
	v_addc_co_u32_e32 v28, vcc, 0, v27, vcc
	v_cmp_eq_u32_e32 vcc, 0, v28
	v_cndmask_b32_e32 v22, 0, v22, vcc
	v_add_u32_e32 v26, v22, v5
	v_cmp_eq_u32_e32 vcc, 0, v26
	v_mad_u64_u32 v[24:25], s[2:3], v13, s20, 0
	v_mad_u64_u32 v[26:27], s[2:3], v26, s60, 0
	v_add_u32_e32 v21, 0x8ff34781, v16
	v_cndmask_b32_e32 v22, 0, v22, vcc
	v_xor_b32_e32 v13, v27, v16
	v_xor_b32_e32 v16, v25, v17
	;; [unrolled: 1-line block ×4, first 2 shown]
	v_mad_u64_u32 v[28:29], s[2:3], v22, s60, 0
	v_add_u32_e32 v19, 0xdb3d7428, v17
	v_mad_u64_u32 v[16:17], s[2:3], v13, s20, 0
	v_xor_b32_e32 v13, v37, v29
	v_xor_b32_e32 v13, v13, v26
	v_xor_b32_e32 v17, v38, v17
	v_xor_b32_e32 v17, v17, v24
	v_mad_u64_u32 v[24:25], s[2:3], v13, s20, 0
	v_mad_u64_u32 v[26:27], s[2:3], v17, s60, 0
	v_xor_b32_e32 v17, v40, v25
	v_xor_b32_e32 v13, v39, v27
	v_xor_b32_e32 v22, v17, v16
	v_xor_b32_e32 v13, v13, v28
	v_mad_u64_u32 v[28:29], s[2:3], v22, s60, 0
	;; [unrolled: 6-line block ×7, first 2 shown]
	v_xor_b32_e32 v13, v19, v27
	v_xor_b32_e32 v13, v13, v16
	v_mad_u64_u32 v[28:29], s[2:3], v17, s60, 0
	v_mad_u64_u32 v[16:17], s[2:3], v13, s60, 0
	v_xor_b32_e32 v13, v17, v28
	v_xor_b32_e32 v13, v21, v13
	v_cmp_lt_i32_e32 vcc, 1, v33
                                        ; implicit-def: $vgpr25
	s_and_saveexec_b64 s[2:3], vcc
	s_xor_b64 s[2:3], exec, s[2:3]
	s_cbranch_execz .LBB51_39
; %bb.34:                               ;   in Loop: Header=BB51_3 Depth=1
	v_cmp_lt_i32_e32 vcc, 2, v33
                                        ; implicit-def: $vgpr25
	s_and_saveexec_b64 s[42:43], vcc
	s_xor_b64 s[42:43], exec, s[42:43]
; %bb.35:                               ;   in Loop: Header=BB51_3 Depth=1
	v_xor_b32_e32 v17, v35, v29
	v_xor_b32_e32 v17, v17, v24
	v_mul_hi_u32 v17, v17, s20
	v_xor_b32_e32 v17, v17, v26
	v_xor_b32_e32 v25, v36, v17
                                        ; implicit-def: $vgpr34
; %bb.36:                               ;   in Loop: Header=BB51_3 Depth=1
	s_andn2_saveexec_b64 s[42:43], s[42:43]
; %bb.37:                               ;   in Loop: Header=BB51_3 Depth=1
	v_mov_b32_e32 v25, v16
	v_mov_b32_e32 v16, v13
	;; [unrolled: 1-line block ×4, first 2 shown]
; %bb.38:                               ;   in Loop: Header=BB51_3 Depth=1
	s_or_b64 exec, exec, s[42:43]
                                        ; implicit-def: $vgpr18_vgpr19
                                        ; implicit-def: $vgpr20_vgpr21
                                        ; implicit-def: $vgpr33
                                        ; implicit-def: $vgpr34
                                        ; implicit-def: $vgpr22_vgpr23
                                        ; implicit-def: $vgpr19
                                        ; implicit-def: $vgpr21
.LBB51_39:                              ;   in Loop: Header=BB51_3 Depth=1
	s_andn2_saveexec_b64 s[2:3], s[2:3]
	s_cbranch_execz .LBB51_43
; %bb.40:                               ;   in Loop: Header=BB51_3 Depth=1
	v_xor_b32_e32 v16, v19, v23
	v_xor_b32_e32 v16, v16, v18
	v_mad_u64_u32 v[18:19], s[42:43], v16, s60, 0
	v_xor_b32_e32 v16, v19, v20
	v_xor_b32_e32 v17, v21, v16
	v_cmp_eq_u32_e32 vcc, 1, v33
	v_mov_b32_e32 v25, v12
	v_mov_b32_e32 v16, v34
	;; [unrolled: 1-line block ×3, first 2 shown]
	s_and_saveexec_b64 s[42:43], vcc
; %bb.41:                               ;   in Loop: Header=BB51_3 Depth=1
	v_mov_b32_e32 v25, v13
	v_mov_b32_e32 v16, v12
	;; [unrolled: 1-line block ×4, first 2 shown]
; %bb.42:                               ;   in Loop: Header=BB51_3 Depth=1
	s_or_b64 exec, exec, s[42:43]
	v_mov_b32_e32 v12, v17
	v_mov_b32_e32 v13, v19
.LBB51_43:                              ;   in Loop: Header=BB51_3 Depth=1
	s_or_b64 exec, exec, s[2:3]
	v_min_i32_e32 v17, 4, v31
	v_cmp_lt_i32_e32 vcc, 2, v17
	s_mov_b64 s[42:43], 0
	s_mov_b64 s[54:55], 0
	;; [unrolled: 1-line block ×3, first 2 shown]
                                        ; implicit-def: $sgpr46_sgpr47
                                        ; implicit-def: $sgpr48_sgpr49
                                        ; implicit-def: $sgpr50_sgpr51
	s_and_saveexec_b64 s[2:3], vcc
	s_xor_b64 s[52:53], exec, s[2:3]
	s_cbranch_execz .LBB51_55
; %bb.44:                               ;   in Loop: Header=BB51_3 Depth=1
	v_cmp_lt_i32_e32 vcc, 3, v17
	s_mov_b64 s[2:3], -1
	s_mov_b64 s[56:57], 0
                                        ; implicit-def: $sgpr44_sgpr45
                                        ; implicit-def: $sgpr46_sgpr47
	s_and_saveexec_b64 s[48:49], vcc
	s_cbranch_execz .LBB51_50
; %bb.45:                               ;   in Loop: Header=BB51_3 Depth=1
	v_cmp_eq_u32_e32 vcc, 4, v17
	s_mov_b64 s[2:3], 0
	s_mov_b64 s[56:57], -1
                                        ; implicit-def: $sgpr44_sgpr45
                                        ; implicit-def: $sgpr46_sgpr47
	s_and_saveexec_b64 s[50:51], vcc
	s_cbranch_execz .LBB51_49
; %bb.46:                               ;   in Loop: Header=BB51_3 Depth=1
	s_waitcnt vmcnt(0)
	v_cmp_le_f32_e32 vcc, 0, v32
	v_cmp_ge_f32_e64 s[2:3], 1.0, v32
	s_and_b64 s[56:57], vcc, s[2:3]
	s_mov_b64 s[44:45], 0
	s_mov_b64 s[2:3], 0
	s_and_saveexec_b64 s[46:47], s[56:57]
	s_cbranch_execz .LBB51_48
; %bb.47:                               ;   in Loop: Header=BB51_3 Depth=1
	v_cvt_f32_u32_e32 v18, v25
	v_mov_b32_e32 v19, 0x2f800000
	v_lshlrev_b64 v[14:15], 3, v[14:15]
	s_waitcnt lgkmcnt(0)
	v_add_co_u32_e32 v14, vcc, s16, v14
	v_fmac_f32_e32 v19, 0x2f800000, v18
	v_mov_b32_e32 v18, s17
	v_addc_co_u32_e32 v15, vcc, v18, v15, vcc
	v_cmp_le_f32_e32 vcc, v19, v32
	s_mov_b64 s[2:3], exec
	v_cndmask_b32_e64 v18, 0, 1, vcc
	v_mov_b32_e32 v19, s21
	global_store_dwordx2 v[14:15], v[18:19], off
.LBB51_48:                              ;   in Loop: Header=BB51_3 Depth=1
	s_or_b64 exec, exec, s[46:47]
	s_mov_b64 s[46:47], -1
	s_xor_b64 s[56:57], exec, -1
	s_and_b64 s[2:3], s[2:3], exec
.LBB51_49:                              ;   in Loop: Header=BB51_3 Depth=1
	s_or_b64 exec, exec, s[50:51]
	s_and_b64 s[56:57], s[56:57], exec
	s_orn2_b64 s[2:3], s[2:3], exec
.LBB51_50:                              ;   in Loop: Header=BB51_3 Depth=1
	s_or_b64 exec, exec, s[48:49]
	s_mov_b64 s[50:51], s[44:45]
	s_and_saveexec_b64 s[48:49], s[2:3]
	s_cbranch_execz .LBB51_54
; %bb.51:                               ;   in Loop: Header=BB51_3 Depth=1
	s_waitcnt vmcnt(1)
	v_cmp_le_f32_e32 vcc, 0, v9
	v_cmp_ge_f32_e64 s[2:3], 1.0, v9
	s_and_b64 s[50:51], vcc, s[2:3]
	s_mov_b64 s[2:3], 0
	s_and_saveexec_b64 s[54:55], s[50:51]
	s_xor_b64 s[50:51], exec, s[54:55]
	s_cbranch_execz .LBB51_53
; %bb.52:                               ;   in Loop: Header=BB51_3 Depth=1
	v_cvt_f32_u32_e32 v14, v16
	v_mov_b32_e32 v15, 0x2f800000
	v_lshlrev_b64 v[10:11], 3, v[10:11]
	s_waitcnt lgkmcnt(0)
	v_add_co_u32_e32 v10, vcc, s16, v10
	v_fmac_f32_e32 v15, 0x2f800000, v14
	v_mov_b32_e32 v14, s17
	v_addc_co_u32_e32 v11, vcc, v14, v11, vcc
	v_cmp_le_f32_e32 vcc, v15, v9
	v_cndmask_b32_e64 v14, 0, 1, vcc
	v_mov_b32_e32 v15, s21
	s_mov_b64 s[2:3], exec
	global_store_dwordx2 v[10:11], v[14:15], off
.LBB51_53:                              ;   in Loop: Header=BB51_3 Depth=1
	s_or_b64 exec, exec, s[50:51]
	s_andn2_b64 s[50:51], s[44:45], exec
	s_or_b64 s[44:45], s[44:45], exec
	s_andn2_b64 s[46:47], s[46:47], exec
	s_and_b64 s[54:55], s[2:3], exec
.LBB51_54:                              ;   in Loop: Header=BB51_3 Depth=1
	s_or_b64 exec, exec, s[48:49]
	s_and_b64 s[50:51], s[50:51], exec
	s_and_b64 s[48:49], s[44:45], exec
	;; [unrolled: 1-line block ×5, first 2 shown]
.LBB51_55:                              ;   in Loop: Header=BB51_3 Depth=1
	s_andn2_saveexec_b64 s[2:3], s[52:53]
; %bb.56:                               ;   in Loop: Header=BB51_3 Depth=1
	v_cmp_lt_i32_e32 vcc, 1, v17
	s_andn2_b64 s[52:53], s[54:55], exec
	s_and_b64 s[54:55], vcc, exec
	s_mov_b64 s[42:43], exec
	s_andn2_b64 s[50:51], s[50:51], exec
	s_andn2_b64 s[48:49], s[48:49], exec
	;; [unrolled: 1-line block ×3, first 2 shown]
	s_or_b64 s[54:55], s[52:53], s[54:55]
; %bb.57:                               ;   in Loop: Header=BB51_3 Depth=1
	s_or_b64 exec, exec, s[2:3]
	s_mov_b64 s[2:3], 0
	s_mov_b64 s[52:53], s[50:51]
	s_and_saveexec_b64 s[56:57], s[54:55]
	s_cbranch_execnz .LBB51_60
; %bb.58:                               ;   in Loop: Header=BB51_3 Depth=1
	s_or_b64 exec, exec, s[56:57]
	s_and_saveexec_b64 s[54:55], s[42:43]
	s_cbranch_execnz .LBB51_63
.LBB51_59:                              ;   in Loop: Header=BB51_3 Depth=1
	s_or_b64 exec, exec, s[54:55]
	s_and_saveexec_b64 s[42:43], s[2:3]
	s_cbranch_execnz .LBB51_64
	s_branch .LBB51_67
.LBB51_60:                              ;   in Loop: Header=BB51_3 Depth=1
	s_waitcnt vmcnt(2)
	v_cmp_le_f32_e32 vcc, 0, v7
	v_cmp_ge_f32_e64 s[2:3], 1.0, v7
	s_and_b64 s[52:53], vcc, s[2:3]
	s_mov_b64 s[2:3], 0
	s_and_saveexec_b64 s[54:55], s[52:53]
	s_xor_b64 s[52:53], exec, s[54:55]
	s_cbranch_execz .LBB51_62
; %bb.61:                               ;   in Loop: Header=BB51_3 Depth=1
	v_cvt_f32_u32_e32 v10, v13
	s_waitcnt vmcnt(1)
	v_mov_b32_e32 v9, v3
	v_mov_b32_e32 v11, 0x2f800000
	v_lshlrev_b64 v[8:9], 3, v[8:9]
	v_fmac_f32_e32 v11, 0x2f800000, v10
	s_waitcnt lgkmcnt(0)
	v_mov_b32_e32 v10, s17
	v_add_co_u32_e32 v8, vcc, s16, v8
	v_addc_co_u32_e32 v9, vcc, v10, v9, vcc
	v_cmp_le_f32_e32 vcc, v11, v7
	v_cndmask_b32_e64 v10, 0, 1, vcc
	v_mov_b32_e32 v11, s21
	s_mov_b64 s[2:3], exec
	global_store_dwordx2 v[8:9], v[10:11], off
.LBB51_62:                              ;   in Loop: Header=BB51_3 Depth=1
	s_or_b64 exec, exec, s[52:53]
	s_andn2_b64 s[52:53], s[50:51], exec
	s_or_b64 s[50:51], s[50:51], exec
	s_andn2_b64 s[48:49], s[48:49], exec
	s_andn2_b64 s[46:47], s[46:47], exec
	s_and_b64 s[2:3], s[2:3], exec
	s_andn2_b64 s[42:43], s[42:43], exec
	s_or_b64 exec, exec, s[56:57]
	s_and_saveexec_b64 s[54:55], s[42:43]
	s_cbranch_execz .LBB51_59
.LBB51_63:                              ;   in Loop: Header=BB51_3 Depth=1
	v_cmp_eq_u32_e32 vcc, 1, v17
	s_andn2_b64 s[2:3], s[2:3], exec
	s_and_b64 s[42:43], vcc, exec
	s_andn2_b64 s[52:53], s[52:53], exec
	s_andn2_b64 s[50:51], s[50:51], exec
	;; [unrolled: 1-line block ×4, first 2 shown]
	s_or_b64 s[44:45], s[44:45], exec
	s_or_b64 s[2:3], s[2:3], s[42:43]
	s_or_b64 exec, exec, s[54:55]
	s_and_saveexec_b64 s[42:43], s[2:3]
	s_cbranch_execz .LBB51_67
.LBB51_64:                              ;   in Loop: Header=BB51_3 Depth=1
	s_waitcnt vmcnt(3)
	v_cmp_le_f32_e32 vcc, 0, v2
	v_cmp_ge_f32_e64 s[2:3], 1.0, v2
	s_and_b64 s[56:57], vcc, s[2:3]
	s_mov_b64 s[2:3], 0
	s_and_saveexec_b64 s[54:55], s[56:57]
	s_cbranch_execz .LBB51_66
; %bb.65:                               ;   in Loop: Header=BB51_3 Depth=1
	v_cvt_f32_u32_e32 v8, v12
	s_waitcnt vmcnt(2)
	v_mov_b32_e32 v7, v3
	s_waitcnt vmcnt(1)
	v_mov_b32_e32 v9, 0x2f800000
	v_lshlrev_b64 v[6:7], 3, v[6:7]
	v_fmac_f32_e32 v9, 0x2f800000, v8
	s_waitcnt lgkmcnt(0)
	v_mov_b32_e32 v8, s17
	v_add_co_u32_e32 v6, vcc, s16, v6
	v_addc_co_u32_e32 v7, vcc, v8, v7, vcc
	v_cmp_le_f32_e32 vcc, v9, v2
	s_mov_b64 s[2:3], exec
	v_cndmask_b32_e64 v8, 0, 1, vcc
	v_mov_b32_e32 v9, s21
	global_store_dwordx2 v[6:7], v[8:9], off
.LBB51_66:                              ;   in Loop: Header=BB51_3 Depth=1
	s_or_b64 exec, exec, s[54:55]
	s_andn2_b64 s[44:45], s[44:45], exec
	s_and_b64 s[2:3], s[2:3], exec
	s_or_b64 s[52:53], s[52:53], exec
	s_andn2_b64 s[50:51], s[50:51], exec
	s_andn2_b64 s[48:49], s[48:49], exec
	;; [unrolled: 1-line block ×3, first 2 shown]
	s_or_b64 s[44:45], s[44:45], s[2:3]
.LBB51_67:                              ;   in Loop: Header=BB51_3 Depth=1
	s_or_b64 exec, exec, s[42:43]
	s_andn2_b64 s[40:41], s[40:41], exec
	s_and_b64 s[42:43], s[52:53], exec
	s_or_b64 s[40:41], s[40:41], s[42:43]
	s_andn2_b64 s[38:39], s[38:39], exec
	s_and_b64 s[42:43], s[50:51], exec
	s_or_b64 s[38:39], s[38:39], s[42:43]
	;; [unrolled: 3-line block ×3, first 2 shown]
	s_andn2_b64 s[34:35], s[34:35], exec
	s_and_b64 s[42:43], s[46:47], exec
	s_mov_b64 s[2:3], -1
	s_or_b64 s[34:35], s[34:35], s[42:43]
	s_and_saveexec_b64 s[42:43], s[44:45]
	s_cbranch_execz .LBB51_2
; %bb.68:                               ;   in Loop: Header=BB51_3 Depth=1
	v_add_u32_e32 v30, s61, v30
	v_cmp_le_u32_e32 vcc, s33, v30
	s_andn2_b64 s[40:41], s[40:41], exec
	s_andn2_b64 s[38:39], s[38:39], exec
	;; [unrolled: 1-line block ×4, first 2 shown]
	s_orn2_b64 s[2:3], vcc, exec
	s_branch .LBB51_2
.LBB51_69:
	s_or_b64 exec, exec, s[24:25]
	s_xor_b64 s[8:9], s[30:31], -1
	s_xor_b64 s[10:11], s[28:29], -1
	;; [unrolled: 1-line block ×3, first 2 shown]
	s_mov_b64 s[2:3], 0
	s_and_saveexec_b64 s[6:7], s[0:1]
	s_xor_b64 s[0:1], exec, s[6:7]
	s_cbranch_execnz .LBB51_74
; %bb.70:
	s_andn2_saveexec_b64 s[0:1], s[0:1]
	s_cbranch_execnz .LBB51_82
.LBB51_71:
	s_or_b64 exec, exec, s[0:1]
	s_and_b64 exec, exec, s[2:3]
.LBB51_72:
	; divergent unreachable
.LBB51_73:
	s_endpgm
.LBB51_74:
	s_mov_b64 s[6:7], 0
	s_and_saveexec_b64 s[2:3], s[10:11]
	s_xor_b64 s[2:3], exec, s[2:3]
	s_cbranch_execz .LBB51_80
; %bb.75:
	s_and_saveexec_b64 s[10:11], s[8:9]
	s_xor_b64 s[8:9], exec, s[10:11]
	s_cbranch_execz .LBB51_78
; %bb.76:
	s_and_saveexec_b64 s[10:11], s[4:5]
	s_xor_b64 s[4:5], exec, s[10:11]
	s_cbranch_execnz .LBB51_85
.LBB51_77:
	s_or_b64 exec, exec, s[4:5]
	s_and_b64 s[6:7], s[6:7], exec
.LBB51_78:
	s_andn2_saveexec_b64 s[4:5], s[8:9]
	s_cbranch_execnz .LBB51_84
.LBB51_79:
	s_or_b64 exec, exec, s[4:5]
	s_and_b64 s[6:7], s[6:7], exec
.LBB51_80:
	s_andn2_saveexec_b64 s[2:3], s[2:3]
	s_cbranch_execnz .LBB51_83
.LBB51_81:
	s_or_b64 exec, exec, s[2:3]
	s_and_b64 s[2:3], s[6:7], exec
	s_andn2_saveexec_b64 s[0:1], s[0:1]
	s_cbranch_execz .LBB51_71
.LBB51_82:
	s_or_b64 s[2:3], s[2:3], exec
	s_trap 2
	s_or_b64 exec, exec, s[0:1]
	s_and_b64 exec, exec, s[2:3]
	s_cbranch_execnz .LBB51_72
	s_branch .LBB51_73
.LBB51_83:
	s_or_b64 s[6:7], s[6:7], exec
	s_trap 2
	s_branch .LBB51_81
.LBB51_84:
	s_trap 2
	s_or_b64 s[6:7], s[6:7], exec
	s_branch .LBB51_79
.LBB51_85:
	s_mov_b64 s[6:7], exec
	s_trap 2
	s_branch .LBB51_77
	.section	.rodata,"a",@progbits
	.p2align	6, 0x0
	.amdhsa_kernel _ZN2at4cuda12_GLOBAL__N_121kernelPointwiseApply2IZNS_6native9templates4cuda28bernoulli_tensor_cuda_kernelIlfEEvRKNS_10TensorBaseES9_NS_15PhiloxCudaStateEEUliRlSB_SB_SB_RKfSD_SD_SD_E_lSC_jLin1ELi2ELi4ELi512ELi2EEEvNS0_6detail10TensorInfoIT0_T2_EENSG_IT1_SI_EESI_T_
		.amdhsa_group_segment_fixed_size 0
		.amdhsa_private_segment_fixed_size 0
		.amdhsa_kernarg_size 728
		.amdhsa_user_sgpr_count 6
		.amdhsa_user_sgpr_private_segment_buffer 1
		.amdhsa_user_sgpr_dispatch_ptr 0
		.amdhsa_user_sgpr_queue_ptr 0
		.amdhsa_user_sgpr_kernarg_segment_ptr 1
		.amdhsa_user_sgpr_dispatch_id 0
		.amdhsa_user_sgpr_flat_scratch_init 0
		.amdhsa_user_sgpr_kernarg_preload_length 0
		.amdhsa_user_sgpr_kernarg_preload_offset 0
		.amdhsa_user_sgpr_private_segment_size 0
		.amdhsa_uses_dynamic_stack 0
		.amdhsa_system_sgpr_private_segment_wavefront_offset 0
		.amdhsa_system_sgpr_workgroup_id_x 1
		.amdhsa_system_sgpr_workgroup_id_y 0
		.amdhsa_system_sgpr_workgroup_id_z 0
		.amdhsa_system_sgpr_workgroup_info 0
		.amdhsa_system_vgpr_workitem_id 0
		.amdhsa_next_free_vgpr 51
		.amdhsa_next_free_sgpr 64
		.amdhsa_accum_offset 52
		.amdhsa_reserve_vcc 1
		.amdhsa_reserve_flat_scratch 0
		.amdhsa_float_round_mode_32 0
		.amdhsa_float_round_mode_16_64 0
		.amdhsa_float_denorm_mode_32 3
		.amdhsa_float_denorm_mode_16_64 3
		.amdhsa_dx10_clamp 1
		.amdhsa_ieee_mode 1
		.amdhsa_fp16_overflow 0
		.amdhsa_tg_split 0
		.amdhsa_exception_fp_ieee_invalid_op 0
		.amdhsa_exception_fp_denorm_src 0
		.amdhsa_exception_fp_ieee_div_zero 0
		.amdhsa_exception_fp_ieee_overflow 0
		.amdhsa_exception_fp_ieee_underflow 0
		.amdhsa_exception_fp_ieee_inexact 0
		.amdhsa_exception_int_div_zero 0
	.end_amdhsa_kernel
	.section	.text._ZN2at4cuda12_GLOBAL__N_121kernelPointwiseApply2IZNS_6native9templates4cuda28bernoulli_tensor_cuda_kernelIlfEEvRKNS_10TensorBaseES9_NS_15PhiloxCudaStateEEUliRlSB_SB_SB_RKfSD_SD_SD_E_lSC_jLin1ELi2ELi4ELi512ELi2EEEvNS0_6detail10TensorInfoIT0_T2_EENSG_IT1_SI_EESI_T_,"axG",@progbits,_ZN2at4cuda12_GLOBAL__N_121kernelPointwiseApply2IZNS_6native9templates4cuda28bernoulli_tensor_cuda_kernelIlfEEvRKNS_10TensorBaseES9_NS_15PhiloxCudaStateEEUliRlSB_SB_SB_RKfSD_SD_SD_E_lSC_jLin1ELi2ELi4ELi512ELi2EEEvNS0_6detail10TensorInfoIT0_T2_EENSG_IT1_SI_EESI_T_,comdat
.Lfunc_end51:
	.size	_ZN2at4cuda12_GLOBAL__N_121kernelPointwiseApply2IZNS_6native9templates4cuda28bernoulli_tensor_cuda_kernelIlfEEvRKNS_10TensorBaseES9_NS_15PhiloxCudaStateEEUliRlSB_SB_SB_RKfSD_SD_SD_E_lSC_jLin1ELi2ELi4ELi512ELi2EEEvNS0_6detail10TensorInfoIT0_T2_EENSG_IT1_SI_EESI_T_, .Lfunc_end51-_ZN2at4cuda12_GLOBAL__N_121kernelPointwiseApply2IZNS_6native9templates4cuda28bernoulli_tensor_cuda_kernelIlfEEvRKNS_10TensorBaseES9_NS_15PhiloxCudaStateEEUliRlSB_SB_SB_RKfSD_SD_SD_E_lSC_jLin1ELi2ELi4ELi512ELi2EEEvNS0_6detail10TensorInfoIT0_T2_EENSG_IT1_SI_EESI_T_
                                        ; -- End function
	.section	.AMDGPU.csdata,"",@progbits
; Kernel info:
; codeLenInByte = 3992
; NumSgprs: 68
; NumVgprs: 51
; NumAgprs: 0
; TotalNumVgprs: 51
; ScratchSize: 0
; MemoryBound: 0
; FloatMode: 240
; IeeeMode: 1
; LDSByteSize: 0 bytes/workgroup (compile time only)
; SGPRBlocks: 8
; VGPRBlocks: 6
; NumSGPRsForWavesPerEU: 68
; NumVGPRsForWavesPerEU: 51
; AccumOffset: 52
; Occupancy: 8
; WaveLimiterHint : 1
; COMPUTE_PGM_RSRC2:SCRATCH_EN: 0
; COMPUTE_PGM_RSRC2:USER_SGPR: 6
; COMPUTE_PGM_RSRC2:TRAP_HANDLER: 0
; COMPUTE_PGM_RSRC2:TGID_X_EN: 1
; COMPUTE_PGM_RSRC2:TGID_Y_EN: 0
; COMPUTE_PGM_RSRC2:TGID_Z_EN: 0
; COMPUTE_PGM_RSRC2:TIDIG_COMP_CNT: 0
; COMPUTE_PGM_RSRC3_GFX90A:ACCUM_OFFSET: 12
; COMPUTE_PGM_RSRC3_GFX90A:TG_SPLIT: 0
	.section	.text._ZN2at4cuda12_GLOBAL__N_121kernelPointwiseApply2IZNS_6native9templates4cuda28bernoulli_tensor_cuda_kernelIlfEEvRKNS_10TensorBaseES9_NS_15PhiloxCudaStateEEUliRlSB_SB_SB_RKfSD_SD_SD_E_lSC_jLin1ELin1ELi4ELi512ELi2EEEvNS0_6detail10TensorInfoIT0_T2_EENSG_IT1_SI_EESI_T_,"axG",@progbits,_ZN2at4cuda12_GLOBAL__N_121kernelPointwiseApply2IZNS_6native9templates4cuda28bernoulli_tensor_cuda_kernelIlfEEvRKNS_10TensorBaseES9_NS_15PhiloxCudaStateEEUliRlSB_SB_SB_RKfSD_SD_SD_E_lSC_jLin1ELin1ELi4ELi512ELi2EEEvNS0_6detail10TensorInfoIT0_T2_EENSG_IT1_SI_EESI_T_,comdat
	.globl	_ZN2at4cuda12_GLOBAL__N_121kernelPointwiseApply2IZNS_6native9templates4cuda28bernoulli_tensor_cuda_kernelIlfEEvRKNS_10TensorBaseES9_NS_15PhiloxCudaStateEEUliRlSB_SB_SB_RKfSD_SD_SD_E_lSC_jLin1ELin1ELi4ELi512ELi2EEEvNS0_6detail10TensorInfoIT0_T2_EENSG_IT1_SI_EESI_T_ ; -- Begin function _ZN2at4cuda12_GLOBAL__N_121kernelPointwiseApply2IZNS_6native9templates4cuda28bernoulli_tensor_cuda_kernelIlfEEvRKNS_10TensorBaseES9_NS_15PhiloxCudaStateEEUliRlSB_SB_SB_RKfSD_SD_SD_E_lSC_jLin1ELin1ELi4ELi512ELi2EEEvNS0_6detail10TensorInfoIT0_T2_EENSG_IT1_SI_EESI_T_
	.p2align	8
	.type	_ZN2at4cuda12_GLOBAL__N_121kernelPointwiseApply2IZNS_6native9templates4cuda28bernoulli_tensor_cuda_kernelIlfEEvRKNS_10TensorBaseES9_NS_15PhiloxCudaStateEEUliRlSB_SB_SB_RKfSD_SD_SD_E_lSC_jLin1ELin1ELi4ELi512ELi2EEEvNS0_6detail10TensorInfoIT0_T2_EENSG_IT1_SI_EESI_T_,@function
_ZN2at4cuda12_GLOBAL__N_121kernelPointwiseApply2IZNS_6native9templates4cuda28bernoulli_tensor_cuda_kernelIlfEEvRKNS_10TensorBaseES9_NS_15PhiloxCudaStateEEUliRlSB_SB_SB_RKfSD_SD_SD_E_lSC_jLin1ELin1ELi4ELi512ELi2EEEvNS0_6detail10TensorInfoIT0_T2_EENSG_IT1_SI_EESI_T_: ; @_ZN2at4cuda12_GLOBAL__N_121kernelPointwiseApply2IZNS_6native9templates4cuda28bernoulli_tensor_cuda_kernelIlfEEvRKNS_10TensorBaseES9_NS_15PhiloxCudaStateEEUliRlSB_SB_SB_RKfSD_SD_SD_E_lSC_jLin1ELin1ELi4ELi512ELi2EEEvNS0_6detail10TensorInfoIT0_T2_EENSG_IT1_SI_EESI_T_
; %bb.0:
	s_load_dword s2, s[4:5], 0x1e4
	s_load_dword s33, s[4:5], 0x1b0
	s_add_u32 s0, s4, 0x1d8
	s_addc_u32 s1, s5, 0
	s_waitcnt lgkmcnt(0)
	s_and_b32 s2, s2, 0xffff
	s_mul_i32 s6, s6, s2
	v_add_u32_e32 v5, s6, v0
	v_lshlrev_b32_e32 v30, 2, v5
	v_cmp_gt_u32_e32 vcc, s33, v30
	s_and_saveexec_b64 s[6:7], vcc
	s_cbranch_execz .LBB52_85
; %bb.1:
	s_load_dword s0, s[0:1], 0x0
	s_nop 0
	s_load_dword s16, s[4:5], 0x1d0
	s_load_dword s20, s[4:5], 0xd0
	s_add_u32 s24, s4, 0xd8
	s_load_dwordx2 s[6:7], s[4:5], 0x1c8
	s_load_dwordx4 s[8:11], s[4:5], 0x1b8
	s_load_dword s26, s[4:5], 0x1a8
	s_load_dwordx2 s[12:13], s[4:5], 0xd8
	s_load_dword s58, s[4:5], 0x6c
	s_addc_u32 s25, s5, 0
	s_waitcnt lgkmcnt(0)
	s_mul_i32 s21, s0, s2
	s_cmp_gt_i32 s20, 1
	s_cselect_b64 s[0:1], -1, 0
	s_cmp_gt_i32 s26, 1
	s_cselect_b64 s[2:3], -1, 0
	s_bitcmp1_b32 s16, 0
	s_mov_b32 s60, 0xcd9e8d57
	s_cselect_b64 s[16:17], -1, 0
	v_mad_u64_u32 v[0:1], s[18:19], v5, s60, 0
	s_lshl_b32 s61, s21, 2
	s_add_i32 s62, s20, 1
	s_add_i32 s20, s20, -1
	s_mov_b32 s21, 0
	s_lshl_b64 s[18:19], s[20:21], 2
	s_load_dword s59, s[4:5], 0x144
	s_load_dwordx2 s[14:15], s[4:5], 0x0
	s_add_u32 s4, s18, s4
	s_addc_u32 s5, s19, s5
	s_add_u32 s22, s4, 8
	s_addc_u32 s23, s5, 0
	s_add_i32 s20, s26, -1
	s_add_i32 s63, s26, 1
	s_lshl_b64 s[4:5], s[20:21], 2
	s_add_u32 s4, s4, s24
	s_addc_u32 s5, s5, s25
	s_add_u32 s24, s4, 8
	v_cndmask_b32_e64 v2, 0, 1, s[0:1]
	v_mov_b32_e32 v3, 0
	v_mov_b32_e32 v4, v1
	s_addc_u32 s25, s5, 0
	s_mov_b64 s[26:27], 0
	v_cndmask_b32_e64 v1, 0, 1, s[2:3]
	s_mov_b32 s20, 0xd2511f53
	v_cmp_ne_u32_e64 s[0:1], 1, v2
	s_mov_b32 s64, 0xf1bbcdc8
                                        ; implicit-def: $sgpr28_sgpr29
                                        ; implicit-def: $sgpr30_sgpr31
                                        ; implicit-def: $sgpr34_sgpr35
                                        ; implicit-def: $sgpr18_sgpr19
                                        ; implicit-def: $sgpr36_sgpr37
                                        ; implicit-def: $sgpr38_sgpr39
                                        ; implicit-def: $sgpr40_sgpr41
                                        ; implicit-def: $sgpr42_sgpr43
	s_branch .LBB52_3
.LBB52_2:                               ;   in Loop: Header=BB52_3 Depth=1
	s_or_b64 exec, exec, s[4:5]
	s_and_b64 s[2:3], exec, s[2:3]
	s_or_b64 s[26:27], s[2:3], s[26:27]
	s_andn2_b64 s[2:3], s[18:19], exec
	s_and_b64 s[4:5], s[42:43], exec
	s_or_b64 s[18:19], s[2:3], s[4:5]
	s_andn2_b64 s[2:3], s[34:35], exec
	s_and_b64 s[4:5], s[40:41], exec
	;; [unrolled: 3-line block ×4, first 2 shown]
	s_or_b64 s[28:29], s[2:3], s[4:5]
	s_andn2_b64 exec, exec, s[26:27]
	s_cbranch_execz .LBB52_81
.LBB52_3:                               ; =>This Loop Header: Depth=1
                                        ;     Child Loop BB52_6 Depth 2
                                        ;     Child Loop BB52_11 Depth 2
	;; [unrolled: 1-line block ×8, first 2 shown]
	v_sub_u32_e32 v31, s33, v30
	v_cmp_lt_i32_e64 s[4:5], 0, v31
	v_mov_b32_e32 v6, 0
	s_and_saveexec_b64 s[2:3], s[4:5]
	s_cbranch_execz .LBB52_8
; %bb.4:                                ;   in Loop: Header=BB52_3 Depth=1
	s_and_b64 vcc, exec, s[0:1]
	v_mov_b32_e32 v6, 0
	s_waitcnt vmcnt(3)
	v_mov_b32_e32 v2, v30
	s_cbranch_vccnz .LBB52_7
; %bb.5:                                ;   in Loop: Header=BB52_3 Depth=1
	v_mov_b32_e32 v6, 0
	s_mov_b64 s[44:45], s[22:23]
	s_mov_b32 s46, s62
	v_mov_b32_e32 v2, v30
.LBB52_6:                               ;   Parent Loop BB52_3 Depth=1
                                        ; =>  This Inner Loop Header: Depth=2
	s_load_dword s47, s[44:45], 0x0
	s_load_dword s48, s[44:45], 0x64
	s_waitcnt vmcnt(2)
	v_mov_b32_e32 v7, v2
	s_add_i32 s46, s46, -1
	s_waitcnt lgkmcnt(0)
	v_cvt_f32_u32_e32 v2, s47
	s_sub_i32 s49, 0, s47
	s_add_u32 s44, s44, -4
	s_addc_u32 s45, s45, -1
	v_rcp_iflag_f32_e32 v2, v2
	s_cmp_gt_u32 s46, 2
	v_mul_f32_e32 v2, 0x4f7ffffe, v2
	v_cvt_u32_f32_e32 v2, v2
	v_mul_lo_u32 v8, s49, v2
	v_mul_hi_u32 v8, v2, v8
	v_add_u32_e32 v2, v2, v8
	v_mul_hi_u32 v2, v7, v2
	v_mul_lo_u32 v8, v2, s47
	v_sub_u32_e32 v8, v7, v8
	s_waitcnt vmcnt(1)
	v_add_u32_e32 v9, 1, v2
	v_cmp_le_u32_e32 vcc, s47, v8
	v_cndmask_b32_e32 v2, v2, v9, vcc
	v_subrev_u32_e32 v9, s47, v8
	v_cndmask_b32_e32 v8, v8, v9, vcc
	v_add_u32_e32 v9, 1, v2
	v_cmp_le_u32_e32 vcc, s47, v8
	v_cndmask_b32_e32 v2, v2, v9, vcc
	v_mul_lo_u32 v8, v2, s47
	v_sub_u32_e32 v7, v7, v8
	v_mad_u64_u32 v[6:7], s[48:49], s48, v7, v[6:7]
	s_cbranch_scc1 .LBB52_6
.LBB52_7:                               ;   in Loop: Header=BB52_3 Depth=1
	s_waitcnt vmcnt(2)
	v_mad_u64_u32 v[6:7], s[44:45], s58, v2, v[6:7]
.LBB52_8:                               ;   in Loop: Header=BB52_3 Depth=1
	s_or_b64 exec, exec, s[2:3]
	s_waitcnt vmcnt(3)
	v_mov_b32_e32 v2, 0
	v_cmp_ne_u32_e64 s[2:3], 1, v1
	s_and_saveexec_b64 s[44:45], s[4:5]
	s_cbranch_execz .LBB52_13
; %bb.9:                                ;   in Loop: Header=BB52_3 Depth=1
	s_and_b64 vcc, exec, s[2:3]
	v_mov_b32_e32 v8, 0
	v_mov_b32_e32 v2, v30
	s_cbranch_vccnz .LBB52_12
; %bb.10:                               ;   in Loop: Header=BB52_3 Depth=1
	v_mov_b32_e32 v8, 0
	s_mov_b64 s[4:5], s[24:25]
	s_mov_b32 s46, s63
	v_mov_b32_e32 v2, v30
.LBB52_11:                              ;   Parent Loop BB52_3 Depth=1
                                        ; =>  This Inner Loop Header: Depth=2
	s_load_dword s47, s[4:5], 0x0
	s_load_dword s48, s[4:5], 0x64
	s_waitcnt vmcnt(2)
	v_mov_b32_e32 v7, v2
	s_add_i32 s46, s46, -1
	s_waitcnt lgkmcnt(0)
	v_cvt_f32_u32_e32 v2, s47
	s_sub_i32 s49, 0, s47
	s_add_u32 s4, s4, -4
	s_addc_u32 s5, s5, -1
	v_rcp_iflag_f32_e32 v2, v2
	s_cmp_gt_u32 s46, 2
	v_mul_f32_e32 v2, 0x4f7ffffe, v2
	v_cvt_u32_f32_e32 v2, v2
	s_waitcnt vmcnt(1)
	v_mul_lo_u32 v9, s49, v2
	v_mul_hi_u32 v9, v2, v9
	v_add_u32_e32 v2, v2, v9
	v_mul_hi_u32 v2, v7, v2
	v_mul_lo_u32 v9, v2, s47
	v_sub_u32_e32 v9, v7, v9
	v_add_u32_e32 v10, 1, v2
	v_cmp_le_u32_e32 vcc, s47, v9
	v_cndmask_b32_e32 v2, v2, v10, vcc
	v_subrev_u32_e32 v10, s47, v9
	v_cndmask_b32_e32 v9, v9, v10, vcc
	v_add_u32_e32 v10, 1, v2
	v_cmp_le_u32_e32 vcc, s47, v9
	v_cndmask_b32_e32 v2, v2, v10, vcc
	v_mul_lo_u32 v9, v2, s47
	v_sub_u32_e32 v7, v7, v9
	v_mad_u64_u32 v[8:9], s[48:49], s48, v7, v[8:9]
	s_cbranch_scc1 .LBB52_11
.LBB52_12:                              ;   in Loop: Header=BB52_3 Depth=1
	s_waitcnt vmcnt(1) lgkmcnt(0)
	v_mad_u64_u32 v[8:9], s[4:5], s59, v2, v[8:9]
	v_mov_b32_e32 v2, v8
.LBB52_13:                              ;   in Loop: Header=BB52_3 Depth=1
	s_or_b64 exec, exec, s[44:45]
	s_waitcnt vmcnt(2)
	v_or_b32_e32 v7, 1, v30
	v_cmp_lt_i32_e64 s[4:5], 1, v31
	v_mov_b32_e32 v8, 0
	s_and_saveexec_b64 s[44:45], s[4:5]
	s_cbranch_execz .LBB52_18
; %bb.14:                               ;   in Loop: Header=BB52_3 Depth=1
	s_and_b64 vcc, exec, s[0:1]
	v_mov_b32_e32 v8, 0
	v_mov_b32_e32 v10, v7
	s_cbranch_vccnz .LBB52_17
; %bb.15:                               ;   in Loop: Header=BB52_3 Depth=1
	v_mov_b32_e32 v8, 0
	s_mov_b64 s[46:47], s[22:23]
	s_mov_b32 s48, s62
	v_mov_b32_e32 v10, v7
.LBB52_16:                              ;   Parent Loop BB52_3 Depth=1
                                        ; =>  This Inner Loop Header: Depth=2
	s_load_dword s49, s[46:47], 0x0
	s_load_dword s50, s[46:47], 0x64
	s_waitcnt vmcnt(1)
	v_mov_b32_e32 v9, v10
	s_add_i32 s48, s48, -1
	s_waitcnt lgkmcnt(0)
	v_cvt_f32_u32_e32 v10, s49
	s_sub_i32 s51, 0, s49
	s_add_u32 s46, s46, -4
	s_addc_u32 s47, s47, -1
	v_rcp_iflag_f32_e32 v10, v10
	s_cmp_gt_u32 s48, 2
	v_mul_f32_e32 v10, 0x4f7ffffe, v10
	v_cvt_u32_f32_e32 v10, v10
	s_waitcnt vmcnt(0)
	v_mul_lo_u32 v11, s51, v10
	v_mul_hi_u32 v11, v10, v11
	v_add_u32_e32 v10, v10, v11
	v_mul_hi_u32 v10, v9, v10
	v_mul_lo_u32 v11, v10, s49
	v_sub_u32_e32 v11, v9, v11
	v_add_u32_e32 v12, 1, v10
	v_cmp_le_u32_e32 vcc, s49, v11
	v_cndmask_b32_e32 v10, v10, v12, vcc
	v_subrev_u32_e32 v12, s49, v11
	v_cndmask_b32_e32 v11, v11, v12, vcc
	v_add_u32_e32 v12, 1, v10
	v_cmp_le_u32_e32 vcc, s49, v11
	v_cndmask_b32_e32 v10, v10, v12, vcc
	v_mul_lo_u32 v11, v10, s49
	v_sub_u32_e32 v9, v9, v11
	v_mad_u64_u32 v[8:9], s[50:51], s50, v9, v[8:9]
	s_cbranch_scc1 .LBB52_16
.LBB52_17:                              ;   in Loop: Header=BB52_3 Depth=1
	s_waitcnt vmcnt(1)
	v_mad_u64_u32 v[8:9], s[46:47], s58, v10, v[8:9]
.LBB52_18:                              ;   in Loop: Header=BB52_3 Depth=1
	s_or_b64 exec, exec, s[44:45]
	v_mov_b32_e32 v12, 0
	s_and_saveexec_b64 s[44:45], s[4:5]
	s_cbranch_execz .LBB52_23
; %bb.19:                               ;   in Loop: Header=BB52_3 Depth=1
	s_and_b64 vcc, exec, s[2:3]
	v_mov_b32_e32 v10, 0
	s_cbranch_vccnz .LBB52_22
; %bb.20:                               ;   in Loop: Header=BB52_3 Depth=1
	v_mov_b32_e32 v10, 0
	s_mov_b64 s[4:5], s[24:25]
	s_mov_b32 s46, s63
.LBB52_21:                              ;   Parent Loop BB52_3 Depth=1
                                        ; =>  This Inner Loop Header: Depth=2
	s_load_dword s47, s[4:5], 0x0
	s_load_dword s48, s[4:5], 0x64
	s_waitcnt vmcnt(1)
	v_mov_b32_e32 v9, v7
	s_add_i32 s46, s46, -1
	s_waitcnt lgkmcnt(0)
	v_cvt_f32_u32_e32 v7, s47
	s_sub_i32 s49, 0, s47
	s_add_u32 s4, s4, -4
	s_addc_u32 s5, s5, -1
	v_rcp_iflag_f32_e32 v7, v7
	s_cmp_gt_u32 s46, 2
	v_mul_f32_e32 v7, 0x4f7ffffe, v7
	v_cvt_u32_f32_e32 v7, v7
	s_waitcnt vmcnt(0)
	v_mul_lo_u32 v11, s49, v7
	v_mul_hi_u32 v11, v7, v11
	v_add_u32_e32 v7, v7, v11
	v_mul_hi_u32 v7, v9, v7
	v_mul_lo_u32 v11, v7, s47
	v_sub_u32_e32 v11, v9, v11
	v_add_u32_e32 v12, 1, v7
	v_cmp_le_u32_e32 vcc, s47, v11
	v_cndmask_b32_e32 v7, v7, v12, vcc
	v_subrev_u32_e32 v12, s47, v11
	v_cndmask_b32_e32 v11, v11, v12, vcc
	v_add_u32_e32 v12, 1, v7
	v_cmp_le_u32_e32 vcc, s47, v11
	v_cndmask_b32_e32 v7, v7, v12, vcc
	v_mul_lo_u32 v11, v7, s47
	v_sub_u32_e32 v9, v9, v11
	v_mad_u64_u32 v[10:11], s[48:49], s48, v9, v[10:11]
	s_cbranch_scc1 .LBB52_21
.LBB52_22:                              ;   in Loop: Header=BB52_3 Depth=1
	s_waitcnt vmcnt(0) lgkmcnt(0)
	v_mad_u64_u32 v[12:13], s[4:5], s59, v7, v[10:11]
.LBB52_23:                              ;   in Loop: Header=BB52_3 Depth=1
	s_or_b64 exec, exec, s[44:45]
	v_or_b32_e32 v7, 2, v30
	v_cmp_lt_i32_e64 s[4:5], 2, v31
	v_mov_b32_e32 v10, 0
	s_and_saveexec_b64 s[44:45], s[4:5]
	s_cbranch_execz .LBB52_28
; %bb.24:                               ;   in Loop: Header=BB52_3 Depth=1
	s_and_b64 vcc, exec, s[0:1]
	v_mov_b32_e32 v10, 0
	s_waitcnt vmcnt(1)
	v_mov_b32_e32 v9, v7
	s_cbranch_vccnz .LBB52_27
; %bb.25:                               ;   in Loop: Header=BB52_3 Depth=1
	v_mov_b32_e32 v10, 0
	s_mov_b64 s[46:47], s[22:23]
	s_mov_b32 s48, s62
	v_mov_b32_e32 v9, v7
.LBB52_26:                              ;   Parent Loop BB52_3 Depth=1
                                        ; =>  This Inner Loop Header: Depth=2
	s_load_dword s49, s[46:47], 0x0
	s_load_dword s50, s[46:47], 0x64
	s_waitcnt vmcnt(0)
	v_mov_b32_e32 v11, v9
	s_add_i32 s48, s48, -1
	s_waitcnt lgkmcnt(0)
	v_cvt_f32_u32_e32 v9, s49
	s_sub_i32 s51, 0, s49
	s_add_u32 s46, s46, -4
	s_addc_u32 s47, s47, -1
	v_rcp_iflag_f32_e32 v9, v9
	s_cmp_gt_u32 s48, 2
	v_mul_f32_e32 v9, 0x4f7ffffe, v9
	v_cvt_u32_f32_e32 v9, v9
	v_mul_lo_u32 v13, s51, v9
	v_mul_hi_u32 v13, v9, v13
	v_add_u32_e32 v9, v9, v13
	v_mul_hi_u32 v9, v11, v9
	v_mul_lo_u32 v13, v9, s49
	v_sub_u32_e32 v13, v11, v13
	v_add_u32_e32 v14, 1, v9
	v_cmp_le_u32_e32 vcc, s49, v13
	v_cndmask_b32_e32 v9, v9, v14, vcc
	v_subrev_u32_e32 v14, s49, v13
	v_cndmask_b32_e32 v13, v13, v14, vcc
	v_add_u32_e32 v14, 1, v9
	v_cmp_le_u32_e32 vcc, s49, v13
	v_cndmask_b32_e32 v9, v9, v14, vcc
	v_mul_lo_u32 v13, v9, s49
	v_sub_u32_e32 v11, v11, v13
	v_mad_u64_u32 v[10:11], s[50:51], s50, v11, v[10:11]
	s_cbranch_scc1 .LBB52_26
.LBB52_27:                              ;   in Loop: Header=BB52_3 Depth=1
	s_waitcnt vmcnt(0)
	v_mad_u64_u32 v[10:11], s[46:47], s58, v9, v[10:11]
.LBB52_28:                              ;   in Loop: Header=BB52_3 Depth=1
	s_or_b64 exec, exec, s[44:45]
	v_pk_mov_b32 v[16:17], 0, 0
	s_and_saveexec_b64 s[44:45], s[4:5]
	s_cbranch_execz .LBB52_33
; %bb.29:                               ;   in Loop: Header=BB52_3 Depth=1
	s_and_b64 vcc, exec, s[2:3]
	v_mov_b32_e32 v14, 0
	s_cbranch_vccnz .LBB52_32
; %bb.30:                               ;   in Loop: Header=BB52_3 Depth=1
	v_mov_b32_e32 v14, 0
	s_mov_b64 s[4:5], s[24:25]
	s_mov_b32 s46, s63
.LBB52_31:                              ;   Parent Loop BB52_3 Depth=1
                                        ; =>  This Inner Loop Header: Depth=2
	s_load_dword s47, s[4:5], 0x0
	s_load_dword s48, s[4:5], 0x64
	s_waitcnt vmcnt(1)
	v_mov_b32_e32 v9, v7
	s_add_i32 s46, s46, -1
	s_waitcnt lgkmcnt(0)
	v_cvt_f32_u32_e32 v7, s47
	s_sub_i32 s49, 0, s47
	s_add_u32 s4, s4, -4
	s_addc_u32 s5, s5, -1
	v_rcp_iflag_f32_e32 v7, v7
	s_cmp_gt_u32 s46, 2
	v_mul_f32_e32 v7, 0x4f7ffffe, v7
	v_cvt_u32_f32_e32 v7, v7
	s_waitcnt vmcnt(0)
	v_mul_lo_u32 v11, s49, v7
	v_mul_hi_u32 v11, v7, v11
	v_add_u32_e32 v7, v7, v11
	v_mul_hi_u32 v7, v9, v7
	v_mul_lo_u32 v11, v7, s47
	v_sub_u32_e32 v11, v9, v11
	v_add_u32_e32 v13, 1, v7
	v_cmp_le_u32_e32 vcc, s47, v11
	v_cndmask_b32_e32 v7, v7, v13, vcc
	v_subrev_u32_e32 v13, s47, v11
	v_cndmask_b32_e32 v11, v11, v13, vcc
	v_add_u32_e32 v13, 1, v7
	v_cmp_le_u32_e32 vcc, s47, v11
	v_cndmask_b32_e32 v7, v7, v13, vcc
	v_mul_lo_u32 v11, v7, s47
	v_sub_u32_e32 v9, v9, v11
	v_mad_u64_u32 v[14:15], s[48:49], s48, v9, v[14:15]
	s_cbranch_scc1 .LBB52_31
.LBB52_32:                              ;   in Loop: Header=BB52_3 Depth=1
	s_waitcnt lgkmcnt(0)
	v_mad_u64_u32 v[16:17], s[4:5], s59, v7, v[14:15]
	v_mov_b32_e32 v17, v3
.LBB52_33:                              ;   in Loop: Header=BB52_3 Depth=1
	s_or_b64 exec, exec, s[44:45]
	v_or_b32_e32 v7, 3, v30
	v_cmp_lt_i32_e64 s[4:5], 3, v31
	v_pk_mov_b32 v[14:15], 0, 0
	s_and_saveexec_b64 s[44:45], s[4:5]
	s_cbranch_execz .LBB52_38
; %bb.34:                               ;   in Loop: Header=BB52_3 Depth=1
	s_and_b64 vcc, exec, s[0:1]
	v_mov_b32_e32 v14, 0
	s_waitcnt vmcnt(1)
	v_mov_b32_e32 v9, v7
	s_cbranch_vccnz .LBB52_37
; %bb.35:                               ;   in Loop: Header=BB52_3 Depth=1
	v_mov_b32_e32 v14, 0
	s_mov_b64 s[46:47], s[22:23]
	s_mov_b32 s48, s62
	v_mov_b32_e32 v9, v7
.LBB52_36:                              ;   Parent Loop BB52_3 Depth=1
                                        ; =>  This Inner Loop Header: Depth=2
	s_load_dword s49, s[46:47], 0x0
	s_load_dword s50, s[46:47], 0x64
	s_waitcnt vmcnt(0)
	v_mov_b32_e32 v11, v9
	s_add_i32 s48, s48, -1
	s_waitcnt lgkmcnt(0)
	v_cvt_f32_u32_e32 v9, s49
	s_sub_i32 s51, 0, s49
	s_add_u32 s46, s46, -4
	s_addc_u32 s47, s47, -1
	v_rcp_iflag_f32_e32 v9, v9
	s_cmp_gt_u32 s48, 2
	v_mul_f32_e32 v9, 0x4f7ffffe, v9
	v_cvt_u32_f32_e32 v9, v9
	v_mul_lo_u32 v13, s51, v9
	v_mul_hi_u32 v13, v9, v13
	v_add_u32_e32 v9, v9, v13
	v_mul_hi_u32 v9, v11, v9
	v_mul_lo_u32 v13, v9, s49
	v_sub_u32_e32 v13, v11, v13
	v_add_u32_e32 v15, 1, v9
	v_cmp_le_u32_e32 vcc, s49, v13
	v_cndmask_b32_e32 v9, v9, v15, vcc
	v_subrev_u32_e32 v15, s49, v13
	v_cndmask_b32_e32 v13, v13, v15, vcc
	v_add_u32_e32 v15, 1, v9
	v_cmp_le_u32_e32 vcc, s49, v13
	v_cndmask_b32_e32 v9, v9, v15, vcc
	v_mul_lo_u32 v13, v9, s49
	v_sub_u32_e32 v11, v11, v13
	v_mad_u64_u32 v[14:15], s[50:51], s50, v11, v[14:15]
	s_cbranch_scc1 .LBB52_36
.LBB52_37:                              ;   in Loop: Header=BB52_3 Depth=1
	v_mad_u64_u32 v[14:15], s[46:47], s58, v9, v[14:15]
	v_mov_b32_e32 v15, v3
.LBB52_38:                              ;   in Loop: Header=BB52_3 Depth=1
	s_or_b64 exec, exec, s[44:45]
	v_pk_mov_b32 v[18:19], 0, 0
	s_and_saveexec_b64 s[44:45], s[4:5]
	s_cbranch_execz .LBB52_43
; %bb.39:                               ;   in Loop: Header=BB52_3 Depth=1
	s_and_b64 vcc, exec, s[2:3]
	v_mov_b32_e32 v18, 0
	s_cbranch_vccnz .LBB52_42
; %bb.40:                               ;   in Loop: Header=BB52_3 Depth=1
	v_mov_b32_e32 v18, 0
	s_mov_b64 s[2:3], s[24:25]
	s_mov_b32 s4, s63
.LBB52_41:                              ;   Parent Loop BB52_3 Depth=1
                                        ; =>  This Inner Loop Header: Depth=2
	s_load_dword s5, s[2:3], 0x0
	s_load_dword s46, s[2:3], 0x64
	s_waitcnt vmcnt(1)
	v_mov_b32_e32 v9, v7
	s_add_i32 s4, s4, -1
	s_waitcnt lgkmcnt(0)
	v_cvt_f32_u32_e32 v7, s5
	s_sub_i32 s47, 0, s5
	s_add_u32 s2, s2, -4
	s_addc_u32 s3, s3, -1
	v_rcp_iflag_f32_e32 v7, v7
	s_cmp_gt_u32 s4, 2
	v_mul_f32_e32 v7, 0x4f7ffffe, v7
	v_cvt_u32_f32_e32 v7, v7
	s_waitcnt vmcnt(0)
	v_mul_lo_u32 v11, s47, v7
	v_mul_hi_u32 v11, v7, v11
	v_add_u32_e32 v7, v7, v11
	v_mul_hi_u32 v7, v9, v7
	v_mul_lo_u32 v11, v7, s5
	v_sub_u32_e32 v11, v9, v11
	v_add_u32_e32 v13, 1, v7
	v_cmp_le_u32_e32 vcc, s5, v11
	v_cndmask_b32_e32 v7, v7, v13, vcc
	v_subrev_u32_e32 v13, s5, v11
	v_cndmask_b32_e32 v11, v11, v13, vcc
	v_add_u32_e32 v13, 1, v7
	v_cmp_le_u32_e32 vcc, s5, v11
	v_cndmask_b32_e32 v7, v7, v13, vcc
	v_mul_lo_u32 v11, v7, s5
	v_sub_u32_e32 v9, v9, v11
	v_mad_u64_u32 v[18:19], s[46:47], s46, v9, v[18:19]
	s_cbranch_scc1 .LBB52_41
.LBB52_42:                              ;   in Loop: Header=BB52_3 Depth=1
	s_waitcnt lgkmcnt(0)
	v_mad_u64_u32 v[18:19], s[2:3], s59, v7, v[18:19]
	v_mov_b32_e32 v19, v3
.LBB52_43:                              ;   in Loop: Header=BB52_3 Depth=1
	s_or_b64 exec, exec, s[44:45]
	v_lshlrev_b64 v[20:21], 2, v[2:3]
	v_mov_b32_e32 v2, s13
	v_add_co_u32_e32 v20, vcc, s12, v20
	v_mov_b32_e32 v13, v3
	v_addc_co_u32_e32 v21, vcc, v2, v21, vcc
	v_lshlrev_b64 v[12:13], 2, v[12:13]
	v_add_co_u32_e32 v12, vcc, s12, v12
	v_addc_co_u32_e32 v13, vcc, v2, v13, vcc
	v_lshlrev_b64 v[16:17], 2, v[16:17]
	v_add_co_u32_e32 v16, vcc, s12, v16
	;; [unrolled: 3-line block ×3, first 2 shown]
	v_addc_co_u32_e32 v19, vcc, v2, v19, vcc
	global_load_dword v2, v[20:21], off
	global_load_dword v7, v[12:13], off
	;; [unrolled: 1-line block ×4, first 2 shown]
	s_andn2_b64 vcc, exec, s[16:17]
	v_pk_mov_b32 v[12:13], s[10:11], s[10:11] op_sel:[0,1]
	v_pk_mov_b32 v[16:17], s[8:9], s[8:9] op_sel:[0,1]
	s_cbranch_vccnz .LBB52_45
; %bb.44:                               ;   in Loop: Header=BB52_3 Depth=1
	v_pk_mov_b32 v[12:13], s[10:11], s[10:11] op_sel:[0,1]
	flat_load_dwordx2 v[12:13], v[12:13]
	v_pk_mov_b32 v[16:17], s[8:9], s[8:9] op_sel:[0,1]
	flat_load_dwordx2 v[16:17], v[16:17]
	v_mov_b32_e32 v18, s7
	s_waitcnt vmcnt(0) lgkmcnt(0)
	v_add_co_u32_e32 v12, vcc, s6, v12
	v_addc_co_u32_e32 v13, vcc, v13, v18, vcc
.LBB52_45:                              ;   in Loop: Header=BB52_3 Depth=1
	v_alignbit_b32 v26, v13, v12, 2
	v_lshrrev_b32_e32 v27, 2, v13
	v_xor_b32_e32 v18, v4, v16
	v_and_b32_e32 v32, 3, v12
	v_mad_u64_u32 v[12:13], s[2:3], v26, s20, 0
	v_xor_b32_e32 v18, v18, v27
	v_xor_b32_e32 v13, v13, v17
	v_add_u32_e32 v37, 0xbb67ae85, v17
	v_mad_u64_u32 v[18:19], s[2:3], v18, s20, 0
	v_mad_u64_u32 v[20:21], s[2:3], v13, s60, 0
	v_xor_b32_e32 v19, v37, v19
	v_add_u32_e32 v36, 0x9e3779b9, v16
	v_xor_b32_e32 v13, v0, v21
	v_xor_b32_e32 v19, v19, v12
	v_xor_b32_e32 v13, v13, v36
	v_add_u32_e32 v38, 0x3c6ef372, v16
	v_mad_u64_u32 v[22:23], s[2:3], v19, s60, 0
	v_add_u32_e32 v39, 0x76cf5d0a, v17
	v_mad_u64_u32 v[12:13], s[2:3], v13, s20, 0
	v_xor_b32_e32 v19, v38, v23
	v_xor_b32_e32 v19, v19, v20
	v_xor_b32_e32 v13, v39, v13
	v_xor_b32_e32 v13, v13, v18
	v_add_u32_e32 v41, 0x32370b8f, v17
	v_mad_u64_u32 v[18:19], s[2:3], v19, s20, 0
	v_add_u32_e32 v40, 0xdaa66d2b, v16
	v_mad_u64_u32 v[20:21], s[2:3], v13, s60, 0
	v_xor_b32_e32 v19, v41, v19
	;; [unrolled: 8-line block ×5, first 2 shown]
	v_xor_b32_e32 v19, v19, v20
	v_xor_b32_e32 v13, v47, v13
	;; [unrolled: 1-line block ×3, first 2 shown]
	v_add_u32_e32 v49, 0x1fd5c5a3, v17
	v_mad_u64_u32 v[18:19], s[2:3], v19, s20, 0
	v_xor_b32_e32 v19, v49, v19
	v_xor_b32_e32 v12, v19, v12
	v_add_u32_e32 v48, 0x5384540f, v16
	v_mad_u64_u32 v[24:25], s[2:3], v13, s60, 0
	v_add_co_u32_e32 v34, vcc, s64, v16
	v_mad_u64_u32 v[20:21], s[2:3], v12, s60, 0
	v_xor_b32_e32 v13, v48, v25
	v_xor_b32_e32 v12, v34, v21
	v_xor_b32_e32 v13, v13, v22
	v_xor_b32_e32 v12, v12, v24
	v_mad_u64_u32 v[22:23], s[2:3], v13, s20, 0
	v_mad_u64_u32 v[12:13], s[2:3], v12, s20, 0
	v_add_u32_e32 v35, 0x96a522ad, v17
	v_xor_b32_e32 v13, v13, v22
	v_xor_b32_e32 v33, v35, v13
	v_add_co_u32_e32 v13, vcc, 1, v26
	v_cndmask_b32_e64 v22, 0, 1, vcc
	v_addc_co_u32_e32 v28, vcc, 0, v27, vcc
	v_cmp_eq_u32_e32 vcc, 0, v28
	v_cndmask_b32_e32 v22, 0, v22, vcc
	v_add_u32_e32 v26, v22, v5
	v_cmp_eq_u32_e32 vcc, 0, v26
	v_mad_u64_u32 v[24:25], s[2:3], v13, s20, 0
	v_mad_u64_u32 v[26:27], s[2:3], v26, s60, 0
	v_add_u32_e32 v21, 0x8ff34781, v16
	v_cndmask_b32_e32 v22, 0, v22, vcc
	v_xor_b32_e32 v13, v27, v16
	v_xor_b32_e32 v16, v25, v17
	;; [unrolled: 1-line block ×4, first 2 shown]
	v_mad_u64_u32 v[28:29], s[2:3], v22, s60, 0
	v_add_u32_e32 v19, 0xdb3d7428, v17
	v_mad_u64_u32 v[16:17], s[2:3], v13, s20, 0
	v_xor_b32_e32 v13, v36, v29
	v_xor_b32_e32 v13, v13, v26
	v_xor_b32_e32 v17, v37, v17
	v_xor_b32_e32 v17, v17, v24
	v_mad_u64_u32 v[24:25], s[2:3], v13, s20, 0
	v_mad_u64_u32 v[26:27], s[2:3], v17, s60, 0
	v_xor_b32_e32 v17, v39, v25
	v_xor_b32_e32 v13, v38, v27
	v_xor_b32_e32 v22, v17, v16
	v_xor_b32_e32 v13, v13, v28
	v_mad_u64_u32 v[28:29], s[2:3], v22, s60, 0
	;; [unrolled: 6-line block ×7, first 2 shown]
	v_xor_b32_e32 v13, v19, v27
	v_xor_b32_e32 v13, v13, v16
	v_mad_u64_u32 v[28:29], s[2:3], v17, s60, 0
	v_mad_u64_u32 v[16:17], s[2:3], v13, s60, 0
	v_xor_b32_e32 v13, v17, v28
	v_xor_b32_e32 v13, v21, v13
	v_cmp_lt_i32_e32 vcc, 1, v32
                                        ; implicit-def: $vgpr25
	s_and_saveexec_b64 s[2:3], vcc
	s_xor_b64 s[2:3], exec, s[2:3]
	s_cbranch_execz .LBB52_51
; %bb.46:                               ;   in Loop: Header=BB52_3 Depth=1
	v_cmp_lt_i32_e32 vcc, 2, v32
                                        ; implicit-def: $vgpr25
	s_and_saveexec_b64 s[4:5], vcc
	s_xor_b64 s[4:5], exec, s[4:5]
; %bb.47:                               ;   in Loop: Header=BB52_3 Depth=1
	v_xor_b32_e32 v17, v34, v29
	v_xor_b32_e32 v17, v17, v24
	v_mul_hi_u32 v17, v17, s20
	v_xor_b32_e32 v17, v17, v26
	v_xor_b32_e32 v25, v35, v17
                                        ; implicit-def: $vgpr33
; %bb.48:                               ;   in Loop: Header=BB52_3 Depth=1
	s_andn2_saveexec_b64 s[4:5], s[4:5]
; %bb.49:                               ;   in Loop: Header=BB52_3 Depth=1
	v_mov_b32_e32 v25, v16
	v_mov_b32_e32 v16, v13
	;; [unrolled: 1-line block ×4, first 2 shown]
; %bb.50:                               ;   in Loop: Header=BB52_3 Depth=1
	s_or_b64 exec, exec, s[4:5]
                                        ; implicit-def: $vgpr18_vgpr19
                                        ; implicit-def: $vgpr20_vgpr21
                                        ; implicit-def: $vgpr32
                                        ; implicit-def: $vgpr33
                                        ; implicit-def: $vgpr22_vgpr23
                                        ; implicit-def: $vgpr19
                                        ; implicit-def: $vgpr21
.LBB52_51:                              ;   in Loop: Header=BB52_3 Depth=1
	s_andn2_saveexec_b64 s[2:3], s[2:3]
	s_cbranch_execz .LBB52_55
; %bb.52:                               ;   in Loop: Header=BB52_3 Depth=1
	v_xor_b32_e32 v16, v19, v23
	v_xor_b32_e32 v16, v16, v18
	v_mad_u64_u32 v[18:19], s[4:5], v16, s60, 0
	v_xor_b32_e32 v16, v19, v20
	v_xor_b32_e32 v17, v21, v16
	v_cmp_eq_u32_e32 vcc, 1, v32
	v_mov_b32_e32 v25, v12
	v_mov_b32_e32 v16, v33
	;; [unrolled: 1-line block ×3, first 2 shown]
	s_and_saveexec_b64 s[4:5], vcc
; %bb.53:                               ;   in Loop: Header=BB52_3 Depth=1
	v_mov_b32_e32 v25, v13
	v_mov_b32_e32 v16, v12
	;; [unrolled: 1-line block ×4, first 2 shown]
; %bb.54:                               ;   in Loop: Header=BB52_3 Depth=1
	s_or_b64 exec, exec, s[4:5]
	v_mov_b32_e32 v12, v17
	v_mov_b32_e32 v13, v19
.LBB52_55:                              ;   in Loop: Header=BB52_3 Depth=1
	s_or_b64 exec, exec, s[2:3]
	v_min_i32_e32 v17, 4, v31
	v_cmp_lt_i32_e32 vcc, 2, v17
	s_mov_b64 s[4:5], 0
	s_mov_b64 s[54:55], 0
	;; [unrolled: 1-line block ×3, first 2 shown]
                                        ; implicit-def: $sgpr46_sgpr47
                                        ; implicit-def: $sgpr48_sgpr49
                                        ; implicit-def: $sgpr50_sgpr51
	s_and_saveexec_b64 s[2:3], vcc
	s_xor_b64 s[52:53], exec, s[2:3]
	s_cbranch_execz .LBB52_67
; %bb.56:                               ;   in Loop: Header=BB52_3 Depth=1
	v_cmp_lt_i32_e32 vcc, 3, v17
	s_mov_b64 s[2:3], -1
	s_mov_b64 s[56:57], 0
                                        ; implicit-def: $sgpr44_sgpr45
                                        ; implicit-def: $sgpr46_sgpr47
	s_and_saveexec_b64 s[48:49], vcc
	s_cbranch_execz .LBB52_62
; %bb.57:                               ;   in Loop: Header=BB52_3 Depth=1
	v_cmp_eq_u32_e32 vcc, 4, v17
	s_mov_b64 s[2:3], 0
	s_mov_b64 s[56:57], -1
                                        ; implicit-def: $sgpr44_sgpr45
                                        ; implicit-def: $sgpr46_sgpr47
	s_and_saveexec_b64 s[50:51], vcc
	s_cbranch_execz .LBB52_61
; %bb.58:                               ;   in Loop: Header=BB52_3 Depth=1
	s_waitcnt vmcnt(0)
	v_cmp_le_f32_e32 vcc, 0, v11
	v_cmp_ge_f32_e64 s[2:3], 1.0, v11
	s_and_b64 s[56:57], vcc, s[2:3]
	s_mov_b64 s[44:45], 0
	s_mov_b64 s[2:3], 0
	s_and_saveexec_b64 s[46:47], s[56:57]
	s_cbranch_execz .LBB52_60
; %bb.59:                               ;   in Loop: Header=BB52_3 Depth=1
	v_cvt_f32_u32_e32 v18, v25
	v_mov_b32_e32 v19, 0x2f800000
	v_lshlrev_b64 v[14:15], 3, v[14:15]
	s_waitcnt lgkmcnt(0)
	v_add_co_u32_e32 v14, vcc, s14, v14
	v_fmac_f32_e32 v19, 0x2f800000, v18
	v_mov_b32_e32 v18, s15
	v_addc_co_u32_e32 v15, vcc, v18, v15, vcc
	v_cmp_le_f32_e32 vcc, v19, v11
	s_mov_b64 s[2:3], exec
	v_cndmask_b32_e64 v18, 0, 1, vcc
	v_mov_b32_e32 v19, s21
	global_store_dwordx2 v[14:15], v[18:19], off
.LBB52_60:                              ;   in Loop: Header=BB52_3 Depth=1
	s_or_b64 exec, exec, s[46:47]
	s_mov_b64 s[46:47], -1
	s_xor_b64 s[56:57], exec, -1
	s_and_b64 s[2:3], s[2:3], exec
.LBB52_61:                              ;   in Loop: Header=BB52_3 Depth=1
	s_or_b64 exec, exec, s[50:51]
	s_and_b64 s[56:57], s[56:57], exec
	s_orn2_b64 s[2:3], s[2:3], exec
.LBB52_62:                              ;   in Loop: Header=BB52_3 Depth=1
	s_or_b64 exec, exec, s[48:49]
	s_mov_b64 s[50:51], s[44:45]
	s_and_saveexec_b64 s[48:49], s[2:3]
	s_cbranch_execz .LBB52_66
; %bb.63:                               ;   in Loop: Header=BB52_3 Depth=1
	s_waitcnt vmcnt(1)
	v_cmp_le_f32_e32 vcc, 0, v9
	v_cmp_ge_f32_e64 s[2:3], 1.0, v9
	s_and_b64 s[50:51], vcc, s[2:3]
	s_mov_b64 s[2:3], 0
	s_and_saveexec_b64 s[54:55], s[50:51]
	s_xor_b64 s[50:51], exec, s[54:55]
	s_cbranch_execz .LBB52_65
; %bb.64:                               ;   in Loop: Header=BB52_3 Depth=1
	v_cvt_f32_u32_e32 v14, v16
	s_waitcnt vmcnt(0)
	v_mov_b32_e32 v11, v3
	v_mov_b32_e32 v15, 0x2f800000
	v_lshlrev_b64 v[10:11], 3, v[10:11]
	v_fmac_f32_e32 v15, 0x2f800000, v14
	s_waitcnt lgkmcnt(0)
	v_mov_b32_e32 v14, s15
	v_add_co_u32_e32 v10, vcc, s14, v10
	v_addc_co_u32_e32 v11, vcc, v14, v11, vcc
	v_cmp_le_f32_e32 vcc, v15, v9
	v_cndmask_b32_e64 v14, 0, 1, vcc
	v_mov_b32_e32 v15, s21
	s_mov_b64 s[2:3], exec
	global_store_dwordx2 v[10:11], v[14:15], off
.LBB52_65:                              ;   in Loop: Header=BB52_3 Depth=1
	s_or_b64 exec, exec, s[50:51]
	s_andn2_b64 s[50:51], s[44:45], exec
	s_or_b64 s[44:45], s[44:45], exec
	s_andn2_b64 s[46:47], s[46:47], exec
	s_and_b64 s[54:55], s[2:3], exec
.LBB52_66:                              ;   in Loop: Header=BB52_3 Depth=1
	s_or_b64 exec, exec, s[48:49]
	s_and_b64 s[50:51], s[50:51], exec
	s_and_b64 s[48:49], s[44:45], exec
	;; [unrolled: 1-line block ×5, first 2 shown]
.LBB52_67:                              ;   in Loop: Header=BB52_3 Depth=1
	s_andn2_saveexec_b64 s[2:3], s[52:53]
; %bb.68:                               ;   in Loop: Header=BB52_3 Depth=1
	v_cmp_lt_i32_e32 vcc, 1, v17
	s_andn2_b64 s[52:53], s[54:55], exec
	s_and_b64 s[54:55], vcc, exec
	s_mov_b64 s[4:5], exec
	s_andn2_b64 s[50:51], s[50:51], exec
	s_andn2_b64 s[48:49], s[48:49], exec
	;; [unrolled: 1-line block ×3, first 2 shown]
	s_or_b64 s[54:55], s[52:53], s[54:55]
; %bb.69:                               ;   in Loop: Header=BB52_3 Depth=1
	s_or_b64 exec, exec, s[2:3]
	s_mov_b64 s[2:3], 0
	s_mov_b64 s[52:53], s[50:51]
	s_and_saveexec_b64 s[56:57], s[54:55]
	s_cbranch_execnz .LBB52_72
; %bb.70:                               ;   in Loop: Header=BB52_3 Depth=1
	s_or_b64 exec, exec, s[56:57]
	s_and_saveexec_b64 s[54:55], s[4:5]
	s_cbranch_execnz .LBB52_75
.LBB52_71:                              ;   in Loop: Header=BB52_3 Depth=1
	s_or_b64 exec, exec, s[54:55]
	s_and_saveexec_b64 s[4:5], s[2:3]
	s_cbranch_execnz .LBB52_76
	s_branch .LBB52_79
.LBB52_72:                              ;   in Loop: Header=BB52_3 Depth=1
	s_waitcnt vmcnt(2)
	v_cmp_le_f32_e32 vcc, 0, v7
	v_cmp_ge_f32_e64 s[2:3], 1.0, v7
	s_and_b64 s[52:53], vcc, s[2:3]
	s_mov_b64 s[2:3], 0
	s_and_saveexec_b64 s[54:55], s[52:53]
	s_xor_b64 s[52:53], exec, s[54:55]
	s_cbranch_execz .LBB52_74
; %bb.73:                               ;   in Loop: Header=BB52_3 Depth=1
	v_cvt_f32_u32_e32 v10, v13
	s_waitcnt vmcnt(1)
	v_mov_b32_e32 v9, v3
	s_waitcnt vmcnt(0)
	v_mov_b32_e32 v11, 0x2f800000
	v_lshlrev_b64 v[8:9], 3, v[8:9]
	v_fmac_f32_e32 v11, 0x2f800000, v10
	s_waitcnt lgkmcnt(0)
	v_mov_b32_e32 v10, s15
	v_add_co_u32_e32 v8, vcc, s14, v8
	v_addc_co_u32_e32 v9, vcc, v10, v9, vcc
	v_cmp_le_f32_e32 vcc, v11, v7
	v_cndmask_b32_e64 v10, 0, 1, vcc
	v_mov_b32_e32 v11, s21
	s_mov_b64 s[2:3], exec
	global_store_dwordx2 v[8:9], v[10:11], off
.LBB52_74:                              ;   in Loop: Header=BB52_3 Depth=1
	s_or_b64 exec, exec, s[52:53]
	s_andn2_b64 s[52:53], s[50:51], exec
	s_or_b64 s[50:51], s[50:51], exec
	s_andn2_b64 s[48:49], s[48:49], exec
	s_andn2_b64 s[46:47], s[46:47], exec
	s_and_b64 s[2:3], s[2:3], exec
	s_andn2_b64 s[4:5], s[4:5], exec
	s_or_b64 exec, exec, s[56:57]
	s_and_saveexec_b64 s[54:55], s[4:5]
	s_cbranch_execz .LBB52_71
.LBB52_75:                              ;   in Loop: Header=BB52_3 Depth=1
	v_cmp_eq_u32_e32 vcc, 1, v17
	s_andn2_b64 s[2:3], s[2:3], exec
	s_and_b64 s[4:5], vcc, exec
	s_andn2_b64 s[52:53], s[52:53], exec
	s_andn2_b64 s[50:51], s[50:51], exec
	;; [unrolled: 1-line block ×4, first 2 shown]
	s_or_b64 s[44:45], s[44:45], exec
	s_or_b64 s[2:3], s[2:3], s[4:5]
	s_or_b64 exec, exec, s[54:55]
	s_and_saveexec_b64 s[4:5], s[2:3]
	s_cbranch_execz .LBB52_79
.LBB52_76:                              ;   in Loop: Header=BB52_3 Depth=1
	s_waitcnt vmcnt(3)
	v_cmp_le_f32_e32 vcc, 0, v2
	v_cmp_ge_f32_e64 s[2:3], 1.0, v2
	s_and_b64 s[56:57], vcc, s[2:3]
	s_mov_b64 s[2:3], 0
	s_and_saveexec_b64 s[54:55], s[56:57]
	s_cbranch_execz .LBB52_78
; %bb.77:                               ;   in Loop: Header=BB52_3 Depth=1
	v_cvt_f32_u32_e32 v8, v12
	s_waitcnt vmcnt(2)
	v_mov_b32_e32 v7, v3
	s_waitcnt vmcnt(1)
	v_mov_b32_e32 v9, 0x2f800000
	v_lshlrev_b64 v[6:7], 3, v[6:7]
	v_fmac_f32_e32 v9, 0x2f800000, v8
	s_waitcnt lgkmcnt(0)
	v_mov_b32_e32 v8, s15
	v_add_co_u32_e32 v6, vcc, s14, v6
	v_addc_co_u32_e32 v7, vcc, v8, v7, vcc
	v_cmp_le_f32_e32 vcc, v9, v2
	s_mov_b64 s[2:3], exec
	v_cndmask_b32_e64 v8, 0, 1, vcc
	v_mov_b32_e32 v9, s21
	global_store_dwordx2 v[6:7], v[8:9], off
.LBB52_78:                              ;   in Loop: Header=BB52_3 Depth=1
	s_or_b64 exec, exec, s[54:55]
	s_andn2_b64 s[44:45], s[44:45], exec
	s_and_b64 s[2:3], s[2:3], exec
	s_or_b64 s[52:53], s[52:53], exec
	s_andn2_b64 s[50:51], s[50:51], exec
	s_andn2_b64 s[48:49], s[48:49], exec
	;; [unrolled: 1-line block ×3, first 2 shown]
	s_or_b64 s[44:45], s[44:45], s[2:3]
.LBB52_79:                              ;   in Loop: Header=BB52_3 Depth=1
	s_or_b64 exec, exec, s[4:5]
	s_andn2_b64 s[4:5], s[42:43], exec
	s_and_b64 s[42:43], s[52:53], exec
	s_or_b64 s[42:43], s[4:5], s[42:43]
	s_andn2_b64 s[4:5], s[40:41], exec
	s_and_b64 s[40:41], s[50:51], exec
	s_or_b64 s[40:41], s[4:5], s[40:41]
	;; [unrolled: 3-line block ×3, first 2 shown]
	s_andn2_b64 s[4:5], s[36:37], exec
	s_and_b64 s[36:37], s[46:47], exec
	s_mov_b64 s[2:3], -1
	s_or_b64 s[36:37], s[4:5], s[36:37]
	s_and_saveexec_b64 s[4:5], s[44:45]
	s_cbranch_execz .LBB52_2
; %bb.80:                               ;   in Loop: Header=BB52_3 Depth=1
	v_add_u32_e32 v30, s61, v30
	v_cmp_le_u32_e32 vcc, s33, v30
	s_andn2_b64 s[42:43], s[42:43], exec
	s_andn2_b64 s[40:41], s[40:41], exec
	;; [unrolled: 1-line block ×4, first 2 shown]
	s_orn2_b64 s[2:3], vcc, exec
	s_branch .LBB52_2
.LBB52_81:
	s_or_b64 exec, exec, s[26:27]
	s_xor_b64 s[6:7], s[34:35], -1
	s_xor_b64 s[8:9], s[30:31], -1
	;; [unrolled: 1-line block ×3, first 2 shown]
	s_mov_b64 s[2:3], 0
	s_and_saveexec_b64 s[4:5], s[0:1]
	s_xor_b64 s[0:1], exec, s[4:5]
	s_cbranch_execnz .LBB52_86
; %bb.82:
	s_andn2_saveexec_b64 s[0:1], s[0:1]
	s_cbranch_execnz .LBB52_94
.LBB52_83:
	s_or_b64 exec, exec, s[0:1]
	s_and_b64 exec, exec, s[2:3]
.LBB52_84:
	; divergent unreachable
.LBB52_85:
	s_endpgm
.LBB52_86:
	s_mov_b64 s[4:5], 0
	s_and_saveexec_b64 s[2:3], s[8:9]
	s_xor_b64 s[2:3], exec, s[2:3]
	s_cbranch_execz .LBB52_92
; %bb.87:
	s_and_saveexec_b64 s[8:9], s[6:7]
	s_xor_b64 s[6:7], exec, s[8:9]
	s_cbranch_execz .LBB52_90
; %bb.88:
	s_and_saveexec_b64 s[8:9], s[18:19]
	s_xor_b64 s[8:9], exec, s[8:9]
	s_cbranch_execnz .LBB52_97
.LBB52_89:
	s_or_b64 exec, exec, s[8:9]
	s_and_b64 s[4:5], s[4:5], exec
.LBB52_90:
	s_andn2_saveexec_b64 s[6:7], s[6:7]
	s_cbranch_execnz .LBB52_96
.LBB52_91:
	s_or_b64 exec, exec, s[6:7]
	s_and_b64 s[4:5], s[4:5], exec
.LBB52_92:
	s_andn2_saveexec_b64 s[2:3], s[2:3]
	s_cbranch_execnz .LBB52_95
.LBB52_93:
	s_or_b64 exec, exec, s[2:3]
	s_and_b64 s[2:3], s[4:5], exec
	s_andn2_saveexec_b64 s[0:1], s[0:1]
	s_cbranch_execz .LBB52_83
.LBB52_94:
	s_or_b64 s[2:3], s[2:3], exec
	s_trap 2
	s_or_b64 exec, exec, s[0:1]
	s_and_b64 exec, exec, s[2:3]
	s_cbranch_execnz .LBB52_84
	s_branch .LBB52_85
.LBB52_95:
	s_or_b64 s[4:5], s[4:5], exec
	s_trap 2
	s_branch .LBB52_93
.LBB52_96:
	s_trap 2
	s_or_b64 s[4:5], s[4:5], exec
	s_branch .LBB52_91
.LBB52_97:
	s_mov_b64 s[4:5], exec
	s_trap 2
	s_branch .LBB52_89
	.section	.rodata,"a",@progbits
	.p2align	6, 0x0
	.amdhsa_kernel _ZN2at4cuda12_GLOBAL__N_121kernelPointwiseApply2IZNS_6native9templates4cuda28bernoulli_tensor_cuda_kernelIlfEEvRKNS_10TensorBaseES9_NS_15PhiloxCudaStateEEUliRlSB_SB_SB_RKfSD_SD_SD_E_lSC_jLin1ELin1ELi4ELi512ELi2EEEvNS0_6detail10TensorInfoIT0_T2_EENSG_IT1_SI_EESI_T_
		.amdhsa_group_segment_fixed_size 0
		.amdhsa_private_segment_fixed_size 0
		.amdhsa_kernarg_size 728
		.amdhsa_user_sgpr_count 6
		.amdhsa_user_sgpr_private_segment_buffer 1
		.amdhsa_user_sgpr_dispatch_ptr 0
		.amdhsa_user_sgpr_queue_ptr 0
		.amdhsa_user_sgpr_kernarg_segment_ptr 1
		.amdhsa_user_sgpr_dispatch_id 0
		.amdhsa_user_sgpr_flat_scratch_init 0
		.amdhsa_user_sgpr_kernarg_preload_length 0
		.amdhsa_user_sgpr_kernarg_preload_offset 0
		.amdhsa_user_sgpr_private_segment_size 0
		.amdhsa_uses_dynamic_stack 0
		.amdhsa_system_sgpr_private_segment_wavefront_offset 0
		.amdhsa_system_sgpr_workgroup_id_x 1
		.amdhsa_system_sgpr_workgroup_id_y 0
		.amdhsa_system_sgpr_workgroup_id_z 0
		.amdhsa_system_sgpr_workgroup_info 0
		.amdhsa_system_vgpr_workitem_id 0
		.amdhsa_next_free_vgpr 50
		.amdhsa_next_free_sgpr 65
		.amdhsa_accum_offset 52
		.amdhsa_reserve_vcc 1
		.amdhsa_reserve_flat_scratch 0
		.amdhsa_float_round_mode_32 0
		.amdhsa_float_round_mode_16_64 0
		.amdhsa_float_denorm_mode_32 3
		.amdhsa_float_denorm_mode_16_64 3
		.amdhsa_dx10_clamp 1
		.amdhsa_ieee_mode 1
		.amdhsa_fp16_overflow 0
		.amdhsa_tg_split 0
		.amdhsa_exception_fp_ieee_invalid_op 0
		.amdhsa_exception_fp_denorm_src 0
		.amdhsa_exception_fp_ieee_div_zero 0
		.amdhsa_exception_fp_ieee_overflow 0
		.amdhsa_exception_fp_ieee_underflow 0
		.amdhsa_exception_fp_ieee_inexact 0
		.amdhsa_exception_int_div_zero 0
	.end_amdhsa_kernel
	.section	.text._ZN2at4cuda12_GLOBAL__N_121kernelPointwiseApply2IZNS_6native9templates4cuda28bernoulli_tensor_cuda_kernelIlfEEvRKNS_10TensorBaseES9_NS_15PhiloxCudaStateEEUliRlSB_SB_SB_RKfSD_SD_SD_E_lSC_jLin1ELin1ELi4ELi512ELi2EEEvNS0_6detail10TensorInfoIT0_T2_EENSG_IT1_SI_EESI_T_,"axG",@progbits,_ZN2at4cuda12_GLOBAL__N_121kernelPointwiseApply2IZNS_6native9templates4cuda28bernoulli_tensor_cuda_kernelIlfEEvRKNS_10TensorBaseES9_NS_15PhiloxCudaStateEEUliRlSB_SB_SB_RKfSD_SD_SD_E_lSC_jLin1ELin1ELi4ELi512ELi2EEEvNS0_6detail10TensorInfoIT0_T2_EENSG_IT1_SI_EESI_T_,comdat
.Lfunc_end52:
	.size	_ZN2at4cuda12_GLOBAL__N_121kernelPointwiseApply2IZNS_6native9templates4cuda28bernoulli_tensor_cuda_kernelIlfEEvRKNS_10TensorBaseES9_NS_15PhiloxCudaStateEEUliRlSB_SB_SB_RKfSD_SD_SD_E_lSC_jLin1ELin1ELi4ELi512ELi2EEEvNS0_6detail10TensorInfoIT0_T2_EENSG_IT1_SI_EESI_T_, .Lfunc_end52-_ZN2at4cuda12_GLOBAL__N_121kernelPointwiseApply2IZNS_6native9templates4cuda28bernoulli_tensor_cuda_kernelIlfEEvRKNS_10TensorBaseES9_NS_15PhiloxCudaStateEEUliRlSB_SB_SB_RKfSD_SD_SD_E_lSC_jLin1ELin1ELi4ELi512ELi2EEEvNS0_6detail10TensorInfoIT0_T2_EENSG_IT1_SI_EESI_T_
                                        ; -- End function
	.section	.AMDGPU.csdata,"",@progbits
; Kernel info:
; codeLenInByte = 4516
; NumSgprs: 69
; NumVgprs: 50
; NumAgprs: 0
; TotalNumVgprs: 50
; ScratchSize: 0
; MemoryBound: 0
; FloatMode: 240
; IeeeMode: 1
; LDSByteSize: 0 bytes/workgroup (compile time only)
; SGPRBlocks: 8
; VGPRBlocks: 6
; NumSGPRsForWavesPerEU: 69
; NumVGPRsForWavesPerEU: 50
; AccumOffset: 52
; Occupancy: 8
; WaveLimiterHint : 1
; COMPUTE_PGM_RSRC2:SCRATCH_EN: 0
; COMPUTE_PGM_RSRC2:USER_SGPR: 6
; COMPUTE_PGM_RSRC2:TRAP_HANDLER: 0
; COMPUTE_PGM_RSRC2:TGID_X_EN: 1
; COMPUTE_PGM_RSRC2:TGID_Y_EN: 0
; COMPUTE_PGM_RSRC2:TGID_Z_EN: 0
; COMPUTE_PGM_RSRC2:TIDIG_COMP_CNT: 0
; COMPUTE_PGM_RSRC3_GFX90A:ACCUM_OFFSET: 12
; COMPUTE_PGM_RSRC3_GFX90A:TG_SPLIT: 0
	.section	.text._ZN2at4cuda12_GLOBAL__N_121kernelPointwiseApply2IZNS_6native9templates4cuda28bernoulli_tensor_cuda_kernelIlfEEvRKNS_10TensorBaseES9_NS_15PhiloxCudaStateEEUliRlSB_SB_SB_RKfSD_SD_SD_E_lSC_mLi1ELi1ELi4ELi512ELi2EEEvNS0_6detail10TensorInfoIT0_T2_EENSG_IT1_SI_EESI_T_,"axG",@progbits,_ZN2at4cuda12_GLOBAL__N_121kernelPointwiseApply2IZNS_6native9templates4cuda28bernoulli_tensor_cuda_kernelIlfEEvRKNS_10TensorBaseES9_NS_15PhiloxCudaStateEEUliRlSB_SB_SB_RKfSD_SD_SD_E_lSC_mLi1ELi1ELi4ELi512ELi2EEEvNS0_6detail10TensorInfoIT0_T2_EENSG_IT1_SI_EESI_T_,comdat
	.globl	_ZN2at4cuda12_GLOBAL__N_121kernelPointwiseApply2IZNS_6native9templates4cuda28bernoulli_tensor_cuda_kernelIlfEEvRKNS_10TensorBaseES9_NS_15PhiloxCudaStateEEUliRlSB_SB_SB_RKfSD_SD_SD_E_lSC_mLi1ELi1ELi4ELi512ELi2EEEvNS0_6detail10TensorInfoIT0_T2_EENSG_IT1_SI_EESI_T_ ; -- Begin function _ZN2at4cuda12_GLOBAL__N_121kernelPointwiseApply2IZNS_6native9templates4cuda28bernoulli_tensor_cuda_kernelIlfEEvRKNS_10TensorBaseES9_NS_15PhiloxCudaStateEEUliRlSB_SB_SB_RKfSD_SD_SD_E_lSC_mLi1ELi1ELi4ELi512ELi2EEEvNS0_6detail10TensorInfoIT0_T2_EENSG_IT1_SI_EESI_T_
	.p2align	8
	.type	_ZN2at4cuda12_GLOBAL__N_121kernelPointwiseApply2IZNS_6native9templates4cuda28bernoulli_tensor_cuda_kernelIlfEEvRKNS_10TensorBaseES9_NS_15PhiloxCudaStateEEUliRlSB_SB_SB_RKfSD_SD_SD_E_lSC_mLi1ELi1ELi4ELi512ELi2EEEvNS0_6detail10TensorInfoIT0_T2_EENSG_IT1_SI_EESI_T_,@function
_ZN2at4cuda12_GLOBAL__N_121kernelPointwiseApply2IZNS_6native9templates4cuda28bernoulli_tensor_cuda_kernelIlfEEvRKNS_10TensorBaseES9_NS_15PhiloxCudaStateEEUliRlSB_SB_SB_RKfSD_SD_SD_E_lSC_mLi1ELi1ELi4ELi512ELi2EEEvNS0_6detail10TensorInfoIT0_T2_EENSG_IT1_SI_EESI_T_: ; @_ZN2at4cuda12_GLOBAL__N_121kernelPointwiseApply2IZNS_6native9templates4cuda28bernoulli_tensor_cuda_kernelIlfEEvRKNS_10TensorBaseES9_NS_15PhiloxCudaStateEEUliRlSB_SB_SB_RKfSD_SD_SD_E_lSC_mLi1ELi1ELi4ELi512ELi2EEEvNS0_6detail10TensorInfoIT0_T2_EENSG_IT1_SI_EESI_T_
; %bb.0:
	s_load_dword s2, s[4:5], 0x374
	s_load_dwordx8 s[12:19], s[4:5], 0x340
	s_add_u32 s0, s4, 0x368
	s_addc_u32 s1, s5, 0
	v_mov_b32_e32 v1, 0
	s_waitcnt lgkmcnt(0)
	s_and_b32 s2, s2, 0xffff
	s_mul_i32 s6, s6, s2
	v_add_u32_e32 v5, s6, v0
	v_lshlrev_b32_e32 v0, 2, v5
	v_cmp_gt_u64_e32 vcc, s[12:13], v[0:1]
	s_and_saveexec_b64 s[6:7], vcc
	s_cbranch_execz .LBB53_43
; %bb.1:
	s_load_dword s3, s[0:1], 0x0
	s_load_dword s22, s[4:5], 0x360
	s_load_dwordx2 s[10:11], s[4:5], 0x0
	s_load_dwordx2 s[6:7], s[4:5], 0xd0
	;; [unrolled: 1-line block ×4, first 2 shown]
	s_waitcnt lgkmcnt(0)
	s_mul_i32 s3, s3, s2
	s_bitcmp1_b32 s22, 0
	s_mov_b32 s33, 0xcd9e8d57
	v_pk_mov_b32 v[6:7], s[6:7], s[6:7] op_sel:[0,1]
	s_cselect_b64 s[22:23], -1, 0
	v_mad_u64_u32 v[2:3], s[0:1], v5, s33, 0
	s_lshl_b32 s60, s3, 2
	v_mad_u64_u32 v[6:7], s[0:1], s6, v0, v[6:7]
	s_mul_i32 s0, s7, s60
	s_mul_hi_u32 s1, s6, s60
	v_add_co_u32_e32 v16, vcc, 2, v0
	s_add_i32 s62, s1, s0
	v_addc_co_u32_e64 v17, s[0:1], 0, 0, vcc
	v_add_co_u32_e32 v18, vcc, 3, v0
	v_mul_lo_u32 v10, s7, v16
	v_mul_lo_u32 v11, s6, v17
	v_mad_u64_u32 v[8:9], s[0:1], s6, v16, 0
	v_addc_co_u32_e64 v19, s[0:1], 0, 0, vcc
	v_add3_u32 v9, v9, v11, v10
	v_mul_lo_u32 v12, s7, v18
	v_mul_lo_u32 v13, s6, v19
	v_mad_u64_u32 v[10:11], s[0:1], s6, v18, 0
	v_mul_lo_u32 v14, s7, v0
	v_add3_u32 v11, v11, v13, v12
	v_mad_u64_u32 v[12:13], s[0:1], s6, v0, 0
	v_add_u32_e32 v7, v14, v7
	v_add_u32_e32 v13, v13, v14
	v_pk_mov_b32 v[14:15], s[8:9], s[8:9] op_sel:[0,1]
	v_mad_u64_u32 v[14:15], s[0:1], s8, v0, v[14:15]
	s_mul_i32 s0, s9, s60
	s_mul_hi_u32 s1, s8, s60
	s_add_i32 s64, s1, s0
	v_mul_lo_u32 v20, s9, v16
	v_mul_lo_u32 v21, s8, v17
	v_mad_u64_u32 v[16:17], s[0:1], s8, v16, 0
	v_add3_u32 v17, v17, v21, v20
	v_mul_lo_u32 v20, s9, v18
	v_mul_lo_u32 v21, s8, v19
	v_mad_u64_u32 v[18:19], s[0:1], s8, v18, 0
	v_mul_lo_u32 v22, s9, v0
	v_add3_u32 v19, v19, v21, v20
	v_mad_u64_u32 v[20:21], s[0:1], s8, v0, 0
	v_mov_b32_e32 v4, v3
	s_mov_b32 s61, 0
	v_sub_u32_e32 v3, s12, v0
	s_mul_i32 s63, s6, s60
	v_add_u32_e32 v15, v22, v15
	s_mul_i32 s65, s8, s60
	v_add_u32_e32 v21, v21, v22
	s_mov_b64 s[26:27], 0
	s_mov_b32 s66, 0xd2511f53
	v_mov_b32_e32 v38, s21
	s_mov_b32 s21, 0xf1bbcdc8
	s_mov_b64 s[42:43], 0
	s_mov_b64 s[46:47], 0
                                        ; implicit-def: $sgpr28_sgpr29
                                        ; implicit-def: $sgpr30_sgpr31
                                        ; implicit-def: $sgpr34_sgpr35
                                        ; implicit-def: $sgpr24_sgpr25
                                        ; implicit-def: $sgpr36_sgpr37
                                        ; implicit-def: $sgpr38_sgpr39
                                        ; implicit-def: $sgpr40_sgpr41
                                        ; implicit-def: $sgpr44_sgpr45
	s_branch .LBB53_3
.LBB53_2:                               ;   in Loop: Header=BB53_3 Depth=1
	s_or_b64 exec, exec, s[2:3]
	s_and_b64 s[0:1], exec, s[0:1]
	s_or_b64 s[26:27], s[0:1], s[26:27]
	s_andn2_b64 s[0:1], s[24:25], exec
	s_and_b64 s[2:3], s[44:45], exec
	s_or_b64 s[24:25], s[0:1], s[2:3]
	s_andn2_b64 s[0:1], s[34:35], exec
	s_and_b64 s[2:3], s[40:41], exec
	;; [unrolled: 3-line block ×4, first 2 shown]
	s_or_b64 s[28:29], s[0:1], s[2:3]
	s_andn2_b64 exec, exec, s[26:27]
	s_cbranch_execz .LBB53_39
.LBB53_3:                               ; =>This Inner Loop Header: Depth=1
	v_mov_b32_e32 v28, s43
	v_add_co_u32_e32 v22, vcc, s42, v20
	v_addc_co_u32_e32 v23, vcc, v21, v28, vcc
	v_add_co_u32_e32 v24, vcc, s42, v14
	v_addc_co_u32_e32 v25, vcc, v15, v28, vcc
	v_add_co_u32_e32 v26, vcc, s42, v16
	v_cmp_lt_i32_e64 s[0:1], 0, v3
	v_addc_co_u32_e32 v27, vcc, v17, v28, vcc
	v_cndmask_b32_e64 v23, 0, v23, s[0:1]
	v_cndmask_b32_e64 v22, 0, v22, s[0:1]
	v_add_co_u32_e32 v30, vcc, s42, v18
	v_cmp_lt_i32_e64 s[2:3], 1, v3
	v_addc_co_u32_e32 v28, vcc, v19, v28, vcc
	v_lshlrev_b64 v[22:23], 2, v[22:23]
	v_cndmask_b32_e64 v25, 0, v25, s[2:3]
	v_cndmask_b32_e64 v24, 0, v24, s[2:3]
	v_add_co_u32_e32 v22, vcc, s20, v22
	v_cmp_lt_i32_e64 s[4:5], 2, v3
	v_addc_co_u32_e32 v23, vcc, v38, v23, vcc
	v_lshlrev_b64 v[24:25], 2, v[24:25]
	;; [unrolled: 6-line block ×3, first 2 shown]
	v_cndmask_b32_e64 v29, 0, v28, s[6:7]
	v_cndmask_b32_e64 v28, 0, v30, s[6:7]
	v_add_co_u32_e32 v26, vcc, s20, v26
	v_addc_co_u32_e32 v27, vcc, v38, v27, vcc
	v_lshlrev_b64 v[28:29], 2, v[28:29]
	v_add_co_u32_e32 v28, vcc, s20, v28
	v_addc_co_u32_e32 v29, vcc, v38, v29, vcc
	global_load_dword v39, v[22:23], off
	global_load_dword v40, v[24:25], off
	;; [unrolled: 1-line block ×4, first 2 shown]
	s_andn2_b64 vcc, exec, s[22:23]
	v_pk_mov_b32 v[22:23], s[16:17], s[16:17] op_sel:[0,1]
	v_pk_mov_b32 v[24:25], s[14:15], s[14:15] op_sel:[0,1]
	s_cbranch_vccnz .LBB53_5
; %bb.4:                                ;   in Loop: Header=BB53_3 Depth=1
	v_pk_mov_b32 v[22:23], s[16:17], s[16:17] op_sel:[0,1]
	flat_load_dwordx2 v[22:23], v[22:23]
	v_pk_mov_b32 v[24:25], s[14:15], s[14:15] op_sel:[0,1]
	flat_load_dwordx2 v[24:25], v[24:25]
	v_mov_b32_e32 v26, s19
	s_waitcnt vmcnt(0) lgkmcnt(0)
	v_add_co_u32_e32 v22, vcc, s18, v22
	v_addc_co_u32_e32 v23, vcc, v23, v26, vcc
.LBB53_5:                               ;   in Loop: Header=BB53_3 Depth=1
	v_alignbit_b32 v34, v23, v22, 2
	v_lshrrev_b32_e32 v35, 2, v23
	v_xor_b32_e32 v26, v4, v24
	v_and_b32_e32 v43, 3, v22
	v_mad_u64_u32 v[22:23], s[8:9], v34, s66, 0
	v_xor_b32_e32 v26, v26, v35
	v_xor_b32_e32 v23, v23, v25
	v_add_u32_e32 v48, 0xbb67ae85, v25
	v_mad_u64_u32 v[26:27], s[8:9], v26, s66, 0
	v_mad_u64_u32 v[28:29], s[8:9], v23, s33, 0
	v_xor_b32_e32 v27, v48, v27
	v_add_u32_e32 v47, 0x9e3779b9, v24
	v_xor_b32_e32 v23, v2, v29
	v_xor_b32_e32 v27, v27, v22
	v_xor_b32_e32 v23, v23, v47
	v_add_u32_e32 v49, 0x3c6ef372, v24
	v_mad_u64_u32 v[30:31], s[8:9], v27, s33, 0
	v_add_u32_e32 v50, 0x76cf5d0a, v25
	v_mad_u64_u32 v[22:23], s[8:9], v23, s66, 0
	v_xor_b32_e32 v27, v49, v31
	v_xor_b32_e32 v27, v27, v28
	v_xor_b32_e32 v23, v50, v23
	v_xor_b32_e32 v23, v23, v26
	v_add_u32_e32 v52, 0x32370b8f, v25
	v_mad_u64_u32 v[26:27], s[8:9], v27, s66, 0
	v_add_u32_e32 v51, 0xdaa66d2b, v24
	v_mad_u64_u32 v[28:29], s[8:9], v23, s33, 0
	v_xor_b32_e32 v27, v52, v27
	;; [unrolled: 8-line block ×5, first 2 shown]
	v_xor_b32_e32 v27, v27, v28
	v_xor_b32_e32 v23, v58, v23
	v_xor_b32_e32 v23, v23, v26
	v_add_u32_e32 v60, 0x1fd5c5a3, v25
	v_mad_u64_u32 v[26:27], s[8:9], v27, s66, 0
	v_xor_b32_e32 v27, v60, v27
	v_xor_b32_e32 v22, v27, v22
	v_add_u32_e32 v59, 0x5384540f, v24
	v_mad_u64_u32 v[32:33], s[8:9], v23, s33, 0
	v_add_co_u32_e32 v45, vcc, s21, v24
	v_mad_u64_u32 v[28:29], s[8:9], v22, s33, 0
	v_xor_b32_e32 v23, v59, v33
	v_xor_b32_e32 v22, v45, v29
	;; [unrolled: 1-line block ×4, first 2 shown]
	v_mad_u64_u32 v[30:31], s[8:9], v23, s66, 0
	v_mad_u64_u32 v[22:23], s[8:9], v22, s66, 0
	v_add_u32_e32 v46, 0x96a522ad, v25
	v_xor_b32_e32 v23, v23, v30
	v_xor_b32_e32 v44, v46, v23
	v_add_co_u32_e32 v23, vcc, 1, v34
	v_cndmask_b32_e64 v30, 0, 1, vcc
	v_addc_co_u32_e32 v36, vcc, 0, v35, vcc
	v_cmp_eq_u32_e32 vcc, 0, v36
	v_cndmask_b32_e32 v30, 0, v30, vcc
	v_add_u32_e32 v34, v30, v5
	v_cmp_eq_u32_e32 vcc, 0, v34
	v_mad_u64_u32 v[32:33], s[8:9], v23, s66, 0
	v_mad_u64_u32 v[34:35], s[8:9], v34, s33, 0
	v_add_u32_e32 v29, 0x8ff34781, v24
	v_cndmask_b32_e32 v30, 0, v30, vcc
	v_xor_b32_e32 v23, v35, v24
	v_xor_b32_e32 v24, v33, v25
	v_xor_b32_e32 v30, v30, v24
	v_xor_b32_e32 v23, v36, v23
	v_mad_u64_u32 v[36:37], s[8:9], v30, s33, 0
	v_add_u32_e32 v27, 0xdb3d7428, v25
	v_mad_u64_u32 v[24:25], s[8:9], v23, s66, 0
	v_xor_b32_e32 v23, v47, v37
	v_xor_b32_e32 v23, v23, v34
	v_xor_b32_e32 v25, v48, v25
	v_xor_b32_e32 v25, v25, v32
	v_mad_u64_u32 v[32:33], s[8:9], v23, s66, 0
	v_mad_u64_u32 v[34:35], s[8:9], v25, s33, 0
	v_xor_b32_e32 v25, v50, v33
	v_xor_b32_e32 v23, v49, v35
	v_xor_b32_e32 v30, v25, v24
	v_xor_b32_e32 v23, v23, v36
	v_mad_u64_u32 v[36:37], s[8:9], v30, s33, 0
	;; [unrolled: 6-line block ×7, first 2 shown]
	v_xor_b32_e32 v23, v27, v35
	v_xor_b32_e32 v23, v23, v24
	v_mad_u64_u32 v[36:37], s[8:9], v25, s33, 0
	v_mad_u64_u32 v[24:25], s[8:9], v23, s33, 0
	v_xor_b32_e32 v23, v25, v36
	v_xor_b32_e32 v23, v29, v23
	v_cmp_lt_i32_e32 vcc, 1, v43
                                        ; implicit-def: $vgpr33
	s_and_saveexec_b64 s[8:9], vcc
	s_xor_b64 s[8:9], exec, s[8:9]
	s_cbranch_execz .LBB53_11
; %bb.6:                                ;   in Loop: Header=BB53_3 Depth=1
	v_cmp_lt_i32_e32 vcc, 2, v43
                                        ; implicit-def: $vgpr33
	s_and_saveexec_b64 s[48:49], vcc
	s_xor_b64 s[48:49], exec, s[48:49]
; %bb.7:                                ;   in Loop: Header=BB53_3 Depth=1
	v_xor_b32_e32 v25, v45, v37
	v_xor_b32_e32 v25, v25, v32
	v_mul_hi_u32 v25, v25, s66
	v_xor_b32_e32 v25, v25, v34
	v_xor_b32_e32 v33, v46, v25
                                        ; implicit-def: $vgpr44
; %bb.8:                                ;   in Loop: Header=BB53_3 Depth=1
	s_andn2_saveexec_b64 s[48:49], s[48:49]
; %bb.9:                                ;   in Loop: Header=BB53_3 Depth=1
	v_mov_b32_e32 v33, v24
	v_mov_b32_e32 v24, v23
	;; [unrolled: 1-line block ×4, first 2 shown]
; %bb.10:                               ;   in Loop: Header=BB53_3 Depth=1
	s_or_b64 exec, exec, s[48:49]
                                        ; implicit-def: $vgpr26_vgpr27
                                        ; implicit-def: $vgpr28_vgpr29
                                        ; implicit-def: $vgpr43
                                        ; implicit-def: $vgpr44
                                        ; implicit-def: $vgpr30_vgpr31
                                        ; implicit-def: $vgpr27
                                        ; implicit-def: $vgpr29
.LBB53_11:                              ;   in Loop: Header=BB53_3 Depth=1
	s_andn2_saveexec_b64 s[8:9], s[8:9]
	s_cbranch_execz .LBB53_15
; %bb.12:                               ;   in Loop: Header=BB53_3 Depth=1
	v_xor_b32_e32 v24, v27, v31
	v_xor_b32_e32 v24, v24, v26
	v_mad_u64_u32 v[26:27], s[48:49], v24, s33, 0
	v_xor_b32_e32 v24, v27, v28
	v_xor_b32_e32 v25, v29, v24
	v_cmp_eq_u32_e32 vcc, 1, v43
	v_mov_b32_e32 v33, v22
	v_mov_b32_e32 v24, v44
	;; [unrolled: 1-line block ×3, first 2 shown]
	s_and_saveexec_b64 s[48:49], vcc
; %bb.13:                               ;   in Loop: Header=BB53_3 Depth=1
	v_mov_b32_e32 v33, v23
	v_mov_b32_e32 v24, v22
	;; [unrolled: 1-line block ×4, first 2 shown]
; %bb.14:                               ;   in Loop: Header=BB53_3 Depth=1
	s_or_b64 exec, exec, s[48:49]
	v_mov_b32_e32 v22, v25
	v_mov_b32_e32 v23, v27
.LBB53_15:                              ;   in Loop: Header=BB53_3 Depth=1
	s_or_b64 exec, exec, s[8:9]
	v_min_i32_e32 v25, 4, v3
	v_cmp_lt_i32_e32 vcc, 2, v25
	s_mov_b64 s[48:49], 0
	s_mov_b64 s[58:59], 0
                                        ; implicit-def: $sgpr8_sgpr9
                                        ; implicit-def: $sgpr50_sgpr51
                                        ; implicit-def: $sgpr52_sgpr53
	s_and_saveexec_b64 s[54:55], vcc
	s_xor_b64 s[54:55], exec, s[54:55]
	s_cbranch_execz .LBB53_25
; %bb.16:                               ;   in Loop: Header=BB53_3 Depth=1
	v_cmp_lt_i32_e32 vcc, 3, v25
	s_mov_b64 s[52:53], -1
                                        ; implicit-def: $sgpr8_sgpr9
                                        ; implicit-def: $sgpr56_sgpr57
	s_and_saveexec_b64 s[50:51], vcc
	s_cbranch_execz .LBB53_20
; %bb.17:                               ;   in Loop: Header=BB53_3 Depth=1
	s_waitcnt vmcnt(0)
	v_cmp_le_f32_e32 vcc, 0, v42
	v_cmp_ge_f32_e64 s[8:9], 1.0, v42
	s_and_b64 s[58:59], vcc, s[8:9]
	s_mov_b64 s[8:9], 0
	s_mov_b64 s[52:53], 0
	s_and_saveexec_b64 s[56:57], s[58:59]
	s_cbranch_execz .LBB53_19
; %bb.18:                               ;   in Loop: Header=BB53_3 Depth=1
	v_cvt_f32_u32_e32 v26, v33
	v_mov_b32_e32 v28, 0x2f800000
	v_mov_b32_e32 v27, s47
	v_mov_b32_e32 v29, s11
	v_fmac_f32_e32 v28, 0x2f800000, v26
	v_add_co_u32_e32 v26, vcc, s46, v10
	v_addc_co_u32_e32 v27, vcc, v11, v27, vcc
	v_cndmask_b32_e64 v27, 0, v27, s[6:7]
	v_cndmask_b32_e64 v26, 0, v26, s[6:7]
	v_lshlrev_b64 v[26:27], 3, v[26:27]
	v_add_co_u32_e32 v26, vcc, s10, v26
	v_addc_co_u32_e32 v27, vcc, v29, v27, vcc
	v_cmp_le_f32_e32 vcc, v28, v42
	s_mov_b64 s[52:53], exec
	v_cndmask_b32_e64 v28, 0, 1, vcc
	v_mov_b32_e32 v29, s61
	global_store_dwordx2 v[26:27], v[28:29], off
.LBB53_19:                              ;   in Loop: Header=BB53_3 Depth=1
	s_or_b64 exec, exec, s[56:57]
	s_mov_b64 s[56:57], -1
	s_orn2_b64 s[52:53], s[52:53], exec
.LBB53_20:                              ;   in Loop: Header=BB53_3 Depth=1
	s_or_b64 exec, exec, s[50:51]
	s_mov_b64 s[6:7], 0
	s_mov_b64 s[58:59], s[8:9]
	s_and_saveexec_b64 s[50:51], s[52:53]
	s_cbranch_execz .LBB53_24
; %bb.21:                               ;   in Loop: Header=BB53_3 Depth=1
	s_waitcnt vmcnt(1)
	v_cmp_le_f32_e32 vcc, 0, v41
	v_cmp_ge_f32_e64 s[6:7], 1.0, v41
	s_and_b64 s[52:53], vcc, s[6:7]
	s_mov_b64 s[6:7], 0
	s_and_saveexec_b64 s[58:59], s[52:53]
	s_xor_b64 s[52:53], exec, s[58:59]
	s_cbranch_execz .LBB53_23
; %bb.22:                               ;   in Loop: Header=BB53_3 Depth=1
	v_cvt_f32_u32_e32 v24, v24
	v_mov_b32_e32 v28, 0x2f800000
	v_mov_b32_e32 v26, s47
	;; [unrolled: 1-line block ×3, first 2 shown]
	v_fmac_f32_e32 v28, 0x2f800000, v24
	v_add_co_u32_e32 v24, vcc, s46, v8
	v_addc_co_u32_e32 v26, vcc, v9, v26, vcc
	v_cndmask_b32_e64 v27, 0, v26, s[4:5]
	v_cndmask_b32_e64 v26, 0, v24, s[4:5]
	v_lshlrev_b64 v[26:27], 3, v[26:27]
	v_mov_b32_e32 v24, s11
	v_add_co_u32_e32 v26, vcc, s10, v26
	v_addc_co_u32_e32 v27, vcc, v24, v27, vcc
	v_cmp_le_f32_e32 vcc, v28, v41
	v_cndmask_b32_e64 v28, 0, 1, vcc
	s_mov_b64 s[6:7], exec
	global_store_dwordx2 v[26:27], v[28:29], off
.LBB53_23:                              ;   in Loop: Header=BB53_3 Depth=1
	s_or_b64 exec, exec, s[52:53]
	s_andn2_b64 s[58:59], s[8:9], exec
	s_or_b64 s[8:9], s[8:9], exec
	s_andn2_b64 s[56:57], s[56:57], exec
	s_and_b64 s[6:7], s[6:7], exec
.LBB53_24:                              ;   in Loop: Header=BB53_3 Depth=1
	s_or_b64 exec, exec, s[50:51]
	s_and_b64 s[52:53], s[58:59], exec
	s_and_b64 s[50:51], s[8:9], exec
	s_and_b64 s[8:9], s[56:57], exec
	s_and_b64 s[58:59], s[6:7], exec
.LBB53_25:                              ;   in Loop: Header=BB53_3 Depth=1
	s_andn2_saveexec_b64 s[4:5], s[54:55]
; %bb.26:                               ;   in Loop: Header=BB53_3 Depth=1
	v_cmp_lt_i32_e32 vcc, 1, v25
	s_andn2_b64 s[6:7], s[58:59], exec
	s_and_b64 s[54:55], vcc, exec
	s_mov_b64 s[48:49], exec
	s_andn2_b64 s[52:53], s[52:53], exec
	s_andn2_b64 s[50:51], s[50:51], exec
	;; [unrolled: 1-line block ×3, first 2 shown]
	s_or_b64 s[58:59], s[6:7], s[54:55]
; %bb.27:                               ;   in Loop: Header=BB53_3 Depth=1
	s_or_b64 exec, exec, s[4:5]
	s_mov_b64 s[6:7], 0
	s_mov_b64 s[54:55], 0
	;; [unrolled: 1-line block ×3, first 2 shown]
	s_and_saveexec_b64 s[56:57], s[58:59]
	s_cbranch_execnz .LBB53_30
; %bb.28:                               ;   in Loop: Header=BB53_3 Depth=1
	s_or_b64 exec, exec, s[56:57]
	s_and_saveexec_b64 s[2:3], s[48:49]
	s_cbranch_execnz .LBB53_33
.LBB53_29:                              ;   in Loop: Header=BB53_3 Depth=1
	s_or_b64 exec, exec, s[2:3]
	s_and_saveexec_b64 s[48:49], s[54:55]
	s_cbranch_execnz .LBB53_34
	s_branch .LBB53_37
.LBB53_30:                              ;   in Loop: Header=BB53_3 Depth=1
	s_waitcnt vmcnt(2)
	v_cmp_le_f32_e32 vcc, 0, v40
	v_cmp_ge_f32_e64 s[4:5], 1.0, v40
	s_and_b64 s[4:5], vcc, s[4:5]
	s_and_saveexec_b64 s[58:59], s[4:5]
	s_xor_b64 s[4:5], exec, s[58:59]
	s_cbranch_execz .LBB53_32
; %bb.31:                               ;   in Loop: Header=BB53_3 Depth=1
	v_cvt_f32_u32_e32 v23, v23
	v_mov_b32_e32 v24, 0x2f800000
	v_mov_b32_e32 v26, s47
	;; [unrolled: 1-line block ×3, first 2 shown]
	v_fmac_f32_e32 v24, 0x2f800000, v23
	v_add_co_u32_e32 v23, vcc, s46, v6
	v_addc_co_u32_e32 v26, vcc, v7, v26, vcc
	v_cndmask_b32_e64 v27, 0, v26, s[2:3]
	v_cndmask_b32_e64 v26, 0, v23, s[2:3]
	v_lshlrev_b64 v[26:27], 3, v[26:27]
	v_mov_b32_e32 v23, s11
	v_add_co_u32_e32 v26, vcc, s10, v26
	v_addc_co_u32_e32 v27, vcc, v23, v27, vcc
	v_cmp_le_f32_e32 vcc, v24, v40
	v_cndmask_b32_e64 v28, 0, 1, vcc
	s_mov_b64 s[54:55], exec
	global_store_dwordx2 v[26:27], v[28:29], off
.LBB53_32:                              ;   in Loop: Header=BB53_3 Depth=1
	s_or_b64 exec, exec, s[4:5]
	s_andn2_b64 s[4:5], s[52:53], exec
	s_or_b64 s[52:53], s[52:53], exec
	s_andn2_b64 s[50:51], s[50:51], exec
	s_andn2_b64 s[8:9], s[8:9], exec
	s_and_b64 s[54:55], s[54:55], exec
	s_andn2_b64 s[48:49], s[48:49], exec
	s_or_b64 exec, exec, s[56:57]
	s_and_saveexec_b64 s[2:3], s[48:49]
	s_cbranch_execz .LBB53_29
.LBB53_33:                              ;   in Loop: Header=BB53_3 Depth=1
	v_cmp_eq_u32_e32 vcc, 1, v25
	s_andn2_b64 s[48:49], s[54:55], exec
	s_and_b64 s[54:55], vcc, exec
	s_mov_b64 s[6:7], exec
	s_andn2_b64 s[4:5], s[4:5], exec
	s_andn2_b64 s[52:53], s[52:53], exec
	;; [unrolled: 1-line block ×4, first 2 shown]
	s_or_b64 s[54:55], s[48:49], s[54:55]
	s_or_b64 exec, exec, s[2:3]
	s_and_saveexec_b64 s[48:49], s[54:55]
	s_cbranch_execz .LBB53_37
.LBB53_34:                              ;   in Loop: Header=BB53_3 Depth=1
	s_waitcnt vmcnt(3)
	v_cmp_le_f32_e32 vcc, 0, v39
	v_cmp_ge_f32_e64 s[2:3], 1.0, v39
	s_and_b64 s[56:57], vcc, s[2:3]
	s_mov_b64 s[2:3], 0
	s_and_saveexec_b64 s[54:55], s[56:57]
	s_cbranch_execz .LBB53_36
; %bb.35:                               ;   in Loop: Header=BB53_3 Depth=1
	v_cvt_f32_u32_e32 v22, v22
	v_mov_b32_e32 v24, 0x2f800000
	v_mov_b32_e32 v23, s47
	;; [unrolled: 1-line block ×3, first 2 shown]
	v_fmac_f32_e32 v24, 0x2f800000, v22
	v_add_co_u32_e32 v22, vcc, s46, v12
	v_addc_co_u32_e32 v23, vcc, v13, v23, vcc
	v_cndmask_b32_e64 v23, 0, v23, s[0:1]
	v_cndmask_b32_e64 v22, 0, v22, s[0:1]
	v_lshlrev_b64 v[22:23], 3, v[22:23]
	v_add_co_u32_e32 v22, vcc, s10, v22
	v_addc_co_u32_e32 v23, vcc, v25, v23, vcc
	v_cmp_le_f32_e32 vcc, v24, v39
	s_mov_b64 s[2:3], exec
	v_cndmask_b32_e64 v24, 0, 1, vcc
	v_mov_b32_e32 v25, s61
	global_store_dwordx2 v[22:23], v[24:25], off
.LBB53_36:                              ;   in Loop: Header=BB53_3 Depth=1
	s_or_b64 exec, exec, s[54:55]
	s_andn2_b64 s[0:1], s[6:7], exec
	s_and_b64 s[2:3], s[2:3], exec
	s_or_b64 s[4:5], s[4:5], exec
	s_andn2_b64 s[52:53], s[52:53], exec
	s_andn2_b64 s[50:51], s[50:51], exec
	;; [unrolled: 1-line block ×3, first 2 shown]
	s_or_b64 s[6:7], s[0:1], s[2:3]
.LBB53_37:                              ;   in Loop: Header=BB53_3 Depth=1
	s_or_b64 exec, exec, s[48:49]
	s_andn2_b64 s[2:3], s[44:45], exec
	s_and_b64 s[4:5], s[4:5], exec
	s_or_b64 s[44:45], s[2:3], s[4:5]
	s_andn2_b64 s[2:3], s[40:41], exec
	s_and_b64 s[4:5], s[52:53], exec
	s_or_b64 s[40:41], s[2:3], s[4:5]
	;; [unrolled: 3-line block ×3, first 2 shown]
	s_andn2_b64 s[2:3], s[36:37], exec
	s_and_b64 s[4:5], s[8:9], exec
	s_mov_b64 s[0:1], -1
	s_or_b64 s[36:37], s[2:3], s[4:5]
	s_and_saveexec_b64 s[2:3], s[6:7]
	s_cbranch_execz .LBB53_2
; %bb.38:                               ;   in Loop: Header=BB53_3 Depth=1
	v_mov_b32_e32 v22, s61
	v_add_co_u32_e32 v0, vcc, s60, v0
	s_add_u32 s46, s46, s63
	v_addc_co_u32_e32 v1, vcc, v1, v22, vcc
	s_addc_u32 s47, s47, s62
	s_add_u32 s42, s42, s65
	v_cmp_le_u64_e32 vcc, s[12:13], v[0:1]
	v_subrev_u32_e32 v3, s60, v3
	s_addc_u32 s43, s43, s64
	s_andn2_b64 s[44:45], s[44:45], exec
	s_andn2_b64 s[40:41], s[40:41], exec
	;; [unrolled: 1-line block ×4, first 2 shown]
	s_orn2_b64 s[0:1], vcc, exec
	s_branch .LBB53_2
.LBB53_39:
	s_or_b64 exec, exec, s[26:27]
	s_xor_b64 s[6:7], s[34:35], -1
	s_xor_b64 s[8:9], s[30:31], -1
	;; [unrolled: 1-line block ×3, first 2 shown]
	s_mov_b64 s[2:3], 0
	s_and_saveexec_b64 s[4:5], s[0:1]
	s_xor_b64 s[0:1], exec, s[4:5]
	s_cbranch_execnz .LBB53_44
; %bb.40:
	s_andn2_saveexec_b64 s[0:1], s[0:1]
	s_cbranch_execnz .LBB53_52
.LBB53_41:
	s_or_b64 exec, exec, s[0:1]
	s_and_b64 exec, exec, s[2:3]
.LBB53_42:
	; divergent unreachable
.LBB53_43:
	s_endpgm
.LBB53_44:
	s_mov_b64 s[4:5], 0
	s_and_saveexec_b64 s[2:3], s[8:9]
	s_xor_b64 s[2:3], exec, s[2:3]
	s_cbranch_execz .LBB53_50
; %bb.45:
	s_and_saveexec_b64 s[8:9], s[6:7]
	s_xor_b64 s[6:7], exec, s[8:9]
	s_cbranch_execz .LBB53_48
; %bb.46:
	s_and_saveexec_b64 s[8:9], s[24:25]
	s_xor_b64 s[8:9], exec, s[8:9]
	s_cbranch_execnz .LBB53_55
.LBB53_47:
	s_or_b64 exec, exec, s[8:9]
	s_and_b64 s[4:5], s[4:5], exec
.LBB53_48:
	s_andn2_saveexec_b64 s[6:7], s[6:7]
	s_cbranch_execnz .LBB53_54
.LBB53_49:
	s_or_b64 exec, exec, s[6:7]
	s_and_b64 s[4:5], s[4:5], exec
.LBB53_50:
	s_andn2_saveexec_b64 s[2:3], s[2:3]
	s_cbranch_execnz .LBB53_53
.LBB53_51:
	s_or_b64 exec, exec, s[2:3]
	s_and_b64 s[2:3], s[4:5], exec
	s_andn2_saveexec_b64 s[0:1], s[0:1]
	s_cbranch_execz .LBB53_41
.LBB53_52:
	s_or_b64 s[2:3], s[2:3], exec
	s_trap 2
	s_or_b64 exec, exec, s[0:1]
	s_and_b64 exec, exec, s[2:3]
	s_cbranch_execnz .LBB53_42
	s_branch .LBB53_43
.LBB53_53:
	s_or_b64 s[4:5], s[4:5], exec
	s_trap 2
	s_branch .LBB53_51
.LBB53_54:
	s_trap 2
	s_or_b64 s[4:5], s[4:5], exec
	s_branch .LBB53_49
.LBB53_55:
	s_mov_b64 s[4:5], exec
	s_trap 2
	s_branch .LBB53_47
	.section	.rodata,"a",@progbits
	.p2align	6, 0x0
	.amdhsa_kernel _ZN2at4cuda12_GLOBAL__N_121kernelPointwiseApply2IZNS_6native9templates4cuda28bernoulli_tensor_cuda_kernelIlfEEvRKNS_10TensorBaseES9_NS_15PhiloxCudaStateEEUliRlSB_SB_SB_RKfSD_SD_SD_E_lSC_mLi1ELi1ELi4ELi512ELi2EEEvNS0_6detail10TensorInfoIT0_T2_EENSG_IT1_SI_EESI_T_
		.amdhsa_group_segment_fixed_size 0
		.amdhsa_private_segment_fixed_size 0
		.amdhsa_kernarg_size 1128
		.amdhsa_user_sgpr_count 6
		.amdhsa_user_sgpr_private_segment_buffer 1
		.amdhsa_user_sgpr_dispatch_ptr 0
		.amdhsa_user_sgpr_queue_ptr 0
		.amdhsa_user_sgpr_kernarg_segment_ptr 1
		.amdhsa_user_sgpr_dispatch_id 0
		.amdhsa_user_sgpr_flat_scratch_init 0
		.amdhsa_user_sgpr_kernarg_preload_length 0
		.amdhsa_user_sgpr_kernarg_preload_offset 0
		.amdhsa_user_sgpr_private_segment_size 0
		.amdhsa_uses_dynamic_stack 0
		.amdhsa_system_sgpr_private_segment_wavefront_offset 0
		.amdhsa_system_sgpr_workgroup_id_x 1
		.amdhsa_system_sgpr_workgroup_id_y 0
		.amdhsa_system_sgpr_workgroup_id_z 0
		.amdhsa_system_sgpr_workgroup_info 0
		.amdhsa_system_vgpr_workitem_id 0
		.amdhsa_next_free_vgpr 61
		.amdhsa_next_free_sgpr 67
		.amdhsa_accum_offset 64
		.amdhsa_reserve_vcc 1
		.amdhsa_reserve_flat_scratch 0
		.amdhsa_float_round_mode_32 0
		.amdhsa_float_round_mode_16_64 0
		.amdhsa_float_denorm_mode_32 3
		.amdhsa_float_denorm_mode_16_64 3
		.amdhsa_dx10_clamp 1
		.amdhsa_ieee_mode 1
		.amdhsa_fp16_overflow 0
		.amdhsa_tg_split 0
		.amdhsa_exception_fp_ieee_invalid_op 0
		.amdhsa_exception_fp_denorm_src 0
		.amdhsa_exception_fp_ieee_div_zero 0
		.amdhsa_exception_fp_ieee_overflow 0
		.amdhsa_exception_fp_ieee_underflow 0
		.amdhsa_exception_fp_ieee_inexact 0
		.amdhsa_exception_int_div_zero 0
	.end_amdhsa_kernel
	.section	.text._ZN2at4cuda12_GLOBAL__N_121kernelPointwiseApply2IZNS_6native9templates4cuda28bernoulli_tensor_cuda_kernelIlfEEvRKNS_10TensorBaseES9_NS_15PhiloxCudaStateEEUliRlSB_SB_SB_RKfSD_SD_SD_E_lSC_mLi1ELi1ELi4ELi512ELi2EEEvNS0_6detail10TensorInfoIT0_T2_EENSG_IT1_SI_EESI_T_,"axG",@progbits,_ZN2at4cuda12_GLOBAL__N_121kernelPointwiseApply2IZNS_6native9templates4cuda28bernoulli_tensor_cuda_kernelIlfEEvRKNS_10TensorBaseES9_NS_15PhiloxCudaStateEEUliRlSB_SB_SB_RKfSD_SD_SD_E_lSC_mLi1ELi1ELi4ELi512ELi2EEEvNS0_6detail10TensorInfoIT0_T2_EENSG_IT1_SI_EESI_T_,comdat
.Lfunc_end53:
	.size	_ZN2at4cuda12_GLOBAL__N_121kernelPointwiseApply2IZNS_6native9templates4cuda28bernoulli_tensor_cuda_kernelIlfEEvRKNS_10TensorBaseES9_NS_15PhiloxCudaStateEEUliRlSB_SB_SB_RKfSD_SD_SD_E_lSC_mLi1ELi1ELi4ELi512ELi2EEEvNS0_6detail10TensorInfoIT0_T2_EENSG_IT1_SI_EESI_T_, .Lfunc_end53-_ZN2at4cuda12_GLOBAL__N_121kernelPointwiseApply2IZNS_6native9templates4cuda28bernoulli_tensor_cuda_kernelIlfEEvRKNS_10TensorBaseES9_NS_15PhiloxCudaStateEEUliRlSB_SB_SB_RKfSD_SD_SD_E_lSC_mLi1ELi1ELi4ELi512ELi2EEEvNS0_6detail10TensorInfoIT0_T2_EENSG_IT1_SI_EESI_T_
                                        ; -- End function
	.section	.AMDGPU.csdata,"",@progbits
; Kernel info:
; codeLenInByte = 2932
; NumSgprs: 71
; NumVgprs: 61
; NumAgprs: 0
; TotalNumVgprs: 61
; ScratchSize: 0
; MemoryBound: 0
; FloatMode: 240
; IeeeMode: 1
; LDSByteSize: 0 bytes/workgroup (compile time only)
; SGPRBlocks: 8
; VGPRBlocks: 7
; NumSGPRsForWavesPerEU: 71
; NumVGPRsForWavesPerEU: 61
; AccumOffset: 64
; Occupancy: 8
; WaveLimiterHint : 1
; COMPUTE_PGM_RSRC2:SCRATCH_EN: 0
; COMPUTE_PGM_RSRC2:USER_SGPR: 6
; COMPUTE_PGM_RSRC2:TRAP_HANDLER: 0
; COMPUTE_PGM_RSRC2:TGID_X_EN: 1
; COMPUTE_PGM_RSRC2:TGID_Y_EN: 0
; COMPUTE_PGM_RSRC2:TGID_Z_EN: 0
; COMPUTE_PGM_RSRC2:TIDIG_COMP_CNT: 0
; COMPUTE_PGM_RSRC3_GFX90A:ACCUM_OFFSET: 15
; COMPUTE_PGM_RSRC3_GFX90A:TG_SPLIT: 0
	.section	.text._ZN2at4cuda12_GLOBAL__N_121kernelPointwiseApply2IZNS_6native9templates4cuda28bernoulli_tensor_cuda_kernelIlfEEvRKNS_10TensorBaseES9_NS_15PhiloxCudaStateEEUliRlSB_SB_SB_RKfSD_SD_SD_E_lSC_mLin1ELin1ELi4ELi512ELi2EEEvNS0_6detail10TensorInfoIT0_T2_EENSG_IT1_SI_EESI_T_,"axG",@progbits,_ZN2at4cuda12_GLOBAL__N_121kernelPointwiseApply2IZNS_6native9templates4cuda28bernoulli_tensor_cuda_kernelIlfEEvRKNS_10TensorBaseES9_NS_15PhiloxCudaStateEEUliRlSB_SB_SB_RKfSD_SD_SD_E_lSC_mLin1ELin1ELi4ELi512ELi2EEEvNS0_6detail10TensorInfoIT0_T2_EENSG_IT1_SI_EESI_T_,comdat
	.globl	_ZN2at4cuda12_GLOBAL__N_121kernelPointwiseApply2IZNS_6native9templates4cuda28bernoulli_tensor_cuda_kernelIlfEEvRKNS_10TensorBaseES9_NS_15PhiloxCudaStateEEUliRlSB_SB_SB_RKfSD_SD_SD_E_lSC_mLin1ELin1ELi4ELi512ELi2EEEvNS0_6detail10TensorInfoIT0_T2_EENSG_IT1_SI_EESI_T_ ; -- Begin function _ZN2at4cuda12_GLOBAL__N_121kernelPointwiseApply2IZNS_6native9templates4cuda28bernoulli_tensor_cuda_kernelIlfEEvRKNS_10TensorBaseES9_NS_15PhiloxCudaStateEEUliRlSB_SB_SB_RKfSD_SD_SD_E_lSC_mLin1ELin1ELi4ELi512ELi2EEEvNS0_6detail10TensorInfoIT0_T2_EENSG_IT1_SI_EESI_T_
	.p2align	8
	.type	_ZN2at4cuda12_GLOBAL__N_121kernelPointwiseApply2IZNS_6native9templates4cuda28bernoulli_tensor_cuda_kernelIlfEEvRKNS_10TensorBaseES9_NS_15PhiloxCudaStateEEUliRlSB_SB_SB_RKfSD_SD_SD_E_lSC_mLin1ELin1ELi4ELi512ELi2EEEvNS0_6detail10TensorInfoIT0_T2_EENSG_IT1_SI_EESI_T_,@function
_ZN2at4cuda12_GLOBAL__N_121kernelPointwiseApply2IZNS_6native9templates4cuda28bernoulli_tensor_cuda_kernelIlfEEvRKNS_10TensorBaseES9_NS_15PhiloxCudaStateEEUliRlSB_SB_SB_RKfSD_SD_SD_E_lSC_mLin1ELin1ELi4ELi512ELi2EEEvNS0_6detail10TensorInfoIT0_T2_EENSG_IT1_SI_EESI_T_: ; @_ZN2at4cuda12_GLOBAL__N_121kernelPointwiseApply2IZNS_6native9templates4cuda28bernoulli_tensor_cuda_kernelIlfEEvRKNS_10TensorBaseES9_NS_15PhiloxCudaStateEEUliRlSB_SB_SB_RKfSD_SD_SD_E_lSC_mLin1ELin1ELi4ELi512ELi2EEEvNS0_6detail10TensorInfoIT0_T2_EENSG_IT1_SI_EESI_T_
; %bb.0:
	s_load_dword s2, s[4:5], 0x374
	s_load_dwordx8 s[8:15], s[4:5], 0x340
	s_add_u32 s0, s4, 0x368
	s_addc_u32 s1, s5, 0
	v_mov_b32_e32 v2, 0
	s_waitcnt lgkmcnt(0)
	s_and_b32 s2, s2, 0xffff
	s_mul_i32 s6, s6, s2
	v_add_u32_e32 v7, s6, v0
	v_lshlrev_b32_e32 v0, 2, v7
	v_mov_b32_e32 v1, v2
	v_cmp_gt_u64_e32 vcc, s[8:9], v[0:1]
	s_and_saveexec_b64 s[6:7], vcc
	s_cbranch_execz .LBB54_114
; %bb.1:
	s_load_dword s0, s[0:1], 0x0
	s_add_u32 s6, s4, 0x1a0
	s_load_dword s7, s[4:5], 0x198
	s_load_dwordx2 s[20:21], s[4:5], 0x270
	s_addc_u32 s28, s5, 0
	s_waitcnt lgkmcnt(0)
	s_mul_i32 s29, s0, s2
	s_load_dword s2, s[4:5], 0x360
	s_load_dword s34, s[4:5], 0x338
	s_load_dwordx2 s[16:17], s[4:5], 0x1a0
	s_load_dwordx2 s[18:19], s[4:5], 0xd0
	;; [unrolled: 1-line block ×3, first 2 shown]
	s_cmp_gt_i32 s7, 1
	s_cselect_b64 s[0:1], -1, 0
	s_waitcnt lgkmcnt(0)
	s_cmp_gt_i32 s34, 1
	s_mov_b32 s33, 0xcd9e8d57
	s_cselect_b64 s[22:23], -1, 0
	s_bitcmp1_b32 s2, 0
	v_mad_u64_u32 v[4:5], s[2:3], v7, s33, 0
	s_mov_b32 s63, 0
	s_cselect_b64 s[26:27], -1, 0
	s_add_i32 s2, s7, -1
	s_mov_b32 s3, s63
	s_lshl_b32 s62, s29, 2
	s_add_i32 s64, s7, 1
	s_lshl_b64 s[2:3], s[2:3], 3
	s_add_u32 s2, s2, s4
	s_addc_u32 s3, s3, s5
	s_add_u32 s30, s2, 8
	s_addc_u32 s31, s3, 0
	s_add_i32 s2, s34, -1
	s_mov_b32 s3, s63
	s_add_i32 s65, s34, 1
	s_lshl_b64 s[2:3], s[2:3], 3
	s_add_u32 s2, s2, s6
	s_addc_u32 s3, s3, s28
	s_add_u32 s34, s2, 8
	v_mov_b32_e32 v6, v5
	s_addc_u32 s35, s3, 0
	s_mov_b64 s[36:37], 0
	v_cndmask_b32_e64 v5, 0, 1, s[0:1]
	s_mov_b32 s66, 0xd2511f53
	s_mov_b32 s67, 0xf1bbcdc8
                                        ; implicit-def: $sgpr38_sgpr39
                                        ; implicit-def: $sgpr40_sgpr41
                                        ; implicit-def: $sgpr42_sgpr43
                                        ; implicit-def: $sgpr28_sgpr29
                                        ; implicit-def: $sgpr44_sgpr45
                                        ; implicit-def: $sgpr46_sgpr47
                                        ; implicit-def: $sgpr48_sgpr49
                                        ; implicit-def: $sgpr50_sgpr51
	s_branch .LBB54_3
.LBB54_2:                               ;   in Loop: Header=BB54_3 Depth=1
	s_or_b64 exec, exec, s[2:3]
	s_and_b64 s[0:1], exec, s[0:1]
	s_or_b64 s[36:37], s[0:1], s[36:37]
	s_andn2_b64 s[0:1], s[28:29], exec
	s_and_b64 s[2:3], s[50:51], exec
	s_or_b64 s[28:29], s[0:1], s[2:3]
	s_andn2_b64 s[0:1], s[42:43], exec
	s_and_b64 s[2:3], s[48:49], exec
	;; [unrolled: 3-line block ×4, first 2 shown]
	s_or_b64 s[38:39], s[0:1], s[2:3]
	s_andn2_b64 exec, exec, s[36:37]
	s_cbranch_execz .LBB54_110
.LBB54_3:                               ; =>This Loop Header: Depth=1
                                        ;     Child Loop BB54_5 Depth 2
                                        ;     Child Loop BB54_14 Depth 2
                                        ;     Child Loop BB54_23 Depth 2
                                        ;     Child Loop BB54_42 Depth 2
                                        ;     Child Loop BB54_35 Depth 2
                                        ;     Child Loop BB54_59 Depth 2
                                        ;     Child Loop BB54_52 Depth 2
                                        ;     Child Loop BB54_97 Depth 2
	v_sub_u32_e32 v32, s8, v0
	v_cmp_lt_i32_e64 s[4:5], 0, v32
	v_pk_mov_b32 v[8:9], 0, 0
	v_cmp_ne_u32_e64 s[0:1], 1, v5
	s_and_saveexec_b64 s[6:7], s[4:5]
	s_cbranch_execz .LBB54_12
; %bb.4:                                ;   in Loop: Header=BB54_3 Depth=1
	s_and_b64 vcc, exec, s[0:1]
	v_pk_mov_b32 v[8:9], 0, 0
	s_mov_b64 s[52:53], s[30:31]
	s_mov_b32 s58, s64
	v_pk_mov_b32 v[10:11], v[0:1], v[0:1] op_sel:[0,1]
	v_pk_mov_b32 v[12:13], v[0:1], v[0:1] op_sel:[0,1]
	s_cbranch_vccnz .LBB54_11
.LBB54_5:                               ;   Parent Loop BB54_3 Depth=1
                                        ; =>  This Inner Loop Header: Depth=2
	s_load_dwordx2 s[54:55], s[52:53], 0x0
                                        ; implicit-def: $vgpr12_vgpr13
	s_waitcnt vmcnt(3) lgkmcnt(0)
	v_or_b32_e32 v3, s55, v11
	v_cmp_ne_u64_e32 vcc, 0, v[2:3]
	s_and_saveexec_b64 s[2:3], vcc
	s_xor_b64 s[56:57], exec, s[2:3]
	s_cbranch_execz .LBB54_7
; %bb.6:                                ;   in Loop: Header=BB54_5 Depth=2
	v_cvt_f32_u32_e32 v3, s54
	v_cvt_f32_u32_e32 v12, s55
	s_sub_u32 s2, 0, s54
	s_subb_u32 s3, 0, s55
	v_mac_f32_e32 v3, 0x4f800000, v12
	v_rcp_f32_e32 v3, v3
	v_mul_f32_e32 v3, 0x5f7ffffc, v3
	v_mul_f32_e32 v12, 0x2f800000, v3
	v_trunc_f32_e32 v12, v12
	v_mac_f32_e32 v3, 0xcf800000, v12
	v_cvt_u32_f32_e32 v12, v12
	v_cvt_u32_f32_e32 v3, v3
	v_mul_lo_u32 v13, s2, v12
	v_mul_hi_u32 v15, s2, v3
	v_mul_lo_u32 v14, s3, v3
	v_add_u32_e32 v13, v15, v13
	v_mul_lo_u32 v16, s2, v3
	v_add_u32_e32 v13, v13, v14
	v_mul_hi_u32 v15, v3, v16
	v_mul_lo_u32 v17, v3, v13
	v_mul_hi_u32 v14, v3, v13
	v_add_co_u32_e32 v15, vcc, v15, v17
	v_addc_co_u32_e32 v14, vcc, 0, v14, vcc
	v_mul_hi_u32 v18, v12, v16
	v_mul_lo_u32 v16, v12, v16
	v_add_co_u32_e32 v15, vcc, v15, v16
	v_mul_hi_u32 v17, v12, v13
	v_addc_co_u32_e32 v14, vcc, v14, v18, vcc
	v_addc_co_u32_e32 v15, vcc, 0, v17, vcc
	v_mul_lo_u32 v13, v12, v13
	v_add_co_u32_e32 v13, vcc, v14, v13
	v_addc_co_u32_e32 v14, vcc, 0, v15, vcc
	v_add_co_u32_e32 v3, vcc, v3, v13
	v_addc_co_u32_e32 v12, vcc, v12, v14, vcc
	v_mul_lo_u32 v13, s2, v12
	v_mul_hi_u32 v14, s2, v3
	v_add_u32_e32 v13, v14, v13
	v_mul_lo_u32 v14, s3, v3
	v_add_u32_e32 v13, v13, v14
	v_mul_lo_u32 v15, s2, v3
	v_mul_hi_u32 v16, v12, v15
	v_mul_lo_u32 v17, v12, v15
	v_mul_lo_u32 v19, v3, v13
	v_mul_hi_u32 v15, v3, v15
	v_mul_hi_u32 v18, v3, v13
	v_add_co_u32_e32 v15, vcc, v15, v19
	v_addc_co_u32_e32 v18, vcc, 0, v18, vcc
	v_add_co_u32_e32 v15, vcc, v15, v17
	v_mul_hi_u32 v14, v12, v13
	v_addc_co_u32_e32 v15, vcc, v18, v16, vcc
	v_addc_co_u32_e32 v14, vcc, 0, v14, vcc
	v_mul_lo_u32 v13, v12, v13
	v_add_co_u32_e32 v13, vcc, v15, v13
	v_addc_co_u32_e32 v14, vcc, 0, v14, vcc
	v_add_co_u32_e32 v3, vcc, v3, v13
	v_addc_co_u32_e32 v14, vcc, v12, v14, vcc
	v_mad_u64_u32 v[12:13], s[2:3], v10, v14, 0
	v_mul_hi_u32 v15, v10, v3
	v_add_co_u32_e32 v16, vcc, v15, v12
	v_addc_co_u32_e32 v17, vcc, 0, v13, vcc
	v_mad_u64_u32 v[12:13], s[2:3], v11, v14, 0
	v_mad_u64_u32 v[14:15], s[2:3], v11, v3, 0
	v_add_co_u32_e32 v3, vcc, v16, v14
	v_addc_co_u32_e32 v3, vcc, v17, v15, vcc
	v_addc_co_u32_e32 v13, vcc, 0, v13, vcc
	v_add_co_u32_e32 v3, vcc, v3, v12
	v_addc_co_u32_e32 v14, vcc, 0, v13, vcc
	v_mul_lo_u32 v15, s55, v3
	v_mul_lo_u32 v16, s54, v14
	v_mad_u64_u32 v[12:13], s[2:3], s54, v3, 0
	v_add3_u32 v13, v13, v16, v15
	v_sub_u32_e32 v15, v11, v13
	v_mov_b32_e32 v16, s55
	v_sub_co_u32_e32 v12, vcc, v10, v12
	v_subb_co_u32_e64 v15, s[2:3], v15, v16, vcc
	v_subrev_co_u32_e64 v16, s[2:3], s54, v12
	v_subbrev_co_u32_e64 v15, s[2:3], 0, v15, s[2:3]
	v_cmp_le_u32_e64 s[2:3], s55, v15
	v_cndmask_b32_e64 v17, 0, -1, s[2:3]
	v_cmp_le_u32_e64 s[2:3], s54, v16
	v_cndmask_b32_e64 v16, 0, -1, s[2:3]
	v_cmp_eq_u32_e64 s[2:3], s55, v15
	v_cndmask_b32_e64 v15, v17, v16, s[2:3]
	v_add_co_u32_e64 v16, s[2:3], 2, v3
	v_addc_co_u32_e64 v17, s[2:3], 0, v14, s[2:3]
	v_add_co_u32_e64 v18, s[2:3], 1, v3
	v_addc_co_u32_e64 v19, s[2:3], 0, v14, s[2:3]
	v_subb_co_u32_e32 v13, vcc, v11, v13, vcc
	v_cmp_ne_u32_e64 s[2:3], 0, v15
	v_cmp_le_u32_e32 vcc, s55, v13
	v_cndmask_b32_e64 v15, v19, v17, s[2:3]
	v_cndmask_b32_e64 v17, 0, -1, vcc
	v_cmp_le_u32_e32 vcc, s54, v12
	v_cndmask_b32_e64 v12, 0, -1, vcc
	v_cmp_eq_u32_e32 vcc, s55, v13
	v_cndmask_b32_e32 v12, v17, v12, vcc
	v_cmp_ne_u32_e32 vcc, 0, v12
	v_cndmask_b32_e64 v12, v18, v16, s[2:3]
	v_cndmask_b32_e32 v13, v14, v15, vcc
	v_cndmask_b32_e32 v12, v3, v12, vcc
.LBB54_7:                               ;   in Loop: Header=BB54_5 Depth=2
	s_andn2_saveexec_b64 s[2:3], s[56:57]
	s_cbranch_execz .LBB54_9
; %bb.8:                                ;   in Loop: Header=BB54_5 Depth=2
	v_cvt_f32_u32_e32 v3, s54
	s_sub_i32 s56, 0, s54
	v_rcp_iflag_f32_e32 v3, v3
	v_mul_f32_e32 v3, 0x4f7ffffe, v3
	v_cvt_u32_f32_e32 v3, v3
	v_mul_lo_u32 v12, s56, v3
	v_mul_hi_u32 v12, v3, v12
	v_add_u32_e32 v3, v3, v12
	v_mul_hi_u32 v3, v10, v3
	v_mul_lo_u32 v12, v3, s54
	v_sub_u32_e32 v12, v10, v12
	v_add_u32_e32 v13, 1, v3
	v_subrev_u32_e32 v14, s54, v12
	v_cmp_le_u32_e32 vcc, s54, v12
	v_cndmask_b32_e32 v12, v12, v14, vcc
	v_cndmask_b32_e32 v3, v3, v13, vcc
	v_add_u32_e32 v13, 1, v3
	v_cmp_le_u32_e32 vcc, s54, v12
	v_cndmask_b32_e32 v12, v3, v13, vcc
	v_mov_b32_e32 v13, v2
.LBB54_9:                               ;   in Loop: Header=BB54_5 Depth=2
	s_or_b64 exec, exec, s[2:3]
	v_mad_u64_u32 v[14:15], s[2:3], v12, s54, 0
	s_load_dwordx2 s[2:3], s[52:53], 0xc8
	v_mul_lo_u32 v3, v13, s54
	v_mul_lo_u32 v16, v12, s55
	v_add3_u32 v3, v15, v16, v3
	v_sub_co_u32_e32 v10, vcc, v10, v14
	s_add_i32 s58, s58, -1
	v_subb_co_u32_e32 v3, vcc, v11, v3, vcc
	s_add_u32 s52, s52, -8
	s_waitcnt lgkmcnt(0)
	v_mul_lo_u32 v3, s2, v3
	v_mul_lo_u32 v11, s3, v10
	v_mad_u64_u32 v[8:9], s[2:3], s2, v10, v[8:9]
	s_addc_u32 s53, s53, -1
	s_cmp_gt_u32 s58, 2
	v_add3_u32 v9, v11, v9, v3
	s_cbranch_scc0 .LBB54_11
; %bb.10:                               ;   in Loop: Header=BB54_5 Depth=2
	v_pk_mov_b32 v[10:11], v[12:13], v[12:13] op_sel:[0,1]
	s_branch .LBB54_5
.LBB54_11:                              ;   in Loop: Header=BB54_3 Depth=1
	v_mad_u64_u32 v[8:9], s[2:3], s18, v12, v[8:9]
	s_waitcnt vmcnt(3)
	v_mul_lo_u32 v3, s18, v13
	v_mul_lo_u32 v10, s19, v12
	v_add3_u32 v9, v10, v9, v3
.LBB54_12:                              ;   in Loop: Header=BB54_3 Depth=1
	s_or_b64 exec, exec, s[6:7]
	s_waitcnt vmcnt(3)
	v_cndmask_b32_e64 v3, 0, 1, s[22:23]
	v_pk_mov_b32 v[12:13], 0, 0
	v_cmp_ne_u32_e64 s[2:3], 1, v3
	s_and_saveexec_b64 s[6:7], s[4:5]
	s_cbranch_execz .LBB54_21
; %bb.13:                               ;   in Loop: Header=BB54_3 Depth=1
	s_and_b64 vcc, exec, s[2:3]
	v_pk_mov_b32 v[10:11], 0, 0
	s_mov_b64 s[52:53], s[34:35]
	s_mov_b32 s58, s65
	v_pk_mov_b32 v[12:13], v[0:1], v[0:1] op_sel:[0,1]
	v_pk_mov_b32 v[14:15], v[0:1], v[0:1] op_sel:[0,1]
	s_cbranch_vccnz .LBB54_20
.LBB54_14:                              ;   Parent Loop BB54_3 Depth=1
                                        ; =>  This Inner Loop Header: Depth=2
	s_load_dwordx2 s[54:55], s[52:53], 0x0
                                        ; implicit-def: $vgpr14_vgpr15
	s_waitcnt lgkmcnt(0)
	v_or_b32_e32 v3, s55, v13
	v_cmp_ne_u64_e32 vcc, 0, v[2:3]
	s_and_saveexec_b64 s[4:5], vcc
	s_xor_b64 s[56:57], exec, s[4:5]
	s_cbranch_execz .LBB54_16
; %bb.15:                               ;   in Loop: Header=BB54_14 Depth=2
	v_cvt_f32_u32_e32 v3, s54
	v_cvt_f32_u32_e32 v14, s55
	s_sub_u32 s4, 0, s54
	s_subb_u32 s5, 0, s55
	v_mac_f32_e32 v3, 0x4f800000, v14
	v_rcp_f32_e32 v3, v3
	v_mul_f32_e32 v3, 0x5f7ffffc, v3
	v_mul_f32_e32 v14, 0x2f800000, v3
	v_trunc_f32_e32 v14, v14
	v_mac_f32_e32 v3, 0xcf800000, v14
	v_cvt_u32_f32_e32 v14, v14
	v_cvt_u32_f32_e32 v3, v3
	v_mul_lo_u32 v15, s4, v14
	v_mul_hi_u32 v17, s4, v3
	v_mul_lo_u32 v16, s5, v3
	v_add_u32_e32 v15, v17, v15
	v_mul_lo_u32 v18, s4, v3
	v_add_u32_e32 v15, v15, v16
	v_mul_hi_u32 v17, v3, v18
	v_mul_lo_u32 v19, v3, v15
	v_mul_hi_u32 v16, v3, v15
	v_add_co_u32_e32 v17, vcc, v17, v19
	v_addc_co_u32_e32 v16, vcc, 0, v16, vcc
	v_mul_hi_u32 v20, v14, v18
	v_mul_lo_u32 v18, v14, v18
	v_add_co_u32_e32 v17, vcc, v17, v18
	v_mul_hi_u32 v19, v14, v15
	v_addc_co_u32_e32 v16, vcc, v16, v20, vcc
	v_addc_co_u32_e32 v17, vcc, 0, v19, vcc
	v_mul_lo_u32 v15, v14, v15
	v_add_co_u32_e32 v15, vcc, v16, v15
	v_addc_co_u32_e32 v16, vcc, 0, v17, vcc
	v_add_co_u32_e32 v3, vcc, v3, v15
	v_addc_co_u32_e32 v14, vcc, v14, v16, vcc
	v_mul_lo_u32 v15, s4, v14
	v_mul_hi_u32 v16, s4, v3
	v_add_u32_e32 v15, v16, v15
	v_mul_lo_u32 v16, s5, v3
	v_add_u32_e32 v15, v15, v16
	v_mul_lo_u32 v17, s4, v3
	v_mul_hi_u32 v18, v14, v17
	v_mul_lo_u32 v19, v14, v17
	v_mul_lo_u32 v21, v3, v15
	v_mul_hi_u32 v17, v3, v17
	v_mul_hi_u32 v20, v3, v15
	v_add_co_u32_e32 v17, vcc, v17, v21
	v_addc_co_u32_e32 v20, vcc, 0, v20, vcc
	v_add_co_u32_e32 v17, vcc, v17, v19
	v_mul_hi_u32 v16, v14, v15
	v_addc_co_u32_e32 v17, vcc, v20, v18, vcc
	v_addc_co_u32_e32 v16, vcc, 0, v16, vcc
	v_mul_lo_u32 v15, v14, v15
	v_add_co_u32_e32 v15, vcc, v17, v15
	v_addc_co_u32_e32 v16, vcc, 0, v16, vcc
	v_add_co_u32_e32 v3, vcc, v3, v15
	v_addc_co_u32_e32 v16, vcc, v14, v16, vcc
	v_mad_u64_u32 v[14:15], s[4:5], v12, v16, 0
	v_mul_hi_u32 v17, v12, v3
	v_add_co_u32_e32 v18, vcc, v17, v14
	v_addc_co_u32_e32 v19, vcc, 0, v15, vcc
	v_mad_u64_u32 v[14:15], s[4:5], v13, v16, 0
	v_mad_u64_u32 v[16:17], s[4:5], v13, v3, 0
	v_add_co_u32_e32 v3, vcc, v18, v16
	v_addc_co_u32_e32 v3, vcc, v19, v17, vcc
	v_addc_co_u32_e32 v15, vcc, 0, v15, vcc
	v_add_co_u32_e32 v3, vcc, v3, v14
	v_addc_co_u32_e32 v16, vcc, 0, v15, vcc
	v_mul_lo_u32 v17, s55, v3
	v_mul_lo_u32 v18, s54, v16
	v_mad_u64_u32 v[14:15], s[4:5], s54, v3, 0
	v_add3_u32 v15, v15, v18, v17
	v_sub_u32_e32 v17, v13, v15
	v_mov_b32_e32 v18, s55
	v_sub_co_u32_e32 v14, vcc, v12, v14
	v_subb_co_u32_e64 v17, s[4:5], v17, v18, vcc
	v_subrev_co_u32_e64 v18, s[4:5], s54, v14
	v_subbrev_co_u32_e64 v17, s[4:5], 0, v17, s[4:5]
	v_cmp_le_u32_e64 s[4:5], s55, v17
	v_cndmask_b32_e64 v19, 0, -1, s[4:5]
	v_cmp_le_u32_e64 s[4:5], s54, v18
	v_cndmask_b32_e64 v18, 0, -1, s[4:5]
	v_cmp_eq_u32_e64 s[4:5], s55, v17
	v_cndmask_b32_e64 v17, v19, v18, s[4:5]
	v_add_co_u32_e64 v18, s[4:5], 2, v3
	v_addc_co_u32_e64 v19, s[4:5], 0, v16, s[4:5]
	v_add_co_u32_e64 v20, s[4:5], 1, v3
	v_addc_co_u32_e64 v21, s[4:5], 0, v16, s[4:5]
	v_subb_co_u32_e32 v15, vcc, v13, v15, vcc
	v_cmp_ne_u32_e64 s[4:5], 0, v17
	v_cmp_le_u32_e32 vcc, s55, v15
	v_cndmask_b32_e64 v17, v21, v19, s[4:5]
	v_cndmask_b32_e64 v19, 0, -1, vcc
	v_cmp_le_u32_e32 vcc, s54, v14
	v_cndmask_b32_e64 v14, 0, -1, vcc
	v_cmp_eq_u32_e32 vcc, s55, v15
	v_cndmask_b32_e32 v14, v19, v14, vcc
	v_cmp_ne_u32_e32 vcc, 0, v14
	v_cndmask_b32_e64 v14, v20, v18, s[4:5]
	v_cndmask_b32_e32 v15, v16, v17, vcc
	v_cndmask_b32_e32 v14, v3, v14, vcc
.LBB54_16:                              ;   in Loop: Header=BB54_14 Depth=2
	s_andn2_saveexec_b64 s[4:5], s[56:57]
	s_cbranch_execz .LBB54_18
; %bb.17:                               ;   in Loop: Header=BB54_14 Depth=2
	v_cvt_f32_u32_e32 v3, s54
	s_sub_i32 s56, 0, s54
	v_rcp_iflag_f32_e32 v3, v3
	v_mul_f32_e32 v3, 0x4f7ffffe, v3
	v_cvt_u32_f32_e32 v3, v3
	v_mul_lo_u32 v14, s56, v3
	v_mul_hi_u32 v14, v3, v14
	v_add_u32_e32 v3, v3, v14
	v_mul_hi_u32 v3, v12, v3
	v_mul_lo_u32 v14, v3, s54
	v_sub_u32_e32 v14, v12, v14
	v_add_u32_e32 v15, 1, v3
	v_subrev_u32_e32 v16, s54, v14
	v_cmp_le_u32_e32 vcc, s54, v14
	v_cndmask_b32_e32 v14, v14, v16, vcc
	v_cndmask_b32_e32 v3, v3, v15, vcc
	v_add_u32_e32 v15, 1, v3
	v_cmp_le_u32_e32 vcc, s54, v14
	v_cndmask_b32_e32 v14, v3, v15, vcc
	v_mov_b32_e32 v15, v2
.LBB54_18:                              ;   in Loop: Header=BB54_14 Depth=2
	s_or_b64 exec, exec, s[4:5]
	v_mad_u64_u32 v[16:17], s[4:5], v14, s54, 0
	s_load_dwordx2 s[4:5], s[52:53], 0xc8
	v_mul_lo_u32 v3, v15, s54
	v_mul_lo_u32 v18, v14, s55
	v_add3_u32 v3, v17, v18, v3
	v_sub_co_u32_e32 v12, vcc, v12, v16
	s_add_i32 s58, s58, -1
	v_subb_co_u32_e32 v3, vcc, v13, v3, vcc
	s_add_u32 s52, s52, -8
	s_waitcnt lgkmcnt(0)
	v_mul_lo_u32 v3, s4, v3
	v_mul_lo_u32 v13, s5, v12
	v_mad_u64_u32 v[10:11], s[4:5], s4, v12, v[10:11]
	s_addc_u32 s53, s53, -1
	s_cmp_gt_u32 s58, 2
	v_add3_u32 v11, v13, v11, v3
	s_cbranch_scc0 .LBB54_20
; %bb.19:                               ;   in Loop: Header=BB54_14 Depth=2
	v_pk_mov_b32 v[12:13], v[14:15], v[14:15] op_sel:[0,1]
	s_branch .LBB54_14
.LBB54_20:                              ;   in Loop: Header=BB54_3 Depth=1
	v_mad_u64_u32 v[12:13], s[4:5], s20, v14, v[10:11]
	v_mul_lo_u32 v3, s20, v15
	v_mul_lo_u32 v10, s21, v14
	v_add3_u32 v13, v10, v13, v3
.LBB54_21:                              ;   in Loop: Header=BB54_3 Depth=1
	s_or_b64 exec, exec, s[6:7]
	v_or_b32_e32 v14, 1, v0
	v_mov_b32_e32 v15, v1
	v_cmp_lt_i32_e64 s[4:5], 1, v32
	v_pk_mov_b32 v[10:11], 0, 0
	s_and_saveexec_b64 s[52:53], s[4:5]
	s_cbranch_execz .LBB54_30
; %bb.22:                               ;   in Loop: Header=BB54_3 Depth=1
	s_and_b64 vcc, exec, s[0:1]
	v_pk_mov_b32 v[10:11], 0, 0
	s_mov_b64 s[54:55], s[30:31]
	s_mov_b32 s60, s64
	v_pk_mov_b32 v[16:17], v[14:15], v[14:15] op_sel:[0,1]
	v_pk_mov_b32 v[18:19], v[14:15], v[14:15] op_sel:[0,1]
	s_cbranch_vccnz .LBB54_29
.LBB54_23:                              ;   Parent Loop BB54_3 Depth=1
                                        ; =>  This Inner Loop Header: Depth=2
	s_load_dwordx2 s[56:57], s[54:55], 0x0
                                        ; implicit-def: $vgpr18_vgpr19
	s_waitcnt lgkmcnt(0)
	v_or_b32_e32 v3, s57, v17
	v_cmp_ne_u64_e32 vcc, 0, v[2:3]
	s_and_saveexec_b64 s[6:7], vcc
	s_xor_b64 s[58:59], exec, s[6:7]
	s_cbranch_execz .LBB54_25
; %bb.24:                               ;   in Loop: Header=BB54_23 Depth=2
	v_cvt_f32_u32_e32 v3, s56
	v_cvt_f32_u32_e32 v18, s57
	s_sub_u32 s6, 0, s56
	s_subb_u32 s7, 0, s57
	v_mac_f32_e32 v3, 0x4f800000, v18
	v_rcp_f32_e32 v3, v3
	v_mul_f32_e32 v3, 0x5f7ffffc, v3
	v_mul_f32_e32 v18, 0x2f800000, v3
	v_trunc_f32_e32 v18, v18
	v_mac_f32_e32 v3, 0xcf800000, v18
	v_cvt_u32_f32_e32 v18, v18
	v_cvt_u32_f32_e32 v3, v3
	v_mul_lo_u32 v19, s6, v18
	v_mul_hi_u32 v21, s6, v3
	v_mul_lo_u32 v20, s7, v3
	v_add_u32_e32 v19, v21, v19
	v_mul_lo_u32 v22, s6, v3
	v_add_u32_e32 v19, v19, v20
	v_mul_hi_u32 v21, v3, v22
	v_mul_lo_u32 v23, v3, v19
	v_mul_hi_u32 v20, v3, v19
	v_add_co_u32_e32 v21, vcc, v21, v23
	v_addc_co_u32_e32 v20, vcc, 0, v20, vcc
	v_mul_hi_u32 v24, v18, v22
	v_mul_lo_u32 v22, v18, v22
	v_add_co_u32_e32 v21, vcc, v21, v22
	v_mul_hi_u32 v23, v18, v19
	v_addc_co_u32_e32 v20, vcc, v20, v24, vcc
	v_addc_co_u32_e32 v21, vcc, 0, v23, vcc
	v_mul_lo_u32 v19, v18, v19
	v_add_co_u32_e32 v19, vcc, v20, v19
	v_addc_co_u32_e32 v20, vcc, 0, v21, vcc
	v_add_co_u32_e32 v3, vcc, v3, v19
	v_addc_co_u32_e32 v18, vcc, v18, v20, vcc
	v_mul_lo_u32 v19, s6, v18
	v_mul_hi_u32 v20, s6, v3
	v_add_u32_e32 v19, v20, v19
	v_mul_lo_u32 v20, s7, v3
	v_add_u32_e32 v19, v19, v20
	v_mul_lo_u32 v21, s6, v3
	v_mul_hi_u32 v22, v18, v21
	v_mul_lo_u32 v23, v18, v21
	v_mul_lo_u32 v25, v3, v19
	v_mul_hi_u32 v21, v3, v21
	v_mul_hi_u32 v24, v3, v19
	v_add_co_u32_e32 v21, vcc, v21, v25
	v_addc_co_u32_e32 v24, vcc, 0, v24, vcc
	v_add_co_u32_e32 v21, vcc, v21, v23
	v_mul_hi_u32 v20, v18, v19
	v_addc_co_u32_e32 v21, vcc, v24, v22, vcc
	v_addc_co_u32_e32 v20, vcc, 0, v20, vcc
	v_mul_lo_u32 v19, v18, v19
	v_add_co_u32_e32 v19, vcc, v21, v19
	v_addc_co_u32_e32 v20, vcc, 0, v20, vcc
	v_add_co_u32_e32 v3, vcc, v3, v19
	v_addc_co_u32_e32 v20, vcc, v18, v20, vcc
	v_mad_u64_u32 v[18:19], s[6:7], v16, v20, 0
	v_mul_hi_u32 v21, v16, v3
	v_add_co_u32_e32 v22, vcc, v21, v18
	v_addc_co_u32_e32 v23, vcc, 0, v19, vcc
	v_mad_u64_u32 v[18:19], s[6:7], v17, v20, 0
	v_mad_u64_u32 v[20:21], s[6:7], v17, v3, 0
	v_add_co_u32_e32 v3, vcc, v22, v20
	v_addc_co_u32_e32 v3, vcc, v23, v21, vcc
	v_addc_co_u32_e32 v19, vcc, 0, v19, vcc
	v_add_co_u32_e32 v3, vcc, v3, v18
	v_addc_co_u32_e32 v20, vcc, 0, v19, vcc
	v_mul_lo_u32 v21, s57, v3
	v_mul_lo_u32 v22, s56, v20
	v_mad_u64_u32 v[18:19], s[6:7], s56, v3, 0
	v_add3_u32 v19, v19, v22, v21
	v_sub_u32_e32 v21, v17, v19
	v_mov_b32_e32 v22, s57
	v_sub_co_u32_e32 v18, vcc, v16, v18
	v_subb_co_u32_e64 v21, s[6:7], v21, v22, vcc
	v_subrev_co_u32_e64 v22, s[6:7], s56, v18
	v_subbrev_co_u32_e64 v21, s[6:7], 0, v21, s[6:7]
	v_cmp_le_u32_e64 s[6:7], s57, v21
	v_cndmask_b32_e64 v23, 0, -1, s[6:7]
	v_cmp_le_u32_e64 s[6:7], s56, v22
	v_cndmask_b32_e64 v22, 0, -1, s[6:7]
	v_cmp_eq_u32_e64 s[6:7], s57, v21
	v_cndmask_b32_e64 v21, v23, v22, s[6:7]
	v_add_co_u32_e64 v22, s[6:7], 2, v3
	v_addc_co_u32_e64 v23, s[6:7], 0, v20, s[6:7]
	v_add_co_u32_e64 v24, s[6:7], 1, v3
	v_addc_co_u32_e64 v25, s[6:7], 0, v20, s[6:7]
	v_subb_co_u32_e32 v19, vcc, v17, v19, vcc
	v_cmp_ne_u32_e64 s[6:7], 0, v21
	v_cmp_le_u32_e32 vcc, s57, v19
	v_cndmask_b32_e64 v21, v25, v23, s[6:7]
	v_cndmask_b32_e64 v23, 0, -1, vcc
	v_cmp_le_u32_e32 vcc, s56, v18
	v_cndmask_b32_e64 v18, 0, -1, vcc
	v_cmp_eq_u32_e32 vcc, s57, v19
	v_cndmask_b32_e32 v18, v23, v18, vcc
	v_cmp_ne_u32_e32 vcc, 0, v18
	v_cndmask_b32_e64 v18, v24, v22, s[6:7]
	v_cndmask_b32_e32 v19, v20, v21, vcc
	v_cndmask_b32_e32 v18, v3, v18, vcc
.LBB54_25:                              ;   in Loop: Header=BB54_23 Depth=2
	s_andn2_saveexec_b64 s[6:7], s[58:59]
	s_cbranch_execz .LBB54_27
; %bb.26:                               ;   in Loop: Header=BB54_23 Depth=2
	v_cvt_f32_u32_e32 v3, s56
	s_sub_i32 s58, 0, s56
	v_rcp_iflag_f32_e32 v3, v3
	v_mul_f32_e32 v3, 0x4f7ffffe, v3
	v_cvt_u32_f32_e32 v3, v3
	v_mul_lo_u32 v18, s58, v3
	v_mul_hi_u32 v18, v3, v18
	v_add_u32_e32 v3, v3, v18
	v_mul_hi_u32 v3, v16, v3
	v_mul_lo_u32 v18, v3, s56
	v_sub_u32_e32 v18, v16, v18
	v_add_u32_e32 v19, 1, v3
	v_subrev_u32_e32 v20, s56, v18
	v_cmp_le_u32_e32 vcc, s56, v18
	v_cndmask_b32_e32 v18, v18, v20, vcc
	v_cndmask_b32_e32 v3, v3, v19, vcc
	v_add_u32_e32 v19, 1, v3
	v_cmp_le_u32_e32 vcc, s56, v18
	v_cndmask_b32_e32 v18, v3, v19, vcc
	v_mov_b32_e32 v19, v2
.LBB54_27:                              ;   in Loop: Header=BB54_23 Depth=2
	s_or_b64 exec, exec, s[6:7]
	v_mad_u64_u32 v[20:21], s[6:7], v18, s56, 0
	s_load_dwordx2 s[6:7], s[54:55], 0xc8
	v_mul_lo_u32 v3, v19, s56
	v_mul_lo_u32 v22, v18, s57
	v_add3_u32 v3, v21, v22, v3
	v_sub_co_u32_e32 v16, vcc, v16, v20
	s_add_i32 s60, s60, -1
	v_subb_co_u32_e32 v3, vcc, v17, v3, vcc
	s_add_u32 s54, s54, -8
	s_waitcnt lgkmcnt(0)
	v_mul_lo_u32 v3, s6, v3
	v_mul_lo_u32 v17, s7, v16
	v_mad_u64_u32 v[10:11], s[6:7], s6, v16, v[10:11]
	s_addc_u32 s55, s55, -1
	s_cmp_gt_u32 s60, 2
	v_add3_u32 v11, v17, v11, v3
	s_cbranch_scc0 .LBB54_29
; %bb.28:                               ;   in Loop: Header=BB54_23 Depth=2
	v_pk_mov_b32 v[16:17], v[18:19], v[18:19] op_sel:[0,1]
	s_branch .LBB54_23
.LBB54_29:                              ;   in Loop: Header=BB54_3 Depth=1
	v_mad_u64_u32 v[10:11], s[6:7], s18, v18, v[10:11]
	v_mul_lo_u32 v3, s18, v19
	v_mul_lo_u32 v16, s19, v18
	v_add3_u32 v11, v16, v11, v3
.LBB54_30:                              ;   in Loop: Header=BB54_3 Depth=1
	s_or_b64 exec, exec, s[52:53]
	v_pk_mov_b32 v[16:17], 0, 0
	s_and_saveexec_b64 s[6:7], s[4:5]
	s_cbranch_execz .LBB54_33
; %bb.31:                               ;   in Loop: Header=BB54_3 Depth=1
	s_and_b64 vcc, exec, s[2:3]
	v_pk_mov_b32 v[16:17], 0, 0
	s_mov_b64 s[52:53], s[34:35]
	s_mov_b32 s58, s65
	s_cbranch_vccz .LBB54_42
.LBB54_32:                              ;   in Loop: Header=BB54_3 Depth=1
	v_mad_u64_u32 v[16:17], s[4:5], s20, v14, v[16:17]
	v_mul_lo_u32 v3, s20, v15
	v_mul_lo_u32 v14, s21, v14
	v_add3_u32 v17, v14, v17, v3
.LBB54_33:                              ;   in Loop: Header=BB54_3 Depth=1
	s_or_b64 exec, exec, s[6:7]
	v_or_b32_e32 v18, 2, v0
	v_mov_b32_e32 v19, v1
	v_cmp_lt_i32_e64 s[4:5], 2, v32
	v_pk_mov_b32 v[14:15], 0, 0
	s_and_saveexec_b64 s[52:53], s[4:5]
	s_cbranch_execz .LBB54_47
; %bb.34:                               ;   in Loop: Header=BB54_3 Depth=1
	s_and_b64 vcc, exec, s[0:1]
	v_pk_mov_b32 v[14:15], 0, 0
	s_mov_b64 s[54:55], s[30:31]
	s_mov_b32 s60, s64
	v_pk_mov_b32 v[20:21], v[18:19], v[18:19] op_sel:[0,1]
	v_pk_mov_b32 v[22:23], v[18:19], v[18:19] op_sel:[0,1]
	s_cbranch_vccnz .LBB54_46
.LBB54_35:                              ;   Parent Loop BB54_3 Depth=1
                                        ; =>  This Inner Loop Header: Depth=2
	s_load_dwordx2 s[56:57], s[54:55], 0x0
                                        ; implicit-def: $vgpr22_vgpr23
	s_waitcnt lgkmcnt(0)
	v_or_b32_e32 v3, s57, v21
	v_cmp_ne_u64_e32 vcc, 0, v[2:3]
	s_and_saveexec_b64 s[6:7], vcc
	s_xor_b64 s[58:59], exec, s[6:7]
	s_cbranch_execz .LBB54_37
; %bb.36:                               ;   in Loop: Header=BB54_35 Depth=2
	v_cvt_f32_u32_e32 v3, s56
	v_cvt_f32_u32_e32 v22, s57
	s_sub_u32 s6, 0, s56
	s_subb_u32 s7, 0, s57
	v_mac_f32_e32 v3, 0x4f800000, v22
	v_rcp_f32_e32 v3, v3
	v_mul_f32_e32 v3, 0x5f7ffffc, v3
	v_mul_f32_e32 v22, 0x2f800000, v3
	v_trunc_f32_e32 v22, v22
	v_mac_f32_e32 v3, 0xcf800000, v22
	v_cvt_u32_f32_e32 v22, v22
	v_cvt_u32_f32_e32 v3, v3
	v_mul_lo_u32 v23, s6, v22
	v_mul_hi_u32 v25, s6, v3
	v_mul_lo_u32 v24, s7, v3
	v_add_u32_e32 v23, v25, v23
	v_mul_lo_u32 v26, s6, v3
	v_add_u32_e32 v23, v23, v24
	v_mul_hi_u32 v25, v3, v26
	v_mul_lo_u32 v27, v3, v23
	v_mul_hi_u32 v24, v3, v23
	v_add_co_u32_e32 v25, vcc, v25, v27
	v_addc_co_u32_e32 v24, vcc, 0, v24, vcc
	v_mul_hi_u32 v28, v22, v26
	v_mul_lo_u32 v26, v22, v26
	v_add_co_u32_e32 v25, vcc, v25, v26
	v_mul_hi_u32 v27, v22, v23
	v_addc_co_u32_e32 v24, vcc, v24, v28, vcc
	v_addc_co_u32_e32 v25, vcc, 0, v27, vcc
	v_mul_lo_u32 v23, v22, v23
	v_add_co_u32_e32 v23, vcc, v24, v23
	v_addc_co_u32_e32 v24, vcc, 0, v25, vcc
	v_add_co_u32_e32 v3, vcc, v3, v23
	v_addc_co_u32_e32 v22, vcc, v22, v24, vcc
	v_mul_lo_u32 v23, s6, v22
	v_mul_hi_u32 v24, s6, v3
	v_add_u32_e32 v23, v24, v23
	v_mul_lo_u32 v24, s7, v3
	v_add_u32_e32 v23, v23, v24
	v_mul_lo_u32 v25, s6, v3
	v_mul_hi_u32 v26, v22, v25
	v_mul_lo_u32 v27, v22, v25
	v_mul_lo_u32 v29, v3, v23
	v_mul_hi_u32 v25, v3, v25
	v_mul_hi_u32 v28, v3, v23
	v_add_co_u32_e32 v25, vcc, v25, v29
	v_addc_co_u32_e32 v28, vcc, 0, v28, vcc
	v_add_co_u32_e32 v25, vcc, v25, v27
	v_mul_hi_u32 v24, v22, v23
	v_addc_co_u32_e32 v25, vcc, v28, v26, vcc
	v_addc_co_u32_e32 v24, vcc, 0, v24, vcc
	v_mul_lo_u32 v23, v22, v23
	v_add_co_u32_e32 v23, vcc, v25, v23
	v_addc_co_u32_e32 v24, vcc, 0, v24, vcc
	v_add_co_u32_e32 v3, vcc, v3, v23
	v_addc_co_u32_e32 v24, vcc, v22, v24, vcc
	v_mad_u64_u32 v[22:23], s[6:7], v20, v24, 0
	v_mul_hi_u32 v25, v20, v3
	v_add_co_u32_e32 v26, vcc, v25, v22
	v_addc_co_u32_e32 v27, vcc, 0, v23, vcc
	v_mad_u64_u32 v[22:23], s[6:7], v21, v24, 0
	v_mad_u64_u32 v[24:25], s[6:7], v21, v3, 0
	v_add_co_u32_e32 v3, vcc, v26, v24
	v_addc_co_u32_e32 v3, vcc, v27, v25, vcc
	v_addc_co_u32_e32 v23, vcc, 0, v23, vcc
	v_add_co_u32_e32 v3, vcc, v3, v22
	v_addc_co_u32_e32 v24, vcc, 0, v23, vcc
	v_mul_lo_u32 v25, s57, v3
	v_mul_lo_u32 v26, s56, v24
	v_mad_u64_u32 v[22:23], s[6:7], s56, v3, 0
	v_add3_u32 v23, v23, v26, v25
	v_sub_u32_e32 v25, v21, v23
	v_mov_b32_e32 v26, s57
	v_sub_co_u32_e32 v22, vcc, v20, v22
	v_subb_co_u32_e64 v25, s[6:7], v25, v26, vcc
	v_subrev_co_u32_e64 v26, s[6:7], s56, v22
	v_subbrev_co_u32_e64 v25, s[6:7], 0, v25, s[6:7]
	v_cmp_le_u32_e64 s[6:7], s57, v25
	v_cndmask_b32_e64 v27, 0, -1, s[6:7]
	v_cmp_le_u32_e64 s[6:7], s56, v26
	v_cndmask_b32_e64 v26, 0, -1, s[6:7]
	v_cmp_eq_u32_e64 s[6:7], s57, v25
	v_cndmask_b32_e64 v25, v27, v26, s[6:7]
	v_add_co_u32_e64 v26, s[6:7], 2, v3
	v_addc_co_u32_e64 v27, s[6:7], 0, v24, s[6:7]
	v_add_co_u32_e64 v28, s[6:7], 1, v3
	v_addc_co_u32_e64 v29, s[6:7], 0, v24, s[6:7]
	v_subb_co_u32_e32 v23, vcc, v21, v23, vcc
	v_cmp_ne_u32_e64 s[6:7], 0, v25
	v_cmp_le_u32_e32 vcc, s57, v23
	v_cndmask_b32_e64 v25, v29, v27, s[6:7]
	v_cndmask_b32_e64 v27, 0, -1, vcc
	v_cmp_le_u32_e32 vcc, s56, v22
	v_cndmask_b32_e64 v22, 0, -1, vcc
	v_cmp_eq_u32_e32 vcc, s57, v23
	v_cndmask_b32_e32 v22, v27, v22, vcc
	v_cmp_ne_u32_e32 vcc, 0, v22
	v_cndmask_b32_e64 v22, v28, v26, s[6:7]
	v_cndmask_b32_e32 v23, v24, v25, vcc
	v_cndmask_b32_e32 v22, v3, v22, vcc
.LBB54_37:                              ;   in Loop: Header=BB54_35 Depth=2
	s_andn2_saveexec_b64 s[6:7], s[58:59]
	s_cbranch_execz .LBB54_39
; %bb.38:                               ;   in Loop: Header=BB54_35 Depth=2
	v_cvt_f32_u32_e32 v3, s56
	s_sub_i32 s58, 0, s56
	v_rcp_iflag_f32_e32 v3, v3
	v_mul_f32_e32 v3, 0x4f7ffffe, v3
	v_cvt_u32_f32_e32 v3, v3
	v_mul_lo_u32 v22, s58, v3
	v_mul_hi_u32 v22, v3, v22
	v_add_u32_e32 v3, v3, v22
	v_mul_hi_u32 v3, v20, v3
	v_mul_lo_u32 v22, v3, s56
	v_sub_u32_e32 v22, v20, v22
	v_add_u32_e32 v23, 1, v3
	v_subrev_u32_e32 v24, s56, v22
	v_cmp_le_u32_e32 vcc, s56, v22
	v_cndmask_b32_e32 v22, v22, v24, vcc
	v_cndmask_b32_e32 v3, v3, v23, vcc
	v_add_u32_e32 v23, 1, v3
	v_cmp_le_u32_e32 vcc, s56, v22
	v_cndmask_b32_e32 v22, v3, v23, vcc
	v_mov_b32_e32 v23, v2
.LBB54_39:                              ;   in Loop: Header=BB54_35 Depth=2
	s_or_b64 exec, exec, s[6:7]
	v_mad_u64_u32 v[24:25], s[6:7], v22, s56, 0
	s_load_dwordx2 s[6:7], s[54:55], 0xc8
	v_mul_lo_u32 v3, v23, s56
	v_mul_lo_u32 v26, v22, s57
	v_add3_u32 v3, v25, v26, v3
	v_sub_co_u32_e32 v20, vcc, v20, v24
	s_add_i32 s60, s60, -1
	v_subb_co_u32_e32 v3, vcc, v21, v3, vcc
	s_add_u32 s54, s54, -8
	s_waitcnt lgkmcnt(0)
	v_mul_lo_u32 v3, s6, v3
	v_mul_lo_u32 v21, s7, v20
	v_mad_u64_u32 v[14:15], s[6:7], s6, v20, v[14:15]
	s_addc_u32 s55, s55, -1
	s_cmp_gt_u32 s60, 2
	v_add3_u32 v15, v21, v15, v3
	s_cbranch_scc0 .LBB54_46
; %bb.40:                               ;   in Loop: Header=BB54_35 Depth=2
	v_pk_mov_b32 v[20:21], v[22:23], v[22:23] op_sel:[0,1]
	s_branch .LBB54_35
.LBB54_41:                              ;   in Loop: Header=BB54_42 Depth=2
	s_or_b64 exec, exec, s[4:5]
	v_mad_u64_u32 v[20:21], s[4:5], v18, s54, 0
	s_load_dwordx2 s[4:5], s[52:53], 0xc8
	v_mul_lo_u32 v3, v19, s54
	v_mul_lo_u32 v22, v18, s55
	v_add3_u32 v3, v21, v22, v3
	v_sub_co_u32_e32 v14, vcc, v14, v20
	s_add_i32 s58, s58, -1
	v_subb_co_u32_e32 v3, vcc, v15, v3, vcc
	s_add_u32 s52, s52, -8
	s_waitcnt lgkmcnt(0)
	v_mul_lo_u32 v3, s4, v3
	v_mul_lo_u32 v15, s5, v14
	v_mad_u64_u32 v[16:17], s[4:5], s4, v14, v[16:17]
	s_addc_u32 s53, s53, -1
	s_cmp_gt_u32 s58, 2
	v_add3_u32 v17, v15, v17, v3
	v_pk_mov_b32 v[14:15], v[18:19], v[18:19] op_sel:[0,1]
	s_cbranch_scc0 .LBB54_32
.LBB54_42:                              ;   Parent Loop BB54_3 Depth=1
                                        ; =>  This Inner Loop Header: Depth=2
	s_load_dwordx2 s[54:55], s[52:53], 0x0
                                        ; implicit-def: $vgpr18_vgpr19
	s_waitcnt lgkmcnt(0)
	v_or_b32_e32 v3, s55, v15
	v_cmp_ne_u64_e32 vcc, 0, v[2:3]
	s_and_saveexec_b64 s[4:5], vcc
	s_xor_b64 s[56:57], exec, s[4:5]
	s_cbranch_execz .LBB54_44
; %bb.43:                               ;   in Loop: Header=BB54_42 Depth=2
	v_cvt_f32_u32_e32 v3, s54
	v_cvt_f32_u32_e32 v18, s55
	s_sub_u32 s4, 0, s54
	s_subb_u32 s5, 0, s55
	v_mac_f32_e32 v3, 0x4f800000, v18
	v_rcp_f32_e32 v3, v3
	v_mul_f32_e32 v3, 0x5f7ffffc, v3
	v_mul_f32_e32 v18, 0x2f800000, v3
	v_trunc_f32_e32 v18, v18
	v_mac_f32_e32 v3, 0xcf800000, v18
	v_cvt_u32_f32_e32 v18, v18
	v_cvt_u32_f32_e32 v3, v3
	v_mul_lo_u32 v19, s4, v18
	v_mul_hi_u32 v21, s4, v3
	v_mul_lo_u32 v20, s5, v3
	v_add_u32_e32 v19, v21, v19
	v_mul_lo_u32 v22, s4, v3
	v_add_u32_e32 v19, v19, v20
	v_mul_hi_u32 v21, v3, v22
	v_mul_lo_u32 v23, v3, v19
	v_mul_hi_u32 v20, v3, v19
	v_add_co_u32_e32 v21, vcc, v21, v23
	v_addc_co_u32_e32 v20, vcc, 0, v20, vcc
	v_mul_hi_u32 v24, v18, v22
	v_mul_lo_u32 v22, v18, v22
	v_add_co_u32_e32 v21, vcc, v21, v22
	v_mul_hi_u32 v23, v18, v19
	v_addc_co_u32_e32 v20, vcc, v20, v24, vcc
	v_addc_co_u32_e32 v21, vcc, 0, v23, vcc
	v_mul_lo_u32 v19, v18, v19
	v_add_co_u32_e32 v19, vcc, v20, v19
	v_addc_co_u32_e32 v20, vcc, 0, v21, vcc
	v_add_co_u32_e32 v3, vcc, v3, v19
	v_addc_co_u32_e32 v18, vcc, v18, v20, vcc
	v_mul_lo_u32 v19, s4, v18
	v_mul_hi_u32 v20, s4, v3
	v_add_u32_e32 v19, v20, v19
	v_mul_lo_u32 v20, s5, v3
	v_add_u32_e32 v19, v19, v20
	v_mul_lo_u32 v21, s4, v3
	v_mul_hi_u32 v22, v18, v21
	v_mul_lo_u32 v23, v18, v21
	v_mul_lo_u32 v25, v3, v19
	v_mul_hi_u32 v21, v3, v21
	v_mul_hi_u32 v24, v3, v19
	v_add_co_u32_e32 v21, vcc, v21, v25
	v_addc_co_u32_e32 v24, vcc, 0, v24, vcc
	v_add_co_u32_e32 v21, vcc, v21, v23
	v_mul_hi_u32 v20, v18, v19
	v_addc_co_u32_e32 v21, vcc, v24, v22, vcc
	v_addc_co_u32_e32 v20, vcc, 0, v20, vcc
	v_mul_lo_u32 v19, v18, v19
	v_add_co_u32_e32 v19, vcc, v21, v19
	v_addc_co_u32_e32 v20, vcc, 0, v20, vcc
	v_add_co_u32_e32 v3, vcc, v3, v19
	v_addc_co_u32_e32 v20, vcc, v18, v20, vcc
	v_mad_u64_u32 v[18:19], s[4:5], v14, v20, 0
	v_mul_hi_u32 v21, v14, v3
	v_add_co_u32_e32 v22, vcc, v21, v18
	v_addc_co_u32_e32 v23, vcc, 0, v19, vcc
	v_mad_u64_u32 v[18:19], s[4:5], v15, v20, 0
	v_mad_u64_u32 v[20:21], s[4:5], v15, v3, 0
	v_add_co_u32_e32 v3, vcc, v22, v20
	v_addc_co_u32_e32 v3, vcc, v23, v21, vcc
	v_addc_co_u32_e32 v19, vcc, 0, v19, vcc
	v_add_co_u32_e32 v3, vcc, v3, v18
	v_addc_co_u32_e32 v20, vcc, 0, v19, vcc
	v_mul_lo_u32 v21, s55, v3
	v_mul_lo_u32 v22, s54, v20
	v_mad_u64_u32 v[18:19], s[4:5], s54, v3, 0
	v_add3_u32 v19, v19, v22, v21
	v_sub_u32_e32 v21, v15, v19
	v_mov_b32_e32 v22, s55
	v_sub_co_u32_e32 v18, vcc, v14, v18
	v_subb_co_u32_e64 v21, s[4:5], v21, v22, vcc
	v_subrev_co_u32_e64 v22, s[4:5], s54, v18
	v_subbrev_co_u32_e64 v21, s[4:5], 0, v21, s[4:5]
	v_cmp_le_u32_e64 s[4:5], s55, v21
	v_cndmask_b32_e64 v23, 0, -1, s[4:5]
	v_cmp_le_u32_e64 s[4:5], s54, v22
	v_cndmask_b32_e64 v22, 0, -1, s[4:5]
	v_cmp_eq_u32_e64 s[4:5], s55, v21
	v_cndmask_b32_e64 v21, v23, v22, s[4:5]
	v_add_co_u32_e64 v22, s[4:5], 2, v3
	v_addc_co_u32_e64 v23, s[4:5], 0, v20, s[4:5]
	v_add_co_u32_e64 v24, s[4:5], 1, v3
	v_addc_co_u32_e64 v25, s[4:5], 0, v20, s[4:5]
	v_subb_co_u32_e32 v19, vcc, v15, v19, vcc
	v_cmp_ne_u32_e64 s[4:5], 0, v21
	v_cmp_le_u32_e32 vcc, s55, v19
	v_cndmask_b32_e64 v21, v25, v23, s[4:5]
	v_cndmask_b32_e64 v23, 0, -1, vcc
	v_cmp_le_u32_e32 vcc, s54, v18
	v_cndmask_b32_e64 v18, 0, -1, vcc
	v_cmp_eq_u32_e32 vcc, s55, v19
	v_cndmask_b32_e32 v18, v23, v18, vcc
	v_cmp_ne_u32_e32 vcc, 0, v18
	v_cndmask_b32_e64 v18, v24, v22, s[4:5]
	v_cndmask_b32_e32 v19, v20, v21, vcc
	v_cndmask_b32_e32 v18, v3, v18, vcc
.LBB54_44:                              ;   in Loop: Header=BB54_42 Depth=2
	s_andn2_saveexec_b64 s[4:5], s[56:57]
	s_cbranch_execz .LBB54_41
; %bb.45:                               ;   in Loop: Header=BB54_42 Depth=2
	v_cvt_f32_u32_e32 v3, s54
	s_sub_i32 s56, 0, s54
	v_rcp_iflag_f32_e32 v3, v3
	v_mul_f32_e32 v3, 0x4f7ffffe, v3
	v_cvt_u32_f32_e32 v3, v3
	v_mul_lo_u32 v18, s56, v3
	v_mul_hi_u32 v18, v3, v18
	v_add_u32_e32 v3, v3, v18
	v_mul_hi_u32 v3, v14, v3
	v_mul_lo_u32 v18, v3, s54
	v_sub_u32_e32 v18, v14, v18
	v_add_u32_e32 v19, 1, v3
	v_subrev_u32_e32 v20, s54, v18
	v_cmp_le_u32_e32 vcc, s54, v18
	v_cndmask_b32_e32 v18, v18, v20, vcc
	v_cndmask_b32_e32 v3, v3, v19, vcc
	v_add_u32_e32 v19, 1, v3
	v_cmp_le_u32_e32 vcc, s54, v18
	v_cndmask_b32_e32 v18, v3, v19, vcc
	v_mov_b32_e32 v19, v2
	s_branch .LBB54_41
.LBB54_46:                              ;   in Loop: Header=BB54_3 Depth=1
	v_mad_u64_u32 v[14:15], s[6:7], s18, v22, v[14:15]
	v_mul_lo_u32 v3, s18, v23
	v_mul_lo_u32 v20, s19, v22
	v_add3_u32 v15, v20, v15, v3
.LBB54_47:                              ;   in Loop: Header=BB54_3 Depth=1
	s_or_b64 exec, exec, s[52:53]
	v_pk_mov_b32 v[20:21], 0, 0
	s_and_saveexec_b64 s[6:7], s[4:5]
	s_cbranch_execz .LBB54_50
; %bb.48:                               ;   in Loop: Header=BB54_3 Depth=1
	s_and_b64 vcc, exec, s[2:3]
	v_pk_mov_b32 v[20:21], 0, 0
	s_mov_b64 s[52:53], s[34:35]
	s_mov_b32 s58, s65
	s_cbranch_vccz .LBB54_59
.LBB54_49:                              ;   in Loop: Header=BB54_3 Depth=1
	v_mad_u64_u32 v[20:21], s[4:5], s20, v18, v[20:21]
	v_mul_lo_u32 v3, s20, v19
	v_mul_lo_u32 v18, s21, v18
	v_add3_u32 v21, v18, v21, v3
.LBB54_50:                              ;   in Loop: Header=BB54_3 Depth=1
	s_or_b64 exec, exec, s[6:7]
	v_or_b32_e32 v22, 3, v0
	v_mov_b32_e32 v23, v1
	v_cmp_lt_i32_e64 s[4:5], 3, v32
	v_pk_mov_b32 v[18:19], 0, 0
	s_and_saveexec_b64 s[6:7], s[4:5]
	s_cbranch_execz .LBB54_64
; %bb.51:                               ;   in Loop: Header=BB54_3 Depth=1
	s_and_b64 vcc, exec, s[0:1]
	v_pk_mov_b32 v[18:19], 0, 0
	s_mov_b64 s[52:53], s[30:31]
	s_mov_b32 s58, s64
	v_pk_mov_b32 v[24:25], v[22:23], v[22:23] op_sel:[0,1]
	v_pk_mov_b32 v[26:27], v[22:23], v[22:23] op_sel:[0,1]
	s_cbranch_vccnz .LBB54_63
.LBB54_52:                              ;   Parent Loop BB54_3 Depth=1
                                        ; =>  This Inner Loop Header: Depth=2
	s_load_dwordx2 s[54:55], s[52:53], 0x0
                                        ; implicit-def: $vgpr26_vgpr27
	s_waitcnt lgkmcnt(0)
	v_or_b32_e32 v3, s55, v25
	v_cmp_ne_u64_e32 vcc, 0, v[2:3]
	s_and_saveexec_b64 s[0:1], vcc
	s_xor_b64 s[56:57], exec, s[0:1]
	s_cbranch_execz .LBB54_54
; %bb.53:                               ;   in Loop: Header=BB54_52 Depth=2
	v_cvt_f32_u32_e32 v3, s54
	v_cvt_f32_u32_e32 v26, s55
	s_sub_u32 s0, 0, s54
	s_subb_u32 s1, 0, s55
	v_mac_f32_e32 v3, 0x4f800000, v26
	v_rcp_f32_e32 v3, v3
	v_mul_f32_e32 v3, 0x5f7ffffc, v3
	v_mul_f32_e32 v26, 0x2f800000, v3
	v_trunc_f32_e32 v26, v26
	v_mac_f32_e32 v3, 0xcf800000, v26
	v_cvt_u32_f32_e32 v26, v26
	v_cvt_u32_f32_e32 v3, v3
	v_mul_lo_u32 v27, s0, v26
	v_mul_hi_u32 v29, s0, v3
	v_mul_lo_u32 v28, s1, v3
	v_add_u32_e32 v27, v29, v27
	v_mul_lo_u32 v30, s0, v3
	v_add_u32_e32 v27, v27, v28
	v_mul_hi_u32 v29, v3, v30
	v_mul_lo_u32 v31, v3, v27
	v_mul_hi_u32 v28, v3, v27
	v_add_co_u32_e32 v29, vcc, v29, v31
	v_addc_co_u32_e32 v28, vcc, 0, v28, vcc
	s_waitcnt vmcnt(2)
	v_mul_hi_u32 v33, v26, v30
	v_mul_lo_u32 v30, v26, v30
	v_add_co_u32_e32 v29, vcc, v29, v30
	v_mul_hi_u32 v31, v26, v27
	v_addc_co_u32_e32 v28, vcc, v28, v33, vcc
	v_addc_co_u32_e32 v29, vcc, 0, v31, vcc
	v_mul_lo_u32 v27, v26, v27
	v_add_co_u32_e32 v27, vcc, v28, v27
	v_addc_co_u32_e32 v28, vcc, 0, v29, vcc
	v_add_co_u32_e32 v3, vcc, v3, v27
	v_addc_co_u32_e32 v26, vcc, v26, v28, vcc
	v_mul_lo_u32 v27, s0, v26
	v_mul_hi_u32 v28, s0, v3
	v_add_u32_e32 v27, v28, v27
	v_mul_lo_u32 v28, s1, v3
	v_add_u32_e32 v27, v27, v28
	v_mul_lo_u32 v29, s0, v3
	v_mul_hi_u32 v30, v26, v29
	v_mul_lo_u32 v31, v26, v29
	s_waitcnt vmcnt(1)
	v_mul_lo_u32 v34, v3, v27
	v_mul_hi_u32 v29, v3, v29
	v_mul_hi_u32 v33, v3, v27
	v_add_co_u32_e32 v29, vcc, v29, v34
	v_addc_co_u32_e32 v33, vcc, 0, v33, vcc
	v_add_co_u32_e32 v29, vcc, v29, v31
	v_mul_hi_u32 v28, v26, v27
	v_addc_co_u32_e32 v29, vcc, v33, v30, vcc
	v_addc_co_u32_e32 v28, vcc, 0, v28, vcc
	v_mul_lo_u32 v27, v26, v27
	v_add_co_u32_e32 v27, vcc, v29, v27
	v_addc_co_u32_e32 v28, vcc, 0, v28, vcc
	v_add_co_u32_e32 v3, vcc, v3, v27
	v_addc_co_u32_e32 v28, vcc, v26, v28, vcc
	v_mad_u64_u32 v[26:27], s[0:1], v24, v28, 0
	v_mul_hi_u32 v29, v24, v3
	v_add_co_u32_e32 v30, vcc, v29, v26
	v_addc_co_u32_e32 v31, vcc, 0, v27, vcc
	v_mad_u64_u32 v[26:27], s[0:1], v25, v28, 0
	v_mad_u64_u32 v[28:29], s[0:1], v25, v3, 0
	v_add_co_u32_e32 v3, vcc, v30, v28
	v_addc_co_u32_e32 v3, vcc, v31, v29, vcc
	v_addc_co_u32_e32 v27, vcc, 0, v27, vcc
	v_add_co_u32_e32 v3, vcc, v3, v26
	v_addc_co_u32_e32 v28, vcc, 0, v27, vcc
	v_mul_lo_u32 v29, s55, v3
	v_mul_lo_u32 v30, s54, v28
	v_mad_u64_u32 v[26:27], s[0:1], s54, v3, 0
	v_add3_u32 v27, v27, v30, v29
	v_sub_u32_e32 v29, v25, v27
	v_mov_b32_e32 v30, s55
	v_sub_co_u32_e32 v26, vcc, v24, v26
	v_subb_co_u32_e64 v29, s[0:1], v29, v30, vcc
	v_subrev_co_u32_e64 v30, s[0:1], s54, v26
	v_subbrev_co_u32_e64 v29, s[0:1], 0, v29, s[0:1]
	v_cmp_le_u32_e64 s[0:1], s55, v29
	v_cndmask_b32_e64 v31, 0, -1, s[0:1]
	v_cmp_le_u32_e64 s[0:1], s54, v30
	v_cndmask_b32_e64 v30, 0, -1, s[0:1]
	v_cmp_eq_u32_e64 s[0:1], s55, v29
	v_cndmask_b32_e64 v29, v31, v30, s[0:1]
	v_add_co_u32_e64 v30, s[0:1], 2, v3
	v_addc_co_u32_e64 v31, s[0:1], 0, v28, s[0:1]
	v_add_co_u32_e64 v33, s[0:1], 1, v3
	v_addc_co_u32_e64 v34, s[0:1], 0, v28, s[0:1]
	v_subb_co_u32_e32 v27, vcc, v25, v27, vcc
	v_cmp_ne_u32_e64 s[0:1], 0, v29
	v_cmp_le_u32_e32 vcc, s55, v27
	v_cndmask_b32_e64 v29, v34, v31, s[0:1]
	v_cndmask_b32_e64 v31, 0, -1, vcc
	v_cmp_le_u32_e32 vcc, s54, v26
	v_cndmask_b32_e64 v26, 0, -1, vcc
	v_cmp_eq_u32_e32 vcc, s55, v27
	v_cndmask_b32_e32 v26, v31, v26, vcc
	v_cmp_ne_u32_e32 vcc, 0, v26
	v_cndmask_b32_e64 v26, v33, v30, s[0:1]
	v_cndmask_b32_e32 v27, v28, v29, vcc
	v_cndmask_b32_e32 v26, v3, v26, vcc
.LBB54_54:                              ;   in Loop: Header=BB54_52 Depth=2
	s_andn2_saveexec_b64 s[0:1], s[56:57]
	s_cbranch_execz .LBB54_56
; %bb.55:                               ;   in Loop: Header=BB54_52 Depth=2
	v_cvt_f32_u32_e32 v3, s54
	s_sub_i32 s56, 0, s54
	v_rcp_iflag_f32_e32 v3, v3
	v_mul_f32_e32 v3, 0x4f7ffffe, v3
	v_cvt_u32_f32_e32 v3, v3
	v_mul_lo_u32 v26, s56, v3
	v_mul_hi_u32 v26, v3, v26
	v_add_u32_e32 v3, v3, v26
	v_mul_hi_u32 v3, v24, v3
	v_mul_lo_u32 v26, v3, s54
	v_sub_u32_e32 v26, v24, v26
	v_add_u32_e32 v27, 1, v3
	v_subrev_u32_e32 v28, s54, v26
	v_cmp_le_u32_e32 vcc, s54, v26
	v_cndmask_b32_e32 v26, v26, v28, vcc
	v_cndmask_b32_e32 v3, v3, v27, vcc
	v_add_u32_e32 v27, 1, v3
	v_cmp_le_u32_e32 vcc, s54, v26
	v_cndmask_b32_e32 v26, v3, v27, vcc
	v_mov_b32_e32 v27, v2
.LBB54_56:                              ;   in Loop: Header=BB54_52 Depth=2
	s_or_b64 exec, exec, s[0:1]
	v_mad_u64_u32 v[28:29], s[0:1], v26, s54, 0
	s_load_dwordx2 s[0:1], s[52:53], 0xc8
	v_mul_lo_u32 v3, v27, s54
	v_mul_lo_u32 v30, v26, s55
	v_add3_u32 v3, v29, v30, v3
	v_sub_co_u32_e32 v24, vcc, v24, v28
	s_add_i32 s58, s58, -1
	v_subb_co_u32_e32 v3, vcc, v25, v3, vcc
	s_add_u32 s52, s52, -8
	s_waitcnt lgkmcnt(0)
	v_mul_lo_u32 v3, s0, v3
	v_mul_lo_u32 v25, s1, v24
	v_mad_u64_u32 v[18:19], s[0:1], s0, v24, v[18:19]
	s_addc_u32 s53, s53, -1
	s_cmp_gt_u32 s58, 2
	v_add3_u32 v19, v25, v19, v3
	s_cbranch_scc0 .LBB54_63
; %bb.57:                               ;   in Loop: Header=BB54_52 Depth=2
	v_pk_mov_b32 v[24:25], v[26:27], v[26:27] op_sel:[0,1]
	s_branch .LBB54_52
.LBB54_58:                              ;   in Loop: Header=BB54_59 Depth=2
	s_or_b64 exec, exec, s[4:5]
	v_mad_u64_u32 v[24:25], s[4:5], v22, s54, 0
	s_load_dwordx2 s[4:5], s[52:53], 0xc8
	v_mul_lo_u32 v3, v23, s54
	v_mul_lo_u32 v26, v22, s55
	v_add3_u32 v3, v25, v26, v3
	v_sub_co_u32_e32 v18, vcc, v18, v24
	s_add_i32 s58, s58, -1
	v_subb_co_u32_e32 v3, vcc, v19, v3, vcc
	s_add_u32 s52, s52, -8
	s_waitcnt lgkmcnt(0)
	v_mul_lo_u32 v3, s4, v3
	v_mul_lo_u32 v19, s5, v18
	v_mad_u64_u32 v[20:21], s[4:5], s4, v18, v[20:21]
	s_addc_u32 s53, s53, -1
	s_cmp_gt_u32 s58, 2
	v_add3_u32 v21, v19, v21, v3
	v_pk_mov_b32 v[18:19], v[22:23], v[22:23] op_sel:[0,1]
	s_cbranch_scc0 .LBB54_49
.LBB54_59:                              ;   Parent Loop BB54_3 Depth=1
                                        ; =>  This Inner Loop Header: Depth=2
	s_load_dwordx2 s[54:55], s[52:53], 0x0
                                        ; implicit-def: $vgpr22_vgpr23
	s_waitcnt lgkmcnt(0)
	v_or_b32_e32 v3, s55, v19
	v_cmp_ne_u64_e32 vcc, 0, v[2:3]
	s_and_saveexec_b64 s[4:5], vcc
	s_xor_b64 s[56:57], exec, s[4:5]
	s_cbranch_execz .LBB54_61
; %bb.60:                               ;   in Loop: Header=BB54_59 Depth=2
	v_cvt_f32_u32_e32 v3, s54
	v_cvt_f32_u32_e32 v22, s55
	s_sub_u32 s4, 0, s54
	s_subb_u32 s5, 0, s55
	v_mac_f32_e32 v3, 0x4f800000, v22
	v_rcp_f32_e32 v3, v3
	v_mul_f32_e32 v3, 0x5f7ffffc, v3
	v_mul_f32_e32 v22, 0x2f800000, v3
	v_trunc_f32_e32 v22, v22
	v_mac_f32_e32 v3, 0xcf800000, v22
	v_cvt_u32_f32_e32 v22, v22
	v_cvt_u32_f32_e32 v3, v3
	v_mul_lo_u32 v23, s4, v22
	v_mul_hi_u32 v25, s4, v3
	v_mul_lo_u32 v24, s5, v3
	v_add_u32_e32 v23, v25, v23
	v_mul_lo_u32 v26, s4, v3
	v_add_u32_e32 v23, v23, v24
	v_mul_hi_u32 v25, v3, v26
	v_mul_lo_u32 v27, v3, v23
	v_mul_hi_u32 v24, v3, v23
	v_add_co_u32_e32 v25, vcc, v25, v27
	v_addc_co_u32_e32 v24, vcc, 0, v24, vcc
	v_mul_hi_u32 v28, v22, v26
	v_mul_lo_u32 v26, v22, v26
	v_add_co_u32_e32 v25, vcc, v25, v26
	v_mul_hi_u32 v27, v22, v23
	v_addc_co_u32_e32 v24, vcc, v24, v28, vcc
	v_addc_co_u32_e32 v25, vcc, 0, v27, vcc
	v_mul_lo_u32 v23, v22, v23
	v_add_co_u32_e32 v23, vcc, v24, v23
	v_addc_co_u32_e32 v24, vcc, 0, v25, vcc
	v_add_co_u32_e32 v3, vcc, v3, v23
	v_addc_co_u32_e32 v22, vcc, v22, v24, vcc
	v_mul_lo_u32 v23, s4, v22
	v_mul_hi_u32 v24, s4, v3
	v_add_u32_e32 v23, v24, v23
	v_mul_lo_u32 v24, s5, v3
	v_add_u32_e32 v23, v23, v24
	v_mul_lo_u32 v25, s4, v3
	v_mul_hi_u32 v26, v22, v25
	v_mul_lo_u32 v27, v22, v25
	v_mul_lo_u32 v29, v3, v23
	v_mul_hi_u32 v25, v3, v25
	v_mul_hi_u32 v28, v3, v23
	v_add_co_u32_e32 v25, vcc, v25, v29
	v_addc_co_u32_e32 v28, vcc, 0, v28, vcc
	v_add_co_u32_e32 v25, vcc, v25, v27
	v_mul_hi_u32 v24, v22, v23
	v_addc_co_u32_e32 v25, vcc, v28, v26, vcc
	v_addc_co_u32_e32 v24, vcc, 0, v24, vcc
	v_mul_lo_u32 v23, v22, v23
	v_add_co_u32_e32 v23, vcc, v25, v23
	v_addc_co_u32_e32 v24, vcc, 0, v24, vcc
	v_add_co_u32_e32 v3, vcc, v3, v23
	v_addc_co_u32_e32 v24, vcc, v22, v24, vcc
	v_mad_u64_u32 v[22:23], s[4:5], v18, v24, 0
	v_mul_hi_u32 v25, v18, v3
	v_add_co_u32_e32 v26, vcc, v25, v22
	v_addc_co_u32_e32 v27, vcc, 0, v23, vcc
	v_mad_u64_u32 v[22:23], s[4:5], v19, v24, 0
	v_mad_u64_u32 v[24:25], s[4:5], v19, v3, 0
	v_add_co_u32_e32 v3, vcc, v26, v24
	v_addc_co_u32_e32 v3, vcc, v27, v25, vcc
	v_addc_co_u32_e32 v23, vcc, 0, v23, vcc
	v_add_co_u32_e32 v3, vcc, v3, v22
	v_addc_co_u32_e32 v24, vcc, 0, v23, vcc
	v_mul_lo_u32 v25, s55, v3
	v_mul_lo_u32 v26, s54, v24
	v_mad_u64_u32 v[22:23], s[4:5], s54, v3, 0
	v_add3_u32 v23, v23, v26, v25
	v_sub_u32_e32 v25, v19, v23
	v_mov_b32_e32 v26, s55
	v_sub_co_u32_e32 v22, vcc, v18, v22
	v_subb_co_u32_e64 v25, s[4:5], v25, v26, vcc
	v_subrev_co_u32_e64 v26, s[4:5], s54, v22
	v_subbrev_co_u32_e64 v25, s[4:5], 0, v25, s[4:5]
	v_cmp_le_u32_e64 s[4:5], s55, v25
	v_cndmask_b32_e64 v27, 0, -1, s[4:5]
	v_cmp_le_u32_e64 s[4:5], s54, v26
	v_cndmask_b32_e64 v26, 0, -1, s[4:5]
	v_cmp_eq_u32_e64 s[4:5], s55, v25
	v_cndmask_b32_e64 v25, v27, v26, s[4:5]
	v_add_co_u32_e64 v26, s[4:5], 2, v3
	v_addc_co_u32_e64 v27, s[4:5], 0, v24, s[4:5]
	v_add_co_u32_e64 v28, s[4:5], 1, v3
	v_addc_co_u32_e64 v29, s[4:5], 0, v24, s[4:5]
	v_subb_co_u32_e32 v23, vcc, v19, v23, vcc
	v_cmp_ne_u32_e64 s[4:5], 0, v25
	v_cmp_le_u32_e32 vcc, s55, v23
	v_cndmask_b32_e64 v25, v29, v27, s[4:5]
	v_cndmask_b32_e64 v27, 0, -1, vcc
	v_cmp_le_u32_e32 vcc, s54, v22
	v_cndmask_b32_e64 v22, 0, -1, vcc
	v_cmp_eq_u32_e32 vcc, s55, v23
	v_cndmask_b32_e32 v22, v27, v22, vcc
	v_cmp_ne_u32_e32 vcc, 0, v22
	v_cndmask_b32_e64 v22, v28, v26, s[4:5]
	v_cndmask_b32_e32 v23, v24, v25, vcc
	v_cndmask_b32_e32 v22, v3, v22, vcc
.LBB54_61:                              ;   in Loop: Header=BB54_59 Depth=2
	s_andn2_saveexec_b64 s[4:5], s[56:57]
	s_cbranch_execz .LBB54_58
; %bb.62:                               ;   in Loop: Header=BB54_59 Depth=2
	v_cvt_f32_u32_e32 v3, s54
	s_sub_i32 s56, 0, s54
	v_rcp_iflag_f32_e32 v3, v3
	v_mul_f32_e32 v3, 0x4f7ffffe, v3
	v_cvt_u32_f32_e32 v3, v3
	v_mul_lo_u32 v22, s56, v3
	v_mul_hi_u32 v22, v3, v22
	v_add_u32_e32 v3, v3, v22
	v_mul_hi_u32 v3, v18, v3
	v_mul_lo_u32 v22, v3, s54
	v_sub_u32_e32 v22, v18, v22
	v_add_u32_e32 v23, 1, v3
	v_subrev_u32_e32 v24, s54, v22
	v_cmp_le_u32_e32 vcc, s54, v22
	v_cndmask_b32_e32 v22, v22, v24, vcc
	v_cndmask_b32_e32 v3, v3, v23, vcc
	v_add_u32_e32 v23, 1, v3
	v_cmp_le_u32_e32 vcc, s54, v22
	v_cndmask_b32_e32 v22, v3, v23, vcc
	v_mov_b32_e32 v23, v2
	s_branch .LBB54_58
.LBB54_63:                              ;   in Loop: Header=BB54_3 Depth=1
	v_mad_u64_u32 v[18:19], s[0:1], s18, v26, v[18:19]
	v_mul_lo_u32 v3, s18, v27
	v_mul_lo_u32 v24, s19, v26
	v_add3_u32 v19, v24, v19, v3
.LBB54_64:                              ;   in Loop: Header=BB54_3 Depth=1
	s_or_b64 exec, exec, s[6:7]
	v_pk_mov_b32 v[24:25], 0, 0
	s_and_saveexec_b64 s[6:7], s[4:5]
	s_cbranch_execz .LBB54_67
; %bb.65:                               ;   in Loop: Header=BB54_3 Depth=1
	s_and_b64 vcc, exec, s[2:3]
	v_pk_mov_b32 v[24:25], 0, 0
	s_mov_b64 s[2:3], s[34:35]
	s_mov_b32 s54, s65
	s_cbranch_vccz .LBB54_97
.LBB54_66:                              ;   in Loop: Header=BB54_3 Depth=1
	v_mad_u64_u32 v[24:25], s[0:1], s20, v22, v[24:25]
	v_mul_lo_u32 v3, s20, v23
	v_mul_lo_u32 v22, s21, v22
	v_add3_u32 v25, v22, v25, v3
.LBB54_67:                              ;   in Loop: Header=BB54_3 Depth=1
	s_or_b64 exec, exec, s[6:7]
	v_lshlrev_b64 v[12:13], 2, v[12:13]
	v_mov_b32_e32 v3, s17
	v_add_co_u32_e32 v12, vcc, s16, v12
	v_addc_co_u32_e32 v13, vcc, v3, v13, vcc
	v_lshlrev_b64 v[16:17], 2, v[16:17]
	v_add_co_u32_e32 v16, vcc, s16, v16
	v_addc_co_u32_e32 v17, vcc, v3, v17, vcc
	v_lshlrev_b64 v[20:21], 2, v[20:21]
	;; [unrolled: 3-line block ×3, first 2 shown]
	v_add_co_u32_e32 v22, vcc, s16, v22
	v_addc_co_u32_e32 v23, vcc, v3, v23, vcc
	global_load_dword v3, v[12:13], off
	global_load_dword v33, v[16:17], off
	;; [unrolled: 1-line block ×4, first 2 shown]
	s_andn2_b64 vcc, exec, s[26:27]
	v_pk_mov_b32 v[12:13], s[12:13], s[12:13] op_sel:[0,1]
	v_pk_mov_b32 v[16:17], s[10:11], s[10:11] op_sel:[0,1]
	s_cbranch_vccnz .LBB54_69
; %bb.68:                               ;   in Loop: Header=BB54_3 Depth=1
	v_pk_mov_b32 v[12:13], s[12:13], s[12:13] op_sel:[0,1]
	flat_load_dwordx2 v[12:13], v[12:13]
	v_pk_mov_b32 v[16:17], s[10:11], s[10:11] op_sel:[0,1]
	flat_load_dwordx2 v[16:17], v[16:17]
	v_mov_b32_e32 v20, s15
	s_waitcnt vmcnt(0) lgkmcnt(0)
	v_add_co_u32_e32 v12, vcc, s14, v12
	v_addc_co_u32_e32 v13, vcc, v13, v20, vcc
.LBB54_69:                              ;   in Loop: Header=BB54_3 Depth=1
	v_alignbit_b32 v28, v13, v12, 2
	v_lshrrev_b32_e32 v29, 2, v13
	v_xor_b32_e32 v20, v6, v16
	v_and_b32_e32 v36, 3, v12
	v_mad_u64_u32 v[12:13], s[0:1], v28, s66, 0
	v_xor_b32_e32 v20, v20, v29
	v_xor_b32_e32 v13, v13, v17
	v_add_u32_e32 v41, 0xbb67ae85, v17
	v_mad_u64_u32 v[20:21], s[0:1], v20, s66, 0
	v_mad_u64_u32 v[22:23], s[0:1], v13, s33, 0
	v_xor_b32_e32 v21, v41, v21
	v_add_u32_e32 v40, 0x9e3779b9, v16
	v_xor_b32_e32 v13, v4, v23
	v_xor_b32_e32 v21, v21, v12
	v_xor_b32_e32 v13, v13, v40
	v_add_u32_e32 v42, 0x3c6ef372, v16
	v_mad_u64_u32 v[24:25], s[0:1], v21, s33, 0
	v_add_u32_e32 v43, 0x76cf5d0a, v17
	v_mad_u64_u32 v[12:13], s[0:1], v13, s66, 0
	v_xor_b32_e32 v21, v42, v25
	v_xor_b32_e32 v21, v21, v22
	v_xor_b32_e32 v13, v43, v13
	v_xor_b32_e32 v13, v13, v20
	v_add_u32_e32 v45, 0x32370b8f, v17
	v_mad_u64_u32 v[20:21], s[0:1], v21, s66, 0
	v_add_u32_e32 v44, 0xdaa66d2b, v16
	v_mad_u64_u32 v[22:23], s[0:1], v13, s33, 0
	v_xor_b32_e32 v21, v45, v21
	;; [unrolled: 8-line block ×5, first 2 shown]
	v_xor_b32_e32 v21, v21, v22
	v_xor_b32_e32 v13, v51, v13
	;; [unrolled: 1-line block ×3, first 2 shown]
	v_add_u32_e32 v53, 0x1fd5c5a3, v17
	v_mad_u64_u32 v[20:21], s[0:1], v21, s66, 0
	v_xor_b32_e32 v21, v53, v21
	v_xor_b32_e32 v12, v21, v12
	v_add_u32_e32 v52, 0x5384540f, v16
	v_mad_u64_u32 v[26:27], s[0:1], v13, s33, 0
	v_add_co_u32_e32 v38, vcc, s67, v16
	v_mad_u64_u32 v[22:23], s[0:1], v12, s33, 0
	v_xor_b32_e32 v13, v52, v27
	v_xor_b32_e32 v12, v38, v23
	;; [unrolled: 1-line block ×4, first 2 shown]
	v_mad_u64_u32 v[24:25], s[0:1], v13, s66, 0
	v_mad_u64_u32 v[12:13], s[0:1], v12, s66, 0
	v_add_u32_e32 v39, 0x96a522ad, v17
	v_xor_b32_e32 v13, v13, v24
	v_xor_b32_e32 v37, v39, v13
	v_add_co_u32_e32 v13, vcc, 1, v28
	v_cndmask_b32_e64 v24, 0, 1, vcc
	v_addc_co_u32_e32 v30, vcc, 0, v29, vcc
	v_cmp_eq_u32_e32 vcc, 0, v30
	v_cndmask_b32_e32 v24, 0, v24, vcc
	v_add_u32_e32 v28, v24, v7
	v_cmp_eq_u32_e32 vcc, 0, v28
	v_mad_u64_u32 v[26:27], s[0:1], v13, s66, 0
	v_mad_u64_u32 v[28:29], s[0:1], v28, s33, 0
	v_add_u32_e32 v23, 0x8ff34781, v16
	v_cndmask_b32_e32 v24, 0, v24, vcc
	v_xor_b32_e32 v13, v29, v16
	v_xor_b32_e32 v16, v27, v17
	;; [unrolled: 1-line block ×4, first 2 shown]
	v_mad_u64_u32 v[30:31], s[0:1], v24, s33, 0
	v_add_u32_e32 v21, 0xdb3d7428, v17
	v_mad_u64_u32 v[16:17], s[0:1], v13, s66, 0
	v_xor_b32_e32 v13, v40, v31
	v_xor_b32_e32 v13, v13, v28
	v_xor_b32_e32 v17, v41, v17
	v_xor_b32_e32 v17, v17, v26
	v_mad_u64_u32 v[26:27], s[0:1], v13, s66, 0
	v_mad_u64_u32 v[28:29], s[0:1], v17, s33, 0
	v_xor_b32_e32 v17, v43, v27
	v_xor_b32_e32 v13, v42, v29
	v_xor_b32_e32 v24, v17, v16
	v_xor_b32_e32 v13, v13, v30
	v_mad_u64_u32 v[30:31], s[0:1], v24, s33, 0
	;; [unrolled: 6-line block ×7, first 2 shown]
	v_xor_b32_e32 v13, v21, v29
	v_xor_b32_e32 v13, v13, v16
	v_mad_u64_u32 v[30:31], s[0:1], v17, s33, 0
	v_mad_u64_u32 v[16:17], s[0:1], v13, s33, 0
	v_xor_b32_e32 v13, v17, v30
	v_xor_b32_e32 v13, v23, v13
	v_cmp_lt_i32_e32 vcc, 1, v36
                                        ; implicit-def: $vgpr27
	s_and_saveexec_b64 s[0:1], vcc
	s_xor_b64 s[0:1], exec, s[0:1]
	s_cbranch_execz .LBB54_75
; %bb.70:                               ;   in Loop: Header=BB54_3 Depth=1
	v_cmp_lt_i32_e32 vcc, 2, v36
                                        ; implicit-def: $vgpr27
	s_and_saveexec_b64 s[2:3], vcc
	s_xor_b64 s[2:3], exec, s[2:3]
; %bb.71:                               ;   in Loop: Header=BB54_3 Depth=1
	v_xor_b32_e32 v17, v38, v31
	v_xor_b32_e32 v17, v17, v26
	v_mul_hi_u32 v17, v17, s66
	v_xor_b32_e32 v17, v17, v28
	v_xor_b32_e32 v27, v39, v17
                                        ; implicit-def: $vgpr37
; %bb.72:                               ;   in Loop: Header=BB54_3 Depth=1
	s_andn2_saveexec_b64 s[2:3], s[2:3]
; %bb.73:                               ;   in Loop: Header=BB54_3 Depth=1
	v_mov_b32_e32 v27, v16
	v_mov_b32_e32 v16, v13
	;; [unrolled: 1-line block ×4, first 2 shown]
; %bb.74:                               ;   in Loop: Header=BB54_3 Depth=1
	s_or_b64 exec, exec, s[2:3]
                                        ; implicit-def: $vgpr20_vgpr21
                                        ; implicit-def: $vgpr22_vgpr23
                                        ; implicit-def: $vgpr36
                                        ; implicit-def: $vgpr37
                                        ; implicit-def: $vgpr24_vgpr25
                                        ; implicit-def: $vgpr21
                                        ; implicit-def: $vgpr23
.LBB54_75:                              ;   in Loop: Header=BB54_3 Depth=1
	s_andn2_saveexec_b64 s[0:1], s[0:1]
	s_cbranch_execz .LBB54_79
; %bb.76:                               ;   in Loop: Header=BB54_3 Depth=1
	v_xor_b32_e32 v16, v21, v25
	v_xor_b32_e32 v16, v16, v20
	v_mad_u64_u32 v[20:21], s[2:3], v16, s33, 0
	v_xor_b32_e32 v16, v21, v22
	v_xor_b32_e32 v17, v23, v16
	v_cmp_eq_u32_e32 vcc, 1, v36
	v_mov_b32_e32 v27, v12
	v_mov_b32_e32 v16, v37
	;; [unrolled: 1-line block ×3, first 2 shown]
	s_and_saveexec_b64 s[2:3], vcc
; %bb.77:                               ;   in Loop: Header=BB54_3 Depth=1
	v_mov_b32_e32 v27, v13
	v_mov_b32_e32 v16, v12
	;; [unrolled: 1-line block ×4, first 2 shown]
; %bb.78:                               ;   in Loop: Header=BB54_3 Depth=1
	s_or_b64 exec, exec, s[2:3]
	v_mov_b32_e32 v12, v17
	v_mov_b32_e32 v13, v21
.LBB54_79:                              ;   in Loop: Header=BB54_3 Depth=1
	s_or_b64 exec, exec, s[0:1]
	v_min_i32_e32 v17, 4, v32
	v_cmp_lt_i32_e32 vcc, 2, v17
	s_mov_b64 s[2:3], 0
	s_mov_b64 s[58:59], 0
	;; [unrolled: 1-line block ×3, first 2 shown]
                                        ; implicit-def: $sgpr6_sgpr7
                                        ; implicit-def: $sgpr52_sgpr53
                                        ; implicit-def: $sgpr54_sgpr55
	s_and_saveexec_b64 s[0:1], vcc
	s_xor_b64 s[56:57], exec, s[0:1]
	s_cbranch_execz .LBB54_91
; %bb.80:                               ;   in Loop: Header=BB54_3 Depth=1
	v_cmp_lt_i32_e32 vcc, 3, v17
	s_mov_b64 s[0:1], -1
	s_mov_b64 s[60:61], 0
                                        ; implicit-def: $sgpr4_sgpr5
                                        ; implicit-def: $sgpr6_sgpr7
	s_and_saveexec_b64 s[52:53], vcc
	s_cbranch_execz .LBB54_86
; %bb.81:                               ;   in Loop: Header=BB54_3 Depth=1
	v_cmp_eq_u32_e32 vcc, 4, v17
	s_mov_b64 s[0:1], 0
	s_mov_b64 s[60:61], -1
                                        ; implicit-def: $sgpr4_sgpr5
                                        ; implicit-def: $sgpr6_sgpr7
	s_and_saveexec_b64 s[54:55], vcc
	s_cbranch_execz .LBB54_85
; %bb.82:                               ;   in Loop: Header=BB54_3 Depth=1
	s_waitcnt vmcnt(0)
	v_cmp_le_f32_e32 vcc, 0, v35
	v_cmp_ge_f32_e64 s[0:1], 1.0, v35
	s_and_b64 s[60:61], vcc, s[0:1]
	s_mov_b64 s[4:5], 0
	s_mov_b64 s[0:1], 0
	s_and_saveexec_b64 s[6:7], s[60:61]
	s_cbranch_execz .LBB54_84
; %bb.83:                               ;   in Loop: Header=BB54_3 Depth=1
	v_cvt_f32_u32_e32 v20, v27
	v_mov_b32_e32 v21, 0x2f800000
	v_lshlrev_b64 v[18:19], 3, v[18:19]
	v_add_co_u32_e32 v18, vcc, s24, v18
	v_fmac_f32_e32 v21, 0x2f800000, v20
	v_mov_b32_e32 v20, s25
	v_addc_co_u32_e32 v19, vcc, v20, v19, vcc
	v_cmp_le_f32_e32 vcc, v21, v35
	s_mov_b64 s[0:1], exec
	v_cndmask_b32_e64 v20, 0, 1, vcc
	v_mov_b32_e32 v21, s63
	global_store_dwordx2 v[18:19], v[20:21], off
.LBB54_84:                              ;   in Loop: Header=BB54_3 Depth=1
	s_or_b64 exec, exec, s[6:7]
	s_mov_b64 s[6:7], -1
	s_xor_b64 s[60:61], exec, -1
	s_and_b64 s[0:1], s[0:1], exec
.LBB54_85:                              ;   in Loop: Header=BB54_3 Depth=1
	s_or_b64 exec, exec, s[54:55]
	s_and_b64 s[60:61], s[60:61], exec
	s_orn2_b64 s[0:1], s[0:1], exec
.LBB54_86:                              ;   in Loop: Header=BB54_3 Depth=1
	s_or_b64 exec, exec, s[52:53]
	s_mov_b64 s[54:55], s[4:5]
	s_and_saveexec_b64 s[52:53], s[0:1]
	s_cbranch_execz .LBB54_90
; %bb.87:                               ;   in Loop: Header=BB54_3 Depth=1
	s_waitcnt vmcnt(1)
	v_cmp_le_f32_e32 vcc, 0, v34
	v_cmp_ge_f32_e64 s[0:1], 1.0, v34
	s_and_b64 s[54:55], vcc, s[0:1]
	s_mov_b64 s[0:1], 0
	s_and_saveexec_b64 s[58:59], s[54:55]
	s_xor_b64 s[54:55], exec, s[58:59]
	s_cbranch_execz .LBB54_89
; %bb.88:                               ;   in Loop: Header=BB54_3 Depth=1
	v_cvt_f32_u32_e32 v16, v16
	v_mov_b32_e32 v18, 0x2f800000
	v_lshlrev_b64 v[14:15], 3, v[14:15]
	v_add_co_u32_e32 v14, vcc, s24, v14
	v_fmac_f32_e32 v18, 0x2f800000, v16
	v_mov_b32_e32 v16, s25
	v_addc_co_u32_e32 v15, vcc, v16, v15, vcc
	v_cmp_le_f32_e32 vcc, v18, v34
	v_cndmask_b32_e64 v18, 0, 1, vcc
	v_mov_b32_e32 v19, s63
	s_mov_b64 s[0:1], exec
	global_store_dwordx2 v[14:15], v[18:19], off
.LBB54_89:                              ;   in Loop: Header=BB54_3 Depth=1
	s_or_b64 exec, exec, s[54:55]
	s_andn2_b64 s[54:55], s[4:5], exec
	s_or_b64 s[4:5], s[4:5], exec
	s_andn2_b64 s[6:7], s[6:7], exec
	s_and_b64 s[58:59], s[0:1], exec
.LBB54_90:                              ;   in Loop: Header=BB54_3 Depth=1
	s_or_b64 exec, exec, s[52:53]
	s_and_b64 s[54:55], s[54:55], exec
	s_and_b64 s[52:53], s[4:5], exec
	;; [unrolled: 1-line block ×5, first 2 shown]
.LBB54_91:                              ;   in Loop: Header=BB54_3 Depth=1
	s_andn2_saveexec_b64 s[0:1], s[56:57]
; %bb.92:                               ;   in Loop: Header=BB54_3 Depth=1
	v_cmp_lt_i32_e32 vcc, 1, v17
	s_andn2_b64 s[56:57], s[58:59], exec
	s_and_b64 s[58:59], vcc, exec
	s_mov_b64 s[2:3], exec
	s_andn2_b64 s[54:55], s[54:55], exec
	s_andn2_b64 s[52:53], s[52:53], exec
	s_andn2_b64 s[6:7], s[6:7], exec
	s_or_b64 s[58:59], s[56:57], s[58:59]
; %bb.93:                               ;   in Loop: Header=BB54_3 Depth=1
	s_or_b64 exec, exec, s[0:1]
	s_mov_b64 s[0:1], 0
	s_mov_b64 s[56:57], s[54:55]
	s_and_saveexec_b64 s[60:61], s[58:59]
	s_cbranch_execnz .LBB54_101
; %bb.94:                               ;   in Loop: Header=BB54_3 Depth=1
	s_or_b64 exec, exec, s[60:61]
	s_and_saveexec_b64 s[58:59], s[2:3]
	s_cbranch_execnz .LBB54_104
.LBB54_95:                              ;   in Loop: Header=BB54_3 Depth=1
	s_or_b64 exec, exec, s[58:59]
	s_and_saveexec_b64 s[2:3], s[0:1]
	s_cbranch_execnz .LBB54_105
	s_branch .LBB54_108
.LBB54_96:                              ;   in Loop: Header=BB54_97 Depth=2
	s_or_b64 exec, exec, s[0:1]
	v_mad_u64_u32 v[28:29], s[0:1], v26, s4, 0
	s_load_dwordx2 s[0:1], s[2:3], 0xc8
	v_mul_lo_u32 v3, v27, s4
	v_mul_lo_u32 v30, v26, s5
	v_add3_u32 v3, v29, v30, v3
	v_sub_co_u32_e32 v22, vcc, v22, v28
	s_add_i32 s54, s54, -1
	v_subb_co_u32_e32 v3, vcc, v23, v3, vcc
	s_add_u32 s2, s2, -8
	s_waitcnt lgkmcnt(0)
	v_mul_lo_u32 v3, s0, v3
	v_mul_lo_u32 v23, s1, v22
	v_mad_u64_u32 v[24:25], s[0:1], s0, v22, v[24:25]
	s_addc_u32 s3, s3, -1
	s_cmp_gt_u32 s54, 2
	v_add3_u32 v25, v23, v25, v3
	v_pk_mov_b32 v[22:23], v[26:27], v[26:27] op_sel:[0,1]
	s_cbranch_scc0 .LBB54_66
.LBB54_97:                              ;   Parent Loop BB54_3 Depth=1
                                        ; =>  This Inner Loop Header: Depth=2
	s_load_dwordx2 s[4:5], s[2:3], 0x0
                                        ; implicit-def: $vgpr26_vgpr27
	s_waitcnt lgkmcnt(0)
	v_or_b32_e32 v3, s5, v23
	v_cmp_ne_u64_e32 vcc, 0, v[2:3]
	s_and_saveexec_b64 s[0:1], vcc
	s_xor_b64 s[52:53], exec, s[0:1]
	s_cbranch_execz .LBB54_99
; %bb.98:                               ;   in Loop: Header=BB54_97 Depth=2
	v_cvt_f32_u32_e32 v3, s4
	v_cvt_f32_u32_e32 v26, s5
	s_sub_u32 s0, 0, s4
	s_subb_u32 s1, 0, s5
	v_mac_f32_e32 v3, 0x4f800000, v26
	v_rcp_f32_e32 v3, v3
	v_mul_f32_e32 v3, 0x5f7ffffc, v3
	v_mul_f32_e32 v26, 0x2f800000, v3
	v_trunc_f32_e32 v26, v26
	v_mac_f32_e32 v3, 0xcf800000, v26
	v_cvt_u32_f32_e32 v26, v26
	v_cvt_u32_f32_e32 v3, v3
	v_mul_lo_u32 v27, s0, v26
	v_mul_hi_u32 v29, s0, v3
	v_mul_lo_u32 v28, s1, v3
	v_add_u32_e32 v27, v29, v27
	v_mul_lo_u32 v30, s0, v3
	v_add_u32_e32 v27, v27, v28
	v_mul_hi_u32 v29, v3, v30
	v_mul_lo_u32 v31, v3, v27
	v_mul_hi_u32 v28, v3, v27
	v_add_co_u32_e32 v29, vcc, v29, v31
	v_addc_co_u32_e32 v28, vcc, 0, v28, vcc
	s_waitcnt vmcnt(2)
	v_mul_hi_u32 v33, v26, v30
	v_mul_lo_u32 v30, v26, v30
	v_add_co_u32_e32 v29, vcc, v29, v30
	v_mul_hi_u32 v31, v26, v27
	v_addc_co_u32_e32 v28, vcc, v28, v33, vcc
	v_addc_co_u32_e32 v29, vcc, 0, v31, vcc
	v_mul_lo_u32 v27, v26, v27
	v_add_co_u32_e32 v27, vcc, v28, v27
	v_addc_co_u32_e32 v28, vcc, 0, v29, vcc
	v_add_co_u32_e32 v3, vcc, v3, v27
	v_addc_co_u32_e32 v26, vcc, v26, v28, vcc
	v_mul_lo_u32 v27, s0, v26
	v_mul_hi_u32 v28, s0, v3
	v_add_u32_e32 v27, v28, v27
	v_mul_lo_u32 v28, s1, v3
	v_add_u32_e32 v27, v27, v28
	v_mul_lo_u32 v29, s0, v3
	v_mul_hi_u32 v30, v26, v29
	v_mul_lo_u32 v31, v26, v29
	s_waitcnt vmcnt(1)
	v_mul_lo_u32 v34, v3, v27
	v_mul_hi_u32 v29, v3, v29
	v_mul_hi_u32 v33, v3, v27
	v_add_co_u32_e32 v29, vcc, v29, v34
	v_addc_co_u32_e32 v33, vcc, 0, v33, vcc
	v_add_co_u32_e32 v29, vcc, v29, v31
	v_mul_hi_u32 v28, v26, v27
	v_addc_co_u32_e32 v29, vcc, v33, v30, vcc
	v_addc_co_u32_e32 v28, vcc, 0, v28, vcc
	v_mul_lo_u32 v27, v26, v27
	v_add_co_u32_e32 v27, vcc, v29, v27
	v_addc_co_u32_e32 v28, vcc, 0, v28, vcc
	v_add_co_u32_e32 v3, vcc, v3, v27
	v_addc_co_u32_e32 v28, vcc, v26, v28, vcc
	v_mad_u64_u32 v[26:27], s[0:1], v22, v28, 0
	v_mul_hi_u32 v29, v22, v3
	v_add_co_u32_e32 v30, vcc, v29, v26
	v_addc_co_u32_e32 v31, vcc, 0, v27, vcc
	v_mad_u64_u32 v[26:27], s[0:1], v23, v28, 0
	v_mad_u64_u32 v[28:29], s[0:1], v23, v3, 0
	v_add_co_u32_e32 v3, vcc, v30, v28
	v_addc_co_u32_e32 v3, vcc, v31, v29, vcc
	v_addc_co_u32_e32 v27, vcc, 0, v27, vcc
	v_add_co_u32_e32 v3, vcc, v3, v26
	v_addc_co_u32_e32 v28, vcc, 0, v27, vcc
	v_mul_lo_u32 v29, s5, v3
	v_mul_lo_u32 v30, s4, v28
	v_mad_u64_u32 v[26:27], s[0:1], s4, v3, 0
	v_add3_u32 v27, v27, v30, v29
	v_sub_u32_e32 v29, v23, v27
	v_mov_b32_e32 v30, s5
	v_sub_co_u32_e32 v26, vcc, v22, v26
	v_subb_co_u32_e64 v29, s[0:1], v29, v30, vcc
	v_subrev_co_u32_e64 v30, s[0:1], s4, v26
	v_subbrev_co_u32_e64 v29, s[0:1], 0, v29, s[0:1]
	v_cmp_le_u32_e64 s[0:1], s5, v29
	v_cndmask_b32_e64 v31, 0, -1, s[0:1]
	v_cmp_le_u32_e64 s[0:1], s4, v30
	v_cndmask_b32_e64 v30, 0, -1, s[0:1]
	v_cmp_eq_u32_e64 s[0:1], s5, v29
	v_cndmask_b32_e64 v29, v31, v30, s[0:1]
	v_add_co_u32_e64 v30, s[0:1], 2, v3
	v_addc_co_u32_e64 v31, s[0:1], 0, v28, s[0:1]
	v_add_co_u32_e64 v33, s[0:1], 1, v3
	v_addc_co_u32_e64 v34, s[0:1], 0, v28, s[0:1]
	v_subb_co_u32_e32 v27, vcc, v23, v27, vcc
	v_cmp_ne_u32_e64 s[0:1], 0, v29
	v_cmp_le_u32_e32 vcc, s5, v27
	v_cndmask_b32_e64 v29, v34, v31, s[0:1]
	v_cndmask_b32_e64 v31, 0, -1, vcc
	v_cmp_le_u32_e32 vcc, s4, v26
	v_cndmask_b32_e64 v26, 0, -1, vcc
	v_cmp_eq_u32_e32 vcc, s5, v27
	v_cndmask_b32_e32 v26, v31, v26, vcc
	v_cmp_ne_u32_e32 vcc, 0, v26
	v_cndmask_b32_e64 v26, v33, v30, s[0:1]
	v_cndmask_b32_e32 v27, v28, v29, vcc
	v_cndmask_b32_e32 v26, v3, v26, vcc
.LBB54_99:                              ;   in Loop: Header=BB54_97 Depth=2
	s_andn2_saveexec_b64 s[0:1], s[52:53]
	s_cbranch_execz .LBB54_96
; %bb.100:                              ;   in Loop: Header=BB54_97 Depth=2
	v_cvt_f32_u32_e32 v3, s4
	s_sub_i32 s52, 0, s4
	v_rcp_iflag_f32_e32 v3, v3
	v_mul_f32_e32 v3, 0x4f7ffffe, v3
	v_cvt_u32_f32_e32 v3, v3
	v_mul_lo_u32 v26, s52, v3
	v_mul_hi_u32 v26, v3, v26
	v_add_u32_e32 v3, v3, v26
	v_mul_hi_u32 v3, v22, v3
	v_mul_lo_u32 v26, v3, s4
	v_sub_u32_e32 v26, v22, v26
	v_add_u32_e32 v27, 1, v3
	v_subrev_u32_e32 v28, s4, v26
	v_cmp_le_u32_e32 vcc, s4, v26
	v_cndmask_b32_e32 v26, v26, v28, vcc
	v_cndmask_b32_e32 v3, v3, v27, vcc
	v_add_u32_e32 v27, 1, v3
	v_cmp_le_u32_e32 vcc, s4, v26
	v_cndmask_b32_e32 v26, v3, v27, vcc
	v_mov_b32_e32 v27, v2
	s_branch .LBB54_96
.LBB54_101:                             ;   in Loop: Header=BB54_3 Depth=1
	s_waitcnt vmcnt(2)
	v_cmp_le_f32_e32 vcc, 0, v33
	v_cmp_ge_f32_e64 s[0:1], 1.0, v33
	s_and_b64 s[56:57], vcc, s[0:1]
	s_mov_b64 s[0:1], 0
	s_and_saveexec_b64 s[58:59], s[56:57]
	s_xor_b64 s[56:57], exec, s[58:59]
	s_cbranch_execz .LBB54_103
; %bb.102:                              ;   in Loop: Header=BB54_3 Depth=1
	v_cvt_f32_u32_e32 v13, v13
	v_mov_b32_e32 v14, 0x2f800000
	v_lshlrev_b64 v[10:11], 3, v[10:11]
	v_add_co_u32_e32 v10, vcc, s24, v10
	v_fmac_f32_e32 v14, 0x2f800000, v13
	v_mov_b32_e32 v13, s25
	v_addc_co_u32_e32 v11, vcc, v13, v11, vcc
	v_cmp_le_f32_e32 vcc, v14, v33
	v_cndmask_b32_e64 v14, 0, 1, vcc
	v_mov_b32_e32 v15, s63
	s_mov_b64 s[0:1], exec
	global_store_dwordx2 v[10:11], v[14:15], off
.LBB54_103:                             ;   in Loop: Header=BB54_3 Depth=1
	s_or_b64 exec, exec, s[56:57]
	s_andn2_b64 s[56:57], s[54:55], exec
	s_or_b64 s[54:55], s[54:55], exec
	s_andn2_b64 s[52:53], s[52:53], exec
	s_andn2_b64 s[6:7], s[6:7], exec
	s_and_b64 s[0:1], s[0:1], exec
	s_andn2_b64 s[2:3], s[2:3], exec
	s_or_b64 exec, exec, s[60:61]
	s_and_saveexec_b64 s[58:59], s[2:3]
	s_cbranch_execz .LBB54_95
.LBB54_104:                             ;   in Loop: Header=BB54_3 Depth=1
	v_cmp_eq_u32_e32 vcc, 1, v17
	s_andn2_b64 s[0:1], s[0:1], exec
	s_and_b64 s[2:3], vcc, exec
	s_andn2_b64 s[56:57], s[56:57], exec
	s_andn2_b64 s[54:55], s[54:55], exec
	;; [unrolled: 1-line block ×4, first 2 shown]
	s_or_b64 s[4:5], s[4:5], exec
	s_or_b64 s[0:1], s[0:1], s[2:3]
	s_or_b64 exec, exec, s[58:59]
	s_and_saveexec_b64 s[2:3], s[0:1]
	s_cbranch_execz .LBB54_108
.LBB54_105:                             ;   in Loop: Header=BB54_3 Depth=1
	s_waitcnt vmcnt(3)
	v_cmp_le_f32_e32 vcc, 0, v3
	v_cmp_ge_f32_e64 s[0:1], 1.0, v3
	s_and_b64 s[60:61], vcc, s[0:1]
	s_mov_b64 s[0:1], 0
	s_and_saveexec_b64 s[58:59], s[60:61]
	s_cbranch_execz .LBB54_107
; %bb.106:                              ;   in Loop: Header=BB54_3 Depth=1
	v_cvt_f32_u32_e32 v10, v12
	v_mov_b32_e32 v11, 0x2f800000
	v_lshlrev_b64 v[8:9], 3, v[8:9]
	v_add_co_u32_e32 v8, vcc, s24, v8
	v_fmac_f32_e32 v11, 0x2f800000, v10
	v_mov_b32_e32 v10, s25
	v_addc_co_u32_e32 v9, vcc, v10, v9, vcc
	v_cmp_le_f32_e32 vcc, v11, v3
	s_mov_b64 s[0:1], exec
	v_cndmask_b32_e64 v10, 0, 1, vcc
	v_mov_b32_e32 v11, s63
	global_store_dwordx2 v[8:9], v[10:11], off
.LBB54_107:                             ;   in Loop: Header=BB54_3 Depth=1
	s_or_b64 exec, exec, s[58:59]
	s_andn2_b64 s[4:5], s[4:5], exec
	s_and_b64 s[0:1], s[0:1], exec
	s_or_b64 s[56:57], s[56:57], exec
	s_andn2_b64 s[54:55], s[54:55], exec
	s_andn2_b64 s[52:53], s[52:53], exec
	s_andn2_b64 s[6:7], s[6:7], exec
	s_or_b64 s[4:5], s[4:5], s[0:1]
.LBB54_108:                             ;   in Loop: Header=BB54_3 Depth=1
	s_or_b64 exec, exec, s[2:3]
	s_andn2_b64 s[2:3], s[50:51], exec
	s_and_b64 s[50:51], s[56:57], exec
	s_or_b64 s[50:51], s[2:3], s[50:51]
	s_andn2_b64 s[2:3], s[48:49], exec
	s_and_b64 s[48:49], s[54:55], exec
	s_or_b64 s[48:49], s[2:3], s[48:49]
	;; [unrolled: 3-line block ×3, first 2 shown]
	s_andn2_b64 s[2:3], s[44:45], exec
	s_and_b64 s[6:7], s[6:7], exec
	s_mov_b64 s[0:1], -1
	s_or_b64 s[44:45], s[2:3], s[6:7]
	s_and_saveexec_b64 s[2:3], s[4:5]
	s_cbranch_execz .LBB54_2
; %bb.109:                              ;   in Loop: Header=BB54_3 Depth=1
	s_waitcnt vmcnt(3)
	v_mov_b32_e32 v3, s63
	v_add_co_u32_e32 v0, vcc, s62, v0
	v_addc_co_u32_e32 v1, vcc, v1, v3, vcc
	v_cmp_le_u64_e32 vcc, s[8:9], v[0:1]
	s_andn2_b64 s[50:51], s[50:51], exec
	s_andn2_b64 s[48:49], s[48:49], exec
	;; [unrolled: 1-line block ×4, first 2 shown]
	s_orn2_b64 s[0:1], vcc, exec
	s_branch .LBB54_2
.LBB54_110:
	s_or_b64 exec, exec, s[36:37]
	s_xor_b64 s[6:7], s[42:43], -1
	s_xor_b64 s[8:9], s[40:41], -1
	;; [unrolled: 1-line block ×3, first 2 shown]
	s_mov_b64 s[2:3], 0
	s_and_saveexec_b64 s[4:5], s[0:1]
	s_xor_b64 s[0:1], exec, s[4:5]
	s_cbranch_execnz .LBB54_115
; %bb.111:
	s_andn2_saveexec_b64 s[0:1], s[0:1]
	s_cbranch_execnz .LBB54_123
.LBB54_112:
	s_or_b64 exec, exec, s[0:1]
	s_and_b64 exec, exec, s[2:3]
.LBB54_113:
	; divergent unreachable
.LBB54_114:
	s_endpgm
.LBB54_115:
	s_mov_b64 s[4:5], 0
	s_and_saveexec_b64 s[2:3], s[8:9]
	s_xor_b64 s[2:3], exec, s[2:3]
	s_cbranch_execz .LBB54_121
; %bb.116:
	s_and_saveexec_b64 s[8:9], s[6:7]
	s_xor_b64 s[6:7], exec, s[8:9]
	s_cbranch_execz .LBB54_119
; %bb.117:
	s_and_saveexec_b64 s[8:9], s[28:29]
	s_xor_b64 s[8:9], exec, s[8:9]
	s_cbranch_execnz .LBB54_126
.LBB54_118:
	s_or_b64 exec, exec, s[8:9]
	s_and_b64 s[4:5], s[4:5], exec
.LBB54_119:
	s_andn2_saveexec_b64 s[6:7], s[6:7]
	s_cbranch_execnz .LBB54_125
.LBB54_120:
	s_or_b64 exec, exec, s[6:7]
	s_and_b64 s[4:5], s[4:5], exec
.LBB54_121:
	s_andn2_saveexec_b64 s[2:3], s[2:3]
	s_cbranch_execnz .LBB54_124
.LBB54_122:
	s_or_b64 exec, exec, s[2:3]
	s_and_b64 s[2:3], s[4:5], exec
	s_andn2_saveexec_b64 s[0:1], s[0:1]
	s_cbranch_execz .LBB54_112
.LBB54_123:
	s_or_b64 s[2:3], s[2:3], exec
	s_trap 2
	s_or_b64 exec, exec, s[0:1]
	s_and_b64 exec, exec, s[2:3]
	s_cbranch_execnz .LBB54_113
	s_branch .LBB54_114
.LBB54_124:
	s_or_b64 s[4:5], s[4:5], exec
	s_trap 2
	s_branch .LBB54_122
.LBB54_125:
	s_trap 2
	s_or_b64 s[4:5], s[4:5], exec
	s_branch .LBB54_120
.LBB54_126:
	s_mov_b64 s[4:5], exec
	s_trap 2
	s_branch .LBB54_118
	.section	.rodata,"a",@progbits
	.p2align	6, 0x0
	.amdhsa_kernel _ZN2at4cuda12_GLOBAL__N_121kernelPointwiseApply2IZNS_6native9templates4cuda28bernoulli_tensor_cuda_kernelIlfEEvRKNS_10TensorBaseES9_NS_15PhiloxCudaStateEEUliRlSB_SB_SB_RKfSD_SD_SD_E_lSC_mLin1ELin1ELi4ELi512ELi2EEEvNS0_6detail10TensorInfoIT0_T2_EENSG_IT1_SI_EESI_T_
		.amdhsa_group_segment_fixed_size 0
		.amdhsa_private_segment_fixed_size 0
		.amdhsa_kernarg_size 1128
		.amdhsa_user_sgpr_count 6
		.amdhsa_user_sgpr_private_segment_buffer 1
		.amdhsa_user_sgpr_dispatch_ptr 0
		.amdhsa_user_sgpr_queue_ptr 0
		.amdhsa_user_sgpr_kernarg_segment_ptr 1
		.amdhsa_user_sgpr_dispatch_id 0
		.amdhsa_user_sgpr_flat_scratch_init 0
		.amdhsa_user_sgpr_kernarg_preload_length 0
		.amdhsa_user_sgpr_kernarg_preload_offset 0
		.amdhsa_user_sgpr_private_segment_size 0
		.amdhsa_uses_dynamic_stack 0
		.amdhsa_system_sgpr_private_segment_wavefront_offset 0
		.amdhsa_system_sgpr_workgroup_id_x 1
		.amdhsa_system_sgpr_workgroup_id_y 0
		.amdhsa_system_sgpr_workgroup_id_z 0
		.amdhsa_system_sgpr_workgroup_info 0
		.amdhsa_system_vgpr_workitem_id 0
		.amdhsa_next_free_vgpr 54
		.amdhsa_next_free_sgpr 68
		.amdhsa_accum_offset 56
		.amdhsa_reserve_vcc 1
		.amdhsa_reserve_flat_scratch 0
		.amdhsa_float_round_mode_32 0
		.amdhsa_float_round_mode_16_64 0
		.amdhsa_float_denorm_mode_32 3
		.amdhsa_float_denorm_mode_16_64 3
		.amdhsa_dx10_clamp 1
		.amdhsa_ieee_mode 1
		.amdhsa_fp16_overflow 0
		.amdhsa_tg_split 0
		.amdhsa_exception_fp_ieee_invalid_op 0
		.amdhsa_exception_fp_denorm_src 0
		.amdhsa_exception_fp_ieee_div_zero 0
		.amdhsa_exception_fp_ieee_overflow 0
		.amdhsa_exception_fp_ieee_underflow 0
		.amdhsa_exception_fp_ieee_inexact 0
		.amdhsa_exception_int_div_zero 0
	.end_amdhsa_kernel
	.section	.text._ZN2at4cuda12_GLOBAL__N_121kernelPointwiseApply2IZNS_6native9templates4cuda28bernoulli_tensor_cuda_kernelIlfEEvRKNS_10TensorBaseES9_NS_15PhiloxCudaStateEEUliRlSB_SB_SB_RKfSD_SD_SD_E_lSC_mLin1ELin1ELi4ELi512ELi2EEEvNS0_6detail10TensorInfoIT0_T2_EENSG_IT1_SI_EESI_T_,"axG",@progbits,_ZN2at4cuda12_GLOBAL__N_121kernelPointwiseApply2IZNS_6native9templates4cuda28bernoulli_tensor_cuda_kernelIlfEEvRKNS_10TensorBaseES9_NS_15PhiloxCudaStateEEUliRlSB_SB_SB_RKfSD_SD_SD_E_lSC_mLin1ELin1ELi4ELi512ELi2EEEvNS0_6detail10TensorInfoIT0_T2_EENSG_IT1_SI_EESI_T_,comdat
.Lfunc_end54:
	.size	_ZN2at4cuda12_GLOBAL__N_121kernelPointwiseApply2IZNS_6native9templates4cuda28bernoulli_tensor_cuda_kernelIlfEEvRKNS_10TensorBaseES9_NS_15PhiloxCudaStateEEUliRlSB_SB_SB_RKfSD_SD_SD_E_lSC_mLin1ELin1ELi4ELi512ELi2EEEvNS0_6detail10TensorInfoIT0_T2_EENSG_IT1_SI_EESI_T_, .Lfunc_end54-_ZN2at4cuda12_GLOBAL__N_121kernelPointwiseApply2IZNS_6native9templates4cuda28bernoulli_tensor_cuda_kernelIlfEEvRKNS_10TensorBaseES9_NS_15PhiloxCudaStateEEUliRlSB_SB_SB_RKfSD_SD_SD_E_lSC_mLin1ELin1ELi4ELi512ELi2EEEvNS0_6detail10TensorInfoIT0_T2_EENSG_IT1_SI_EESI_T_
                                        ; -- End function
	.section	.AMDGPU.csdata,"",@progbits
; Kernel info:
; codeLenInByte = 10304
; NumSgprs: 72
; NumVgprs: 54
; NumAgprs: 0
; TotalNumVgprs: 54
; ScratchSize: 0
; MemoryBound: 0
; FloatMode: 240
; IeeeMode: 1
; LDSByteSize: 0 bytes/workgroup (compile time only)
; SGPRBlocks: 8
; VGPRBlocks: 6
; NumSGPRsForWavesPerEU: 72
; NumVGPRsForWavesPerEU: 54
; AccumOffset: 56
; Occupancy: 8
; WaveLimiterHint : 1
; COMPUTE_PGM_RSRC2:SCRATCH_EN: 0
; COMPUTE_PGM_RSRC2:USER_SGPR: 6
; COMPUTE_PGM_RSRC2:TRAP_HANDLER: 0
; COMPUTE_PGM_RSRC2:TGID_X_EN: 1
; COMPUTE_PGM_RSRC2:TGID_Y_EN: 0
; COMPUTE_PGM_RSRC2:TGID_Z_EN: 0
; COMPUTE_PGM_RSRC2:TIDIG_COMP_CNT: 0
; COMPUTE_PGM_RSRC3_GFX90A:ACCUM_OFFSET: 13
; COMPUTE_PGM_RSRC3_GFX90A:TG_SPLIT: 0
	.section	.text._ZN2at4cuda12_GLOBAL__N_121kernelPointwiseApply2IZNS_6native9templates4cuda28bernoulli_tensor_cuda_kernelIsfEEvRKNS_10TensorBaseES9_NS_15PhiloxCudaStateEEUliRsSB_SB_SB_RKfSD_SD_SD_E_sSC_jLi1ELi1ELi4ELi512ELi2EEEvNS0_6detail10TensorInfoIT0_T2_EENSG_IT1_SI_EESI_T_,"axG",@progbits,_ZN2at4cuda12_GLOBAL__N_121kernelPointwiseApply2IZNS_6native9templates4cuda28bernoulli_tensor_cuda_kernelIsfEEvRKNS_10TensorBaseES9_NS_15PhiloxCudaStateEEUliRsSB_SB_SB_RKfSD_SD_SD_E_sSC_jLi1ELi1ELi4ELi512ELi2EEEvNS0_6detail10TensorInfoIT0_T2_EENSG_IT1_SI_EESI_T_,comdat
	.globl	_ZN2at4cuda12_GLOBAL__N_121kernelPointwiseApply2IZNS_6native9templates4cuda28bernoulli_tensor_cuda_kernelIsfEEvRKNS_10TensorBaseES9_NS_15PhiloxCudaStateEEUliRsSB_SB_SB_RKfSD_SD_SD_E_sSC_jLi1ELi1ELi4ELi512ELi2EEEvNS0_6detail10TensorInfoIT0_T2_EENSG_IT1_SI_EESI_T_ ; -- Begin function _ZN2at4cuda12_GLOBAL__N_121kernelPointwiseApply2IZNS_6native9templates4cuda28bernoulli_tensor_cuda_kernelIsfEEvRKNS_10TensorBaseES9_NS_15PhiloxCudaStateEEUliRsSB_SB_SB_RKfSD_SD_SD_E_sSC_jLi1ELi1ELi4ELi512ELi2EEEvNS0_6detail10TensorInfoIT0_T2_EENSG_IT1_SI_EESI_T_
	.p2align	8
	.type	_ZN2at4cuda12_GLOBAL__N_121kernelPointwiseApply2IZNS_6native9templates4cuda28bernoulli_tensor_cuda_kernelIsfEEvRKNS_10TensorBaseES9_NS_15PhiloxCudaStateEEUliRsSB_SB_SB_RKfSD_SD_SD_E_sSC_jLi1ELi1ELi4ELi512ELi2EEEvNS0_6detail10TensorInfoIT0_T2_EENSG_IT1_SI_EESI_T_,@function
_ZN2at4cuda12_GLOBAL__N_121kernelPointwiseApply2IZNS_6native9templates4cuda28bernoulli_tensor_cuda_kernelIsfEEvRKNS_10TensorBaseES9_NS_15PhiloxCudaStateEEUliRsSB_SB_SB_RKfSD_SD_SD_E_sSC_jLi1ELi1ELi4ELi512ELi2EEEvNS0_6detail10TensorInfoIT0_T2_EENSG_IT1_SI_EESI_T_: ; @_ZN2at4cuda12_GLOBAL__N_121kernelPointwiseApply2IZNS_6native9templates4cuda28bernoulli_tensor_cuda_kernelIsfEEvRKNS_10TensorBaseES9_NS_15PhiloxCudaStateEEUliRsSB_SB_SB_RKfSD_SD_SD_E_sSC_jLi1ELi1ELi4ELi512ELi2EEEvNS0_6detail10TensorInfoIT0_T2_EENSG_IT1_SI_EESI_T_
; %bb.0:
	s_load_dword s2, s[4:5], 0x1e4
	s_load_dword s33, s[4:5], 0x1b0
	s_add_u32 s0, s4, 0x1d8
	s_addc_u32 s1, s5, 0
	s_waitcnt lgkmcnt(0)
	s_and_b32 s2, s2, 0xffff
	s_mul_i32 s6, s6, s2
	v_add_u32_e32 v5, s6, v0
	v_lshlrev_b32_e32 v22, 2, v5
	v_cmp_gt_u32_e32 vcc, s33, v22
	s_and_saveexec_b64 s[6:7], vcc
	s_cbranch_execz .LBB55_43
; %bb.1:
	s_load_dword s3, s[0:1], 0x0
	s_load_dword s6, s[4:5], 0x1d0
	s_load_dwordx2 s[16:17], s[4:5], 0x0
	s_load_dword s7, s[4:5], 0x6c
	s_load_dwordx2 s[18:19], s[4:5], 0xd8
	;; [unrolled: 2-line block ×3, first 2 shown]
	s_load_dwordx4 s[12:15], s[4:5], 0x1b8
	s_mov_b32 s54, 0xcd9e8d57
	s_waitcnt lgkmcnt(0)
	v_mul_lo_u32 v2, s7, v22
	s_bitcmp1_b32 s6, 0
	v_mad_u64_u32 v[0:1], s[0:1], v5, s54, 0
	v_add_u32_e32 v23, s7, v2
	v_add_u32_e32 v2, 2, v22
	s_mul_i32 s2, s3, s2
	s_cselect_b64 s[0:1], -1, 0
	v_mul_lo_u32 v24, s7, v2
	v_mul_lo_u32 v7, s7, v5
	;; [unrolled: 1-line block ×4, first 2 shown]
	s_lshl_b32 s56, s2, 2
	s_mul_i32 s3, s2, s7
	v_add_u32_e32 v6, 3, v22
	v_lshlrev_b32_e32 v26, 2, v7
	v_mul_lo_u32 v7, s8, v22
	s_mul_i32 s2, s2, s8
	v_lshlrev_b32_e32 v30, 2, v2
	v_cndmask_b32_e64 v2, 0, 1, s[0:1]
	s_mov_b32 s55, 0
	v_mov_b32_e32 v3, 0
	v_mov_b32_e32 v4, v1
	v_sub_u32_e32 v1, s33, v22
	s_lshl_b32 s57, s3, 2
	v_mul_lo_u32 v25, s7, v6
	v_add_u32_e32 v27, s8, v7
	s_lshl_b32 s58, s2, 2
	v_mul_lo_u32 v29, s8, v6
	s_mov_b64 s[24:25], 0
	v_mov_b32_e32 v31, s19
	v_cmp_ne_u32_e64 s[0:1], 1, v2
	s_mov_b32 s19, 0xd2511f53
	s_mov_b32 s59, 0xf1bbcdc8
	;; [unrolled: 1-line block ×3, first 2 shown]
                                        ; implicit-def: $sgpr26_sgpr27
                                        ; implicit-def: $sgpr28_sgpr29
                                        ; implicit-def: $sgpr30_sgpr31
                                        ; implicit-def: $sgpr22_sgpr23
                                        ; implicit-def: $sgpr34_sgpr35
                                        ; implicit-def: $sgpr36_sgpr37
                                        ; implicit-def: $sgpr38_sgpr39
                                        ; implicit-def: $sgpr40_sgpr41
	s_branch .LBB55_3
.LBB55_2:                               ;   in Loop: Header=BB55_3 Depth=1
	s_or_b64 exec, exec, s[4:5]
	s_and_b64 s[2:3], exec, s[2:3]
	s_or_b64 s[24:25], s[2:3], s[24:25]
	s_andn2_b64 s[2:3], s[22:23], exec
	s_and_b64 s[4:5], s[40:41], exec
	s_or_b64 s[22:23], s[2:3], s[4:5]
	s_andn2_b64 s[2:3], s[30:31], exec
	s_and_b64 s[4:5], s[38:39], exec
	;; [unrolled: 3-line block ×4, first 2 shown]
	s_or_b64 s[26:27], s[2:3], s[4:5]
	s_andn2_b64 exec, exec, s[24:25]
	s_cbranch_execz .LBB55_39
.LBB55_3:                               ; =>This Inner Loop Header: Depth=1
	v_add_u32_e32 v2, s55, v30
	v_cmp_lt_i32_e64 s[2:3], 0, v1
	v_cndmask_b32_e64 v2, 0, v2, s[2:3]
	v_add_u32_e32 v8, s55, v27
	v_lshlrev_b64 v[6:7], 2, v[2:3]
	v_cmp_lt_i32_e64 s[4:5], 1, v1
	v_add_co_u32_e32 v6, vcc, s18, v6
	v_cndmask_b32_e64 v2, 0, v8, s[4:5]
	v_add_u32_e32 v10, s55, v28
	v_addc_co_u32_e32 v7, vcc, v31, v7, vcc
	v_lshlrev_b64 v[8:9], 2, v[2:3]
	v_cmp_lt_i32_e64 s[6:7], 2, v1
	v_add_co_u32_e32 v8, vcc, s18, v8
	v_cndmask_b32_e64 v2, 0, v10, s[6:7]
	v_add_u32_e32 v12, s55, v29
	v_addc_co_u32_e32 v9, vcc, v31, v9, vcc
	v_lshlrev_b64 v[10:11], 2, v[2:3]
	v_cmp_lt_i32_e64 s[8:9], 3, v1
	v_add_co_u32_e32 v10, vcc, s18, v10
	v_cndmask_b32_e64 v2, 0, v12, s[8:9]
	v_addc_co_u32_e32 v11, vcc, v31, v11, vcc
	v_lshlrev_b64 v[12:13], 2, v[2:3]
	v_add_co_u32_e32 v12, vcc, s18, v12
	v_addc_co_u32_e32 v13, vcc, v31, v13, vcc
	global_load_dword v32, v[6:7], off
	global_load_dword v33, v[8:9], off
	;; [unrolled: 1-line block ×4, first 2 shown]
	s_and_b64 vcc, exec, s[0:1]
	v_pk_mov_b32 v[6:7], s[14:15], s[14:15] op_sel:[0,1]
	v_pk_mov_b32 v[8:9], s[12:13], s[12:13] op_sel:[0,1]
	s_cbranch_vccnz .LBB55_5
; %bb.4:                                ;   in Loop: Header=BB55_3 Depth=1
	v_pk_mov_b32 v[6:7], s[14:15], s[14:15] op_sel:[0,1]
	flat_load_dwordx2 v[6:7], v[6:7]
	v_pk_mov_b32 v[8:9], s[12:13], s[12:13] op_sel:[0,1]
	flat_load_dwordx2 v[8:9], v[8:9]
	v_mov_b32_e32 v2, s21
	s_waitcnt vmcnt(0) lgkmcnt(0)
	v_add_co_u32_e32 v6, vcc, s20, v6
	v_addc_co_u32_e32 v7, vcc, v7, v2, vcc
.LBB55_5:                               ;   in Loop: Header=BB55_3 Depth=1
	v_alignbit_b32 v18, v7, v6, 2
	v_lshrrev_b32_e32 v19, 2, v7
	v_xor_b32_e32 v10, v4, v8
	v_and_b32_e32 v2, 3, v6
	v_mad_u64_u32 v[6:7], s[10:11], v18, s19, 0
	v_xor_b32_e32 v10, v10, v19
	v_xor_b32_e32 v7, v7, v9
	v_add_u32_e32 v40, 0xbb67ae85, v9
	v_mad_u64_u32 v[10:11], s[10:11], v10, s19, 0
	v_mad_u64_u32 v[12:13], s[10:11], v7, s54, 0
	v_xor_b32_e32 v11, v40, v11
	v_add_u32_e32 v39, 0x9e3779b9, v8
	v_xor_b32_e32 v7, v0, v13
	v_xor_b32_e32 v11, v11, v6
	v_xor_b32_e32 v7, v7, v39
	v_add_u32_e32 v41, 0x3c6ef372, v8
	v_mad_u64_u32 v[14:15], s[10:11], v11, s54, 0
	v_add_u32_e32 v42, 0x76cf5d0a, v9
	v_mad_u64_u32 v[6:7], s[10:11], v7, s19, 0
	v_xor_b32_e32 v11, v41, v15
	v_xor_b32_e32 v11, v11, v12
	v_xor_b32_e32 v7, v42, v7
	v_xor_b32_e32 v7, v7, v10
	v_add_u32_e32 v44, 0x32370b8f, v9
	v_mad_u64_u32 v[10:11], s[10:11], v11, s19, 0
	v_add_u32_e32 v43, 0xdaa66d2b, v8
	v_mad_u64_u32 v[12:13], s[10:11], v7, s54, 0
	v_xor_b32_e32 v11, v44, v11
	;; [unrolled: 8-line block ×5, first 2 shown]
	v_xor_b32_e32 v11, v11, v12
	v_xor_b32_e32 v7, v50, v7
	;; [unrolled: 1-line block ×3, first 2 shown]
	v_add_u32_e32 v52, 0x1fd5c5a3, v9
	v_mad_u64_u32 v[10:11], s[10:11], v11, s19, 0
	v_xor_b32_e32 v11, v52, v11
	v_xor_b32_e32 v6, v11, v6
	v_add_u32_e32 v51, 0x5384540f, v8
	v_mad_u64_u32 v[16:17], s[10:11], v7, s54, 0
	v_add_co_u32_e32 v37, vcc, s59, v8
	v_mad_u64_u32 v[12:13], s[10:11], v6, s54, 0
	v_xor_b32_e32 v7, v51, v17
	v_xor_b32_e32 v6, v37, v13
	;; [unrolled: 1-line block ×4, first 2 shown]
	v_mad_u64_u32 v[14:15], s[10:11], v7, s19, 0
	v_mad_u64_u32 v[6:7], s[10:11], v6, s19, 0
	v_add_u32_e32 v38, 0x96a522ad, v9
	v_xor_b32_e32 v7, v7, v14
	v_xor_b32_e32 v36, v38, v7
	v_add_co_u32_e32 v7, vcc, 1, v18
	v_cndmask_b32_e64 v14, 0, 1, vcc
	v_addc_co_u32_e32 v20, vcc, 0, v19, vcc
	v_cmp_eq_u32_e32 vcc, 0, v20
	v_cndmask_b32_e32 v14, 0, v14, vcc
	v_add_u32_e32 v18, v14, v5
	v_cmp_eq_u32_e32 vcc, 0, v18
	v_mad_u64_u32 v[16:17], s[10:11], v7, s19, 0
	v_mad_u64_u32 v[18:19], s[10:11], v18, s54, 0
	v_add_u32_e32 v13, 0x8ff34781, v8
	v_cndmask_b32_e32 v14, 0, v14, vcc
	v_xor_b32_e32 v7, v19, v8
	v_xor_b32_e32 v8, v17, v9
	v_xor_b32_e32 v14, v14, v8
	v_xor_b32_e32 v7, v20, v7
	v_mad_u64_u32 v[20:21], s[10:11], v14, s54, 0
	v_add_u32_e32 v11, 0xdb3d7428, v9
	v_mad_u64_u32 v[8:9], s[10:11], v7, s19, 0
	v_xor_b32_e32 v7, v39, v21
	v_xor_b32_e32 v7, v7, v18
	v_xor_b32_e32 v9, v40, v9
	v_xor_b32_e32 v9, v9, v16
	v_mad_u64_u32 v[16:17], s[10:11], v7, s19, 0
	v_mad_u64_u32 v[18:19], s[10:11], v9, s54, 0
	v_xor_b32_e32 v9, v42, v17
	v_xor_b32_e32 v7, v41, v19
	v_xor_b32_e32 v14, v9, v8
	v_xor_b32_e32 v7, v7, v20
	v_mad_u64_u32 v[20:21], s[10:11], v14, s54, 0
	v_mad_u64_u32 v[8:9], s[10:11], v7, s19, 0
	v_xor_b32_e32 v7, v43, v21
	v_xor_b32_e32 v7, v7, v18
	v_xor_b32_e32 v9, v44, v9
	v_xor_b32_e32 v9, v9, v16
	v_mad_u64_u32 v[16:17], s[10:11], v7, s19, 0
	v_mad_u64_u32 v[18:19], s[10:11], v9, s54, 0
	v_xor_b32_e32 v9, v46, v17
	v_xor_b32_e32 v7, v45, v19
	v_xor_b32_e32 v14, v9, v8
	v_xor_b32_e32 v7, v7, v20
	v_mad_u64_u32 v[20:21], s[10:11], v14, s54, 0
	v_mad_u64_u32 v[8:9], s[10:11], v7, s19, 0
	v_xor_b32_e32 v7, v47, v21
	v_xor_b32_e32 v7, v7, v18
	v_xor_b32_e32 v9, v48, v9
	v_xor_b32_e32 v9, v9, v16
	v_mad_u64_u32 v[18:19], s[10:11], v7, s19, 0
	v_mad_u64_u32 v[40:41], s[10:11], v9, s54, 0
	v_xor_b32_e32 v9, v50, v19
	v_xor_b32_e32 v7, v49, v41
	v_xor_b32_e32 v14, v9, v8
	v_xor_b32_e32 v7, v7, v20
	v_mad_u64_u32 v[16:17], s[10:11], v14, s54, 0
	v_mad_u64_u32 v[8:9], s[10:11], v7, s19, 0
	v_xor_b32_e32 v7, v51, v17
	v_xor_b32_e32 v7, v7, v40
	v_xor_b32_e32 v9, v52, v9
	v_xor_b32_e32 v9, v9, v18
	v_mad_u64_u32 v[18:19], s[10:11], v7, s19, 0
	v_xor_b32_e32 v7, v11, v19
	v_xor_b32_e32 v7, v7, v8
	v_mad_u64_u32 v[20:21], s[10:11], v9, s54, 0
	v_mad_u64_u32 v[8:9], s[10:11], v7, s54, 0
	v_xor_b32_e32 v7, v9, v20
	v_xor_b32_e32 v7, v13, v7
	v_cmp_lt_i32_e32 vcc, 1, v2
                                        ; implicit-def: $vgpr17
	s_and_saveexec_b64 s[10:11], vcc
	s_xor_b64 s[10:11], exec, s[10:11]
	s_cbranch_execz .LBB55_11
; %bb.6:                                ;   in Loop: Header=BB55_3 Depth=1
	v_cmp_lt_i32_e32 vcc, 2, v2
                                        ; implicit-def: $vgpr17
	s_and_saveexec_b64 s[42:43], vcc
	s_xor_b64 s[42:43], exec, s[42:43]
; %bb.7:                                ;   in Loop: Header=BB55_3 Depth=1
	v_xor_b32_e32 v2, v37, v21
	v_xor_b32_e32 v2, v2, v16
	v_mul_hi_u32 v2, v2, s19
	v_xor_b32_e32 v2, v2, v18
	v_xor_b32_e32 v17, v38, v2
                                        ; implicit-def: $vgpr36
; %bb.8:                                ;   in Loop: Header=BB55_3 Depth=1
	s_andn2_saveexec_b64 s[42:43], s[42:43]
; %bb.9:                                ;   in Loop: Header=BB55_3 Depth=1
	v_mov_b32_e32 v17, v8
	v_mov_b32_e32 v8, v7
	;; [unrolled: 1-line block ×4, first 2 shown]
; %bb.10:                               ;   in Loop: Header=BB55_3 Depth=1
	s_or_b64 exec, exec, s[42:43]
                                        ; implicit-def: $vgpr10_vgpr11
                                        ; implicit-def: $vgpr12_vgpr13
                                        ; implicit-def: $vgpr2
                                        ; implicit-def: $vgpr36
                                        ; implicit-def: $vgpr14_vgpr15
                                        ; implicit-def: $vgpr11
                                        ; implicit-def: $vgpr13
.LBB55_11:                              ;   in Loop: Header=BB55_3 Depth=1
	s_andn2_saveexec_b64 s[10:11], s[10:11]
	s_cbranch_execz .LBB55_15
; %bb.12:                               ;   in Loop: Header=BB55_3 Depth=1
	v_xor_b32_e32 v8, v11, v15
	v_xor_b32_e32 v8, v8, v10
	v_mad_u64_u32 v[10:11], s[42:43], v8, s54, 0
	v_xor_b32_e32 v8, v11, v12
	v_xor_b32_e32 v9, v13, v8
	v_cmp_eq_u32_e32 vcc, 1, v2
	v_mov_b32_e32 v17, v6
	v_mov_b32_e32 v8, v36
	;; [unrolled: 1-line block ×3, first 2 shown]
	s_and_saveexec_b64 s[42:43], vcc
; %bb.13:                               ;   in Loop: Header=BB55_3 Depth=1
	v_mov_b32_e32 v17, v7
	v_mov_b32_e32 v8, v6
	;; [unrolled: 1-line block ×4, first 2 shown]
; %bb.14:                               ;   in Loop: Header=BB55_3 Depth=1
	s_or_b64 exec, exec, s[42:43]
	v_mov_b32_e32 v6, v9
	v_mov_b32_e32 v7, v2
.LBB55_15:                              ;   in Loop: Header=BB55_3 Depth=1
	s_or_b64 exec, exec, s[10:11]
	v_min_i32_e32 v9, 4, v1
	v_cmp_lt_i32_e32 vcc, 2, v9
	s_mov_b64 s[42:43], 0
	s_mov_b64 s[50:51], 0
                                        ; implicit-def: $sgpr10_sgpr11
                                        ; implicit-def: $sgpr44_sgpr45
                                        ; implicit-def: $sgpr46_sgpr47
	s_and_saveexec_b64 s[48:49], vcc
	s_xor_b64 s[48:49], exec, s[48:49]
	s_cbranch_execz .LBB55_25
; %bb.16:                               ;   in Loop: Header=BB55_3 Depth=1
	v_cmp_lt_i32_e32 vcc, 3, v9
	s_mov_b64 s[46:47], -1
                                        ; implicit-def: $sgpr10_sgpr11
                                        ; implicit-def: $sgpr50_sgpr51
	s_and_saveexec_b64 s[44:45], vcc
	s_cbranch_execz .LBB55_20
; %bb.17:                               ;   in Loop: Header=BB55_3 Depth=1
	s_waitcnt vmcnt(0)
	v_cmp_le_f32_e32 vcc, 0, v35
	v_cmp_ge_f32_e64 s[10:11], 1.0, v35
	s_and_b64 s[52:53], vcc, s[10:11]
	s_mov_b64 s[10:11], 0
	s_mov_b64 s[46:47], 0
	s_and_saveexec_b64 s[50:51], s[52:53]
	s_cbranch_execz .LBB55_19
; %bb.18:                               ;   in Loop: Header=BB55_3 Depth=1
	v_cvt_f32_u32_e32 v2, v17
	v_mov_b32_e32 v12, 0x2f800000
	v_add_u32_e32 v10, s60, v25
	s_mov_b64 s[46:47], exec
	v_fmac_f32_e32 v12, 0x2f800000, v2
	v_cndmask_b32_e64 v2, 0, v10, s[8:9]
	v_lshlrev_b64 v[10:11], 1, v[2:3]
	v_mov_b32_e32 v2, s17
	v_add_co_u32_e32 v10, vcc, s16, v10
	v_addc_co_u32_e32 v11, vcc, v2, v11, vcc
	v_cmp_le_f32_e32 vcc, v12, v35
	v_cndmask_b32_e64 v2, 0, 1, vcc
	global_store_short v[10:11], v2, off
.LBB55_19:                              ;   in Loop: Header=BB55_3 Depth=1
	s_or_b64 exec, exec, s[50:51]
	s_mov_b64 s[50:51], -1
	s_orn2_b64 s[46:47], s[46:47], exec
.LBB55_20:                              ;   in Loop: Header=BB55_3 Depth=1
	s_or_b64 exec, exec, s[44:45]
	s_mov_b64 s[8:9], 0
	s_mov_b64 s[52:53], s[10:11]
	s_and_saveexec_b64 s[44:45], s[46:47]
	s_cbranch_execz .LBB55_24
; %bb.21:                               ;   in Loop: Header=BB55_3 Depth=1
	s_waitcnt vmcnt(1)
	v_cmp_le_f32_e32 vcc, 0, v34
	v_cmp_ge_f32_e64 s[8:9], 1.0, v34
	s_and_b64 s[46:47], vcc, s[8:9]
	s_mov_b64 s[8:9], 0
	s_and_saveexec_b64 s[52:53], s[46:47]
	s_xor_b64 s[46:47], exec, s[52:53]
	s_cbranch_execz .LBB55_23
; %bb.22:                               ;   in Loop: Header=BB55_3 Depth=1
	v_cvt_f32_u32_e32 v2, v8
	v_mov_b32_e32 v8, 0x2f800000
	v_add_u32_e32 v10, s60, v24
	s_mov_b64 s[8:9], exec
	v_fmac_f32_e32 v8, 0x2f800000, v2
	v_cndmask_b32_e64 v2, 0, v10, s[6:7]
	v_lshlrev_b64 v[10:11], 1, v[2:3]
	v_mov_b32_e32 v2, s17
	v_add_co_u32_e32 v10, vcc, s16, v10
	v_addc_co_u32_e32 v11, vcc, v2, v11, vcc
	v_cmp_le_f32_e32 vcc, v8, v34
	v_cndmask_b32_e64 v2, 0, 1, vcc
	global_store_short v[10:11], v2, off
.LBB55_23:                              ;   in Loop: Header=BB55_3 Depth=1
	s_or_b64 exec, exec, s[46:47]
	s_andn2_b64 s[52:53], s[10:11], exec
	s_or_b64 s[10:11], s[10:11], exec
	s_andn2_b64 s[50:51], s[50:51], exec
	s_and_b64 s[8:9], s[8:9], exec
.LBB55_24:                              ;   in Loop: Header=BB55_3 Depth=1
	s_or_b64 exec, exec, s[44:45]
	s_and_b64 s[46:47], s[52:53], exec
	s_and_b64 s[44:45], s[10:11], exec
	;; [unrolled: 1-line block ×4, first 2 shown]
.LBB55_25:                              ;   in Loop: Header=BB55_3 Depth=1
	s_andn2_saveexec_b64 s[6:7], s[48:49]
; %bb.26:                               ;   in Loop: Header=BB55_3 Depth=1
	v_cmp_lt_i32_e32 vcc, 1, v9
	s_andn2_b64 s[8:9], s[50:51], exec
	s_and_b64 s[48:49], vcc, exec
	s_mov_b64 s[42:43], exec
	s_andn2_b64 s[46:47], s[46:47], exec
	s_andn2_b64 s[44:45], s[44:45], exec
	;; [unrolled: 1-line block ×3, first 2 shown]
	s_or_b64 s[50:51], s[8:9], s[48:49]
; %bb.27:                               ;   in Loop: Header=BB55_3 Depth=1
	s_or_b64 exec, exec, s[6:7]
	s_mov_b64 s[8:9], 0
	s_mov_b64 s[48:49], 0
	;; [unrolled: 1-line block ×3, first 2 shown]
	s_and_saveexec_b64 s[52:53], s[50:51]
	s_cbranch_execnz .LBB55_30
; %bb.28:                               ;   in Loop: Header=BB55_3 Depth=1
	s_or_b64 exec, exec, s[52:53]
	s_and_saveexec_b64 s[4:5], s[42:43]
	s_cbranch_execnz .LBB55_33
.LBB55_29:                              ;   in Loop: Header=BB55_3 Depth=1
	s_or_b64 exec, exec, s[4:5]
	s_and_saveexec_b64 s[42:43], s[48:49]
	s_cbranch_execnz .LBB55_34
	s_branch .LBB55_37
.LBB55_30:                              ;   in Loop: Header=BB55_3 Depth=1
	s_waitcnt vmcnt(2)
	v_cmp_le_f32_e32 vcc, 0, v33
	v_cmp_ge_f32_e64 s[6:7], 1.0, v33
	s_and_b64 s[6:7], vcc, s[6:7]
	s_and_saveexec_b64 s[50:51], s[6:7]
	s_xor_b64 s[6:7], exec, s[50:51]
	s_cbranch_execz .LBB55_32
; %bb.31:                               ;   in Loop: Header=BB55_3 Depth=1
	v_cvt_f32_u32_e32 v2, v7
	v_mov_b32_e32 v7, 0x2f800000
	v_add_u32_e32 v8, s60, v23
	s_mov_b64 s[48:49], exec
	v_fmac_f32_e32 v7, 0x2f800000, v2
	v_cndmask_b32_e64 v2, 0, v8, s[4:5]
	v_lshlrev_b64 v[10:11], 1, v[2:3]
	v_mov_b32_e32 v2, s17
	v_add_co_u32_e32 v10, vcc, s16, v10
	v_addc_co_u32_e32 v11, vcc, v2, v11, vcc
	v_cmp_le_f32_e32 vcc, v7, v33
	v_cndmask_b32_e64 v2, 0, 1, vcc
	global_store_short v[10:11], v2, off
.LBB55_32:                              ;   in Loop: Header=BB55_3 Depth=1
	s_or_b64 exec, exec, s[6:7]
	s_andn2_b64 s[6:7], s[46:47], exec
	s_or_b64 s[46:47], s[46:47], exec
	s_andn2_b64 s[44:45], s[44:45], exec
	s_andn2_b64 s[10:11], s[10:11], exec
	s_and_b64 s[48:49], s[48:49], exec
	s_andn2_b64 s[42:43], s[42:43], exec
	s_or_b64 exec, exec, s[52:53]
	s_and_saveexec_b64 s[4:5], s[42:43]
	s_cbranch_execz .LBB55_29
.LBB55_33:                              ;   in Loop: Header=BB55_3 Depth=1
	v_cmp_eq_u32_e32 vcc, 1, v9
	s_andn2_b64 s[42:43], s[48:49], exec
	s_and_b64 s[48:49], vcc, exec
	s_mov_b64 s[8:9], exec
	s_andn2_b64 s[6:7], s[6:7], exec
	s_andn2_b64 s[46:47], s[46:47], exec
	;; [unrolled: 1-line block ×4, first 2 shown]
	s_or_b64 s[48:49], s[42:43], s[48:49]
	s_or_b64 exec, exec, s[4:5]
	s_and_saveexec_b64 s[42:43], s[48:49]
	s_cbranch_execz .LBB55_37
.LBB55_34:                              ;   in Loop: Header=BB55_3 Depth=1
	s_waitcnt vmcnt(3)
	v_cmp_le_f32_e32 vcc, 0, v32
	v_cmp_ge_f32_e64 s[4:5], 1.0, v32
	s_and_b64 s[50:51], vcc, s[4:5]
	s_mov_b64 s[4:5], 0
	s_and_saveexec_b64 s[48:49], s[50:51]
	s_cbranch_execz .LBB55_36
; %bb.35:                               ;   in Loop: Header=BB55_3 Depth=1
	v_cvt_f32_u32_e32 v2, v6
	v_mov_b32_e32 v8, 0x2f800000
	v_add_u32_e32 v6, s60, v26
	s_mov_b64 s[4:5], exec
	v_fmac_f32_e32 v8, 0x2f800000, v2
	v_cndmask_b32_e64 v2, 0, v6, s[2:3]
	v_lshlrev_b64 v[6:7], 1, v[2:3]
	v_mov_b32_e32 v2, s17
	v_add_co_u32_e32 v6, vcc, s16, v6
	v_addc_co_u32_e32 v7, vcc, v2, v7, vcc
	v_cmp_le_f32_e32 vcc, v8, v32
	v_cndmask_b32_e64 v2, 0, 1, vcc
	global_store_short v[6:7], v2, off
.LBB55_36:                              ;   in Loop: Header=BB55_3 Depth=1
	s_or_b64 exec, exec, s[48:49]
	s_andn2_b64 s[2:3], s[8:9], exec
	s_and_b64 s[4:5], s[4:5], exec
	s_or_b64 s[6:7], s[6:7], exec
	s_andn2_b64 s[46:47], s[46:47], exec
	s_andn2_b64 s[44:45], s[44:45], exec
	;; [unrolled: 1-line block ×3, first 2 shown]
	s_or_b64 s[8:9], s[2:3], s[4:5]
.LBB55_37:                              ;   in Loop: Header=BB55_3 Depth=1
	s_or_b64 exec, exec, s[42:43]
	s_andn2_b64 s[4:5], s[40:41], exec
	s_and_b64 s[6:7], s[6:7], exec
	s_or_b64 s[40:41], s[4:5], s[6:7]
	s_andn2_b64 s[4:5], s[38:39], exec
	s_and_b64 s[6:7], s[46:47], exec
	s_or_b64 s[38:39], s[4:5], s[6:7]
	;; [unrolled: 3-line block ×3, first 2 shown]
	s_andn2_b64 s[4:5], s[34:35], exec
	s_and_b64 s[6:7], s[10:11], exec
	s_mov_b64 s[2:3], -1
	s_or_b64 s[34:35], s[4:5], s[6:7]
	s_and_saveexec_b64 s[4:5], s[8:9]
	s_cbranch_execz .LBB55_2
; %bb.38:                               ;   in Loop: Header=BB55_3 Depth=1
	v_add_u32_e32 v22, s56, v22
	v_cmp_le_u32_e32 vcc, s33, v22
	v_subrev_u32_e32 v1, s56, v1
	s_add_i32 s60, s60, s57
	s_add_i32 s55, s55, s58
	s_andn2_b64 s[40:41], s[40:41], exec
	s_andn2_b64 s[38:39], s[38:39], exec
	s_andn2_b64 s[36:37], s[36:37], exec
	s_andn2_b64 s[34:35], s[34:35], exec
	s_orn2_b64 s[2:3], vcc, exec
	s_branch .LBB55_2
.LBB55_39:
	s_or_b64 exec, exec, s[24:25]
	s_xor_b64 s[6:7], s[30:31], -1
	s_xor_b64 s[8:9], s[28:29], -1
	;; [unrolled: 1-line block ×3, first 2 shown]
	s_mov_b64 s[2:3], 0
	s_and_saveexec_b64 s[4:5], s[0:1]
	s_xor_b64 s[0:1], exec, s[4:5]
	s_cbranch_execnz .LBB55_44
; %bb.40:
	s_andn2_saveexec_b64 s[0:1], s[0:1]
	s_cbranch_execnz .LBB55_52
.LBB55_41:
	s_or_b64 exec, exec, s[0:1]
	s_and_b64 exec, exec, s[2:3]
.LBB55_42:
	; divergent unreachable
.LBB55_43:
	s_endpgm
.LBB55_44:
	s_mov_b64 s[4:5], 0
	s_and_saveexec_b64 s[2:3], s[8:9]
	s_xor_b64 s[2:3], exec, s[2:3]
	s_cbranch_execz .LBB55_50
; %bb.45:
	s_and_saveexec_b64 s[8:9], s[6:7]
	s_xor_b64 s[6:7], exec, s[8:9]
	s_cbranch_execz .LBB55_48
; %bb.46:
	s_and_saveexec_b64 s[8:9], s[22:23]
	s_xor_b64 s[8:9], exec, s[8:9]
	s_cbranch_execnz .LBB55_55
.LBB55_47:
	s_or_b64 exec, exec, s[8:9]
	s_and_b64 s[4:5], s[4:5], exec
.LBB55_48:
	s_andn2_saveexec_b64 s[6:7], s[6:7]
	s_cbranch_execnz .LBB55_54
.LBB55_49:
	s_or_b64 exec, exec, s[6:7]
	s_and_b64 s[4:5], s[4:5], exec
.LBB55_50:
	s_andn2_saveexec_b64 s[2:3], s[2:3]
	s_cbranch_execnz .LBB55_53
.LBB55_51:
	s_or_b64 exec, exec, s[2:3]
	s_and_b64 s[2:3], s[4:5], exec
	s_andn2_saveexec_b64 s[0:1], s[0:1]
	s_cbranch_execz .LBB55_41
.LBB55_52:
	s_or_b64 s[2:3], s[2:3], exec
	s_trap 2
	s_or_b64 exec, exec, s[0:1]
	s_and_b64 exec, exec, s[2:3]
	s_cbranch_execnz .LBB55_42
	s_branch .LBB55_43
.LBB55_53:
	s_or_b64 s[4:5], s[4:5], exec
	s_trap 2
	s_branch .LBB55_51
.LBB55_54:
	s_trap 2
	s_or_b64 s[4:5], s[4:5], exec
	s_branch .LBB55_49
.LBB55_55:
	s_mov_b64 s[4:5], exec
	s_trap 2
	s_branch .LBB55_47
	.section	.rodata,"a",@progbits
	.p2align	6, 0x0
	.amdhsa_kernel _ZN2at4cuda12_GLOBAL__N_121kernelPointwiseApply2IZNS_6native9templates4cuda28bernoulli_tensor_cuda_kernelIsfEEvRKNS_10TensorBaseES9_NS_15PhiloxCudaStateEEUliRsSB_SB_SB_RKfSD_SD_SD_E_sSC_jLi1ELi1ELi4ELi512ELi2EEEvNS0_6detail10TensorInfoIT0_T2_EENSG_IT1_SI_EESI_T_
		.amdhsa_group_segment_fixed_size 0
		.amdhsa_private_segment_fixed_size 0
		.amdhsa_kernarg_size 728
		.amdhsa_user_sgpr_count 6
		.amdhsa_user_sgpr_private_segment_buffer 1
		.amdhsa_user_sgpr_dispatch_ptr 0
		.amdhsa_user_sgpr_queue_ptr 0
		.amdhsa_user_sgpr_kernarg_segment_ptr 1
		.amdhsa_user_sgpr_dispatch_id 0
		.amdhsa_user_sgpr_flat_scratch_init 0
		.amdhsa_user_sgpr_kernarg_preload_length 0
		.amdhsa_user_sgpr_kernarg_preload_offset 0
		.amdhsa_user_sgpr_private_segment_size 0
		.amdhsa_uses_dynamic_stack 0
		.amdhsa_system_sgpr_private_segment_wavefront_offset 0
		.amdhsa_system_sgpr_workgroup_id_x 1
		.amdhsa_system_sgpr_workgroup_id_y 0
		.amdhsa_system_sgpr_workgroup_id_z 0
		.amdhsa_system_sgpr_workgroup_info 0
		.amdhsa_system_vgpr_workitem_id 0
		.amdhsa_next_free_vgpr 53
		.amdhsa_next_free_sgpr 61
		.amdhsa_accum_offset 56
		.amdhsa_reserve_vcc 1
		.amdhsa_reserve_flat_scratch 0
		.amdhsa_float_round_mode_32 0
		.amdhsa_float_round_mode_16_64 0
		.amdhsa_float_denorm_mode_32 3
		.amdhsa_float_denorm_mode_16_64 3
		.amdhsa_dx10_clamp 1
		.amdhsa_ieee_mode 1
		.amdhsa_fp16_overflow 0
		.amdhsa_tg_split 0
		.amdhsa_exception_fp_ieee_invalid_op 0
		.amdhsa_exception_fp_denorm_src 0
		.amdhsa_exception_fp_ieee_div_zero 0
		.amdhsa_exception_fp_ieee_overflow 0
		.amdhsa_exception_fp_ieee_underflow 0
		.amdhsa_exception_fp_ieee_inexact 0
		.amdhsa_exception_int_div_zero 0
	.end_amdhsa_kernel
	.section	.text._ZN2at4cuda12_GLOBAL__N_121kernelPointwiseApply2IZNS_6native9templates4cuda28bernoulli_tensor_cuda_kernelIsfEEvRKNS_10TensorBaseES9_NS_15PhiloxCudaStateEEUliRsSB_SB_SB_RKfSD_SD_SD_E_sSC_jLi1ELi1ELi4ELi512ELi2EEEvNS0_6detail10TensorInfoIT0_T2_EENSG_IT1_SI_EESI_T_,"axG",@progbits,_ZN2at4cuda12_GLOBAL__N_121kernelPointwiseApply2IZNS_6native9templates4cuda28bernoulli_tensor_cuda_kernelIsfEEvRKNS_10TensorBaseES9_NS_15PhiloxCudaStateEEUliRsSB_SB_SB_RKfSD_SD_SD_E_sSC_jLi1ELi1ELi4ELi512ELi2EEEvNS0_6detail10TensorInfoIT0_T2_EENSG_IT1_SI_EESI_T_,comdat
.Lfunc_end55:
	.size	_ZN2at4cuda12_GLOBAL__N_121kernelPointwiseApply2IZNS_6native9templates4cuda28bernoulli_tensor_cuda_kernelIsfEEvRKNS_10TensorBaseES9_NS_15PhiloxCudaStateEEUliRsSB_SB_SB_RKfSD_SD_SD_E_sSC_jLi1ELi1ELi4ELi512ELi2EEEvNS0_6detail10TensorInfoIT0_T2_EENSG_IT1_SI_EESI_T_, .Lfunc_end55-_ZN2at4cuda12_GLOBAL__N_121kernelPointwiseApply2IZNS_6native9templates4cuda28bernoulli_tensor_cuda_kernelIsfEEvRKNS_10TensorBaseES9_NS_15PhiloxCudaStateEEUliRsSB_SB_SB_RKfSD_SD_SD_E_sSC_jLi1ELi1ELi4ELi512ELi2EEEvNS0_6detail10TensorInfoIT0_T2_EENSG_IT1_SI_EESI_T_
                                        ; -- End function
	.section	.AMDGPU.csdata,"",@progbits
; Kernel info:
; codeLenInByte = 2652
; NumSgprs: 65
; NumVgprs: 53
; NumAgprs: 0
; TotalNumVgprs: 53
; ScratchSize: 0
; MemoryBound: 0
; FloatMode: 240
; IeeeMode: 1
; LDSByteSize: 0 bytes/workgroup (compile time only)
; SGPRBlocks: 8
; VGPRBlocks: 6
; NumSGPRsForWavesPerEU: 65
; NumVGPRsForWavesPerEU: 53
; AccumOffset: 56
; Occupancy: 8
; WaveLimiterHint : 1
; COMPUTE_PGM_RSRC2:SCRATCH_EN: 0
; COMPUTE_PGM_RSRC2:USER_SGPR: 6
; COMPUTE_PGM_RSRC2:TRAP_HANDLER: 0
; COMPUTE_PGM_RSRC2:TGID_X_EN: 1
; COMPUTE_PGM_RSRC2:TGID_Y_EN: 0
; COMPUTE_PGM_RSRC2:TGID_Z_EN: 0
; COMPUTE_PGM_RSRC2:TIDIG_COMP_CNT: 0
; COMPUTE_PGM_RSRC3_GFX90A:ACCUM_OFFSET: 13
; COMPUTE_PGM_RSRC3_GFX90A:TG_SPLIT: 0
	.section	.text._ZN2at4cuda12_GLOBAL__N_121kernelPointwiseApply2IZNS_6native9templates4cuda28bernoulli_tensor_cuda_kernelIsfEEvRKNS_10TensorBaseES9_NS_15PhiloxCudaStateEEUliRsSB_SB_SB_RKfSD_SD_SD_E_sSC_jLi1ELi2ELi4ELi512ELi2EEEvNS0_6detail10TensorInfoIT0_T2_EENSG_IT1_SI_EESI_T_,"axG",@progbits,_ZN2at4cuda12_GLOBAL__N_121kernelPointwiseApply2IZNS_6native9templates4cuda28bernoulli_tensor_cuda_kernelIsfEEvRKNS_10TensorBaseES9_NS_15PhiloxCudaStateEEUliRsSB_SB_SB_RKfSD_SD_SD_E_sSC_jLi1ELi2ELi4ELi512ELi2EEEvNS0_6detail10TensorInfoIT0_T2_EENSG_IT1_SI_EESI_T_,comdat
	.globl	_ZN2at4cuda12_GLOBAL__N_121kernelPointwiseApply2IZNS_6native9templates4cuda28bernoulli_tensor_cuda_kernelIsfEEvRKNS_10TensorBaseES9_NS_15PhiloxCudaStateEEUliRsSB_SB_SB_RKfSD_SD_SD_E_sSC_jLi1ELi2ELi4ELi512ELi2EEEvNS0_6detail10TensorInfoIT0_T2_EENSG_IT1_SI_EESI_T_ ; -- Begin function _ZN2at4cuda12_GLOBAL__N_121kernelPointwiseApply2IZNS_6native9templates4cuda28bernoulli_tensor_cuda_kernelIsfEEvRKNS_10TensorBaseES9_NS_15PhiloxCudaStateEEUliRsSB_SB_SB_RKfSD_SD_SD_E_sSC_jLi1ELi2ELi4ELi512ELi2EEEvNS0_6detail10TensorInfoIT0_T2_EENSG_IT1_SI_EESI_T_
	.p2align	8
	.type	_ZN2at4cuda12_GLOBAL__N_121kernelPointwiseApply2IZNS_6native9templates4cuda28bernoulli_tensor_cuda_kernelIsfEEvRKNS_10TensorBaseES9_NS_15PhiloxCudaStateEEUliRsSB_SB_SB_RKfSD_SD_SD_E_sSC_jLi1ELi2ELi4ELi512ELi2EEEvNS0_6detail10TensorInfoIT0_T2_EENSG_IT1_SI_EESI_T_,@function
_ZN2at4cuda12_GLOBAL__N_121kernelPointwiseApply2IZNS_6native9templates4cuda28bernoulli_tensor_cuda_kernelIsfEEvRKNS_10TensorBaseES9_NS_15PhiloxCudaStateEEUliRsSB_SB_SB_RKfSD_SD_SD_E_sSC_jLi1ELi2ELi4ELi512ELi2EEEvNS0_6detail10TensorInfoIT0_T2_EENSG_IT1_SI_EESI_T_: ; @_ZN2at4cuda12_GLOBAL__N_121kernelPointwiseApply2IZNS_6native9templates4cuda28bernoulli_tensor_cuda_kernelIsfEEvRKNS_10TensorBaseES9_NS_15PhiloxCudaStateEEUliRsSB_SB_SB_RKfSD_SD_SD_E_sSC_jLi1ELi2ELi4ELi512ELi2EEEvNS0_6detail10TensorInfoIT0_T2_EENSG_IT1_SI_EESI_T_
; %bb.0:
	s_load_dword s2, s[4:5], 0x1e4
	s_load_dword s33, s[4:5], 0x1b0
	s_add_u32 s0, s4, 0x1d8
	s_addc_u32 s1, s5, 0
	s_waitcnt lgkmcnt(0)
	s_and_b32 s2, s2, 0xffff
	s_mul_i32 s6, s6, s2
	v_add_u32_e32 v1, s6, v0
	v_lshlrev_b32_e32 v0, 2, v1
	v_cmp_gt_u32_e32 vcc, s33, v0
	s_and_saveexec_b64 s[6:7], vcc
	s_cbranch_execz .LBB56_51
; %bb.1:
	s_load_dwordx2 s[12:13], s[4:5], 0x0
	s_load_dword s3, s[4:5], 0x6c
	s_load_dwordx2 s[14:15], s[4:5], 0xd8
	s_load_dword s56, s[4:5], 0xe4
	s_load_dword s6, s[0:1], 0x0
	s_load_dwordx2 s[16:17], s[4:5], 0x1c8
	s_load_dword s7, s[4:5], 0x1d0
	s_load_dwordx2 s[18:19], s[4:5], 0x144
	s_load_dwordx4 s[8:11], s[4:5], 0x1b8
	s_waitcnt lgkmcnt(0)
	v_cvt_f32_u32_e32 v2, s56
	s_mov_b32 s57, 0xcd9e8d57
	s_bitcmp1_b32 s7, 0
	s_cselect_b64 s[22:23], -1, 0
	v_rcp_iflag_f32_e32 v4, v2
	v_mad_u64_u32 v[2:3], s[0:1], v1, s57, 0
	s_sub_i32 s60, 0, s56
	v_mul_f32_e32 v4, 0x4f7ffffe, v4
	v_cvt_u32_f32_e32 v4, v4
	v_mov_b32_e32 v6, v3
	s_mul_i32 s6, s6, s2
	s_lshl_b32 s59, s6, 2
	v_mul_lo_u32 v3, s60, v4
	v_mul_hi_u32 v3, v4, v3
	v_add_u32_e32 v3, v4, v3
	v_add_u32_e32 v4, 2, v0
	v_mul_lo_u32 v26, v0, s3
	v_mul_lo_u32 v28, s3, v4
	v_add_u32_e32 v4, 3, v0
	s_mov_b32 s58, 0
	v_mov_b32_e32 v5, 0
	v_sub_u32_e32 v7, s33, v0
	v_add_u32_e32 v27, s3, v26
	s_mul_i32 s61, s59, s3
	v_mul_lo_u32 v29, s3, v4
	s_mov_b64 s[24:25], 0
	s_mov_b32 s62, 0xd2511f53
	s_mov_b32 s63, 0xf1bbcdc8
                                        ; implicit-def: $sgpr26_sgpr27
                                        ; implicit-def: $sgpr28_sgpr29
                                        ; implicit-def: $sgpr30_sgpr31
                                        ; implicit-def: $sgpr20_sgpr21
                                        ; implicit-def: $sgpr34_sgpr35
                                        ; implicit-def: $sgpr36_sgpr37
                                        ; implicit-def: $sgpr38_sgpr39
                                        ; implicit-def: $sgpr40_sgpr41
	s_branch .LBB56_3
.LBB56_2:                               ;   in Loop: Header=BB56_3 Depth=1
	s_or_b64 exec, exec, s[2:3]
	s_and_b64 s[0:1], exec, s[0:1]
	s_or_b64 s[24:25], s[0:1], s[24:25]
	s_andn2_b64 s[0:1], s[20:21], exec
	s_and_b64 s[2:3], s[40:41], exec
	s_or_b64 s[20:21], s[0:1], s[2:3]
	s_andn2_b64 s[0:1], s[30:31], exec
	s_and_b64 s[2:3], s[38:39], exec
	;; [unrolled: 3-line block ×4, first 2 shown]
	s_or_b64 s[26:27], s[0:1], s[2:3]
	s_andn2_b64 exec, exec, s[24:25]
	s_cbranch_execz .LBB56_47
.LBB56_3:                               ; =>This Inner Loop Header: Depth=1
	v_pk_mov_b32 v[8:9], 0, 0
	v_cmp_lt_i32_e64 s[0:1], 0, v7
	v_pk_mov_b32 v[12:13], v[8:9], v[8:9] op_sel:[0,1]
	s_and_saveexec_b64 s[2:3], s[0:1]
	s_cbranch_execz .LBB56_5
; %bb.4:                                ;   in Loop: Header=BB56_3 Depth=1
	s_waitcnt vmcnt(0)
	v_mul_hi_u32 v4, v3, v0
	v_not_b32_e32 v12, v4
	v_mad_u64_u32 v[10:11], s[4:5], s60, v4, v[0:1]
	v_add_u32_e32 v11, 1, v4
	v_cmp_le_u32_e32 vcc, s56, v10
	v_mad_u64_u32 v[12:13], s[4:5], s56, v12, v[0:1]
	v_cndmask_b32_e32 v4, v4, v11, vcc
	v_cndmask_b32_e32 v10, v10, v12, vcc
	v_add_u32_e32 v11, 1, v4
	v_cmp_le_u32_e32 vcc, s56, v10
	v_cndmask_b32_e32 v12, v4, v11, vcc
	v_mad_u64_u32 v[10:11], s[4:5], s60, v12, v[0:1]
	v_mul_lo_u32 v4, v10, s19
	v_mad_u64_u32 v[12:13], s[4:5], v12, s18, v[4:5]
	v_mov_b32_e32 v13, v5
.LBB56_5:                               ;   in Loop: Header=BB56_3 Depth=1
	s_or_b64 exec, exec, s[2:3]
	v_cmp_lt_i32_e64 s[2:3], 1, v7
	s_and_saveexec_b64 s[4:5], s[2:3]
	s_cbranch_execz .LBB56_7
; %bb.6:                                ;   in Loop: Header=BB56_3 Depth=1
	s_waitcnt vmcnt(0)
	v_add_u32_e32 v4, 1, v0
	v_mul_hi_u32 v8, v4, v3
	v_mul_lo_u32 v9, v8, s56
	v_sub_u32_e32 v9, v4, v9
	v_add_u32_e32 v10, 1, v8
	v_cmp_le_u32_e32 vcc, s56, v9
	v_cndmask_b32_e32 v8, v8, v10, vcc
	v_subrev_u32_e32 v10, s56, v9
	v_cndmask_b32_e32 v9, v9, v10, vcc
	v_add_u32_e32 v10, 1, v8
	v_cmp_le_u32_e32 vcc, s56, v9
	v_cndmask_b32_e32 v8, v8, v10, vcc
	v_mul_lo_u32 v9, v8, s56
	v_sub_u32_e32 v4, v4, v9
	v_mul_lo_u32 v4, v4, s19
	v_mad_u64_u32 v[8:9], s[6:7], v8, s18, v[4:5]
	v_mov_b32_e32 v9, v5
.LBB56_7:                               ;   in Loop: Header=BB56_3 Depth=1
	s_or_b64 exec, exec, s[4:5]
	v_pk_mov_b32 v[10:11], 0, 0
	v_cmp_lt_i32_e64 s[4:5], 2, v7
	v_pk_mov_b32 v[14:15], v[10:11], v[10:11] op_sel:[0,1]
	s_and_saveexec_b64 s[6:7], s[4:5]
	s_cbranch_execz .LBB56_9
; %bb.8:                                ;   in Loop: Header=BB56_3 Depth=1
	s_waitcnt vmcnt(0)
	v_add_u32_e32 v4, 2, v0
	v_mul_hi_u32 v14, v4, v3
	v_mul_lo_u32 v15, v14, s56
	v_sub_u32_e32 v15, v4, v15
	v_add_u32_e32 v16, 1, v14
	v_cmp_le_u32_e32 vcc, s56, v15
	v_cndmask_b32_e32 v14, v14, v16, vcc
	v_subrev_u32_e32 v16, s56, v15
	v_cndmask_b32_e32 v15, v15, v16, vcc
	v_add_u32_e32 v16, 1, v14
	v_cmp_le_u32_e32 vcc, s56, v15
	v_cndmask_b32_e32 v14, v14, v16, vcc
	v_mul_lo_u32 v15, v14, s56
	v_sub_u32_e32 v4, v4, v15
	v_mul_lo_u32 v4, v4, s19
	v_mad_u64_u32 v[14:15], s[42:43], v14, s18, v[4:5]
	v_mov_b32_e32 v15, v5
.LBB56_9:                               ;   in Loop: Header=BB56_3 Depth=1
	s_or_b64 exec, exec, s[6:7]
	v_cmp_lt_i32_e32 vcc, 3, v7
	v_pk_mov_b32 v[16:17], v[10:11], v[10:11] op_sel:[0,1]
	s_and_saveexec_b64 s[6:7], vcc
	s_cbranch_execz .LBB56_11
; %bb.10:                               ;   in Loop: Header=BB56_3 Depth=1
	v_add_u32_e32 v10, 3, v0
	v_mul_hi_u32 v11, v10, v3
	v_mul_lo_u32 v16, v11, s56
	v_sub_u32_e32 v16, v10, v16
	v_add_u32_e32 v17, 1, v11
	v_cmp_le_u32_e32 vcc, s56, v16
	v_cndmask_b32_e32 v11, v11, v17, vcc
	v_subrev_u32_e32 v17, s56, v16
	v_cndmask_b32_e32 v16, v16, v17, vcc
	v_add_u32_e32 v17, 1, v11
	v_cmp_le_u32_e32 vcc, s56, v16
	v_cndmask_b32_e32 v11, v11, v17, vcc
	v_mul_lo_u32 v16, v11, s56
	v_sub_u32_e32 v10, v10, v16
	v_mul_lo_u32 v10, v10, s19
	s_waitcnt vmcnt(0)
	v_add_u32_e32 v4, s58, v29
	v_mad_u64_u32 v[16:17], s[42:43], v11, s18, v[10:11]
	v_mov_b32_e32 v17, v5
	v_pk_mov_b32 v[10:11], v[4:5], v[4:5] op_sel:[0,1]
.LBB56_11:                              ;   in Loop: Header=BB56_3 Depth=1
	s_or_b64 exec, exec, s[6:7]
	v_lshlrev_b64 v[12:13], 2, v[12:13]
	s_waitcnt vmcnt(0)
	v_mov_b32_e32 v4, s15
	v_add_co_u32_e32 v12, vcc, s14, v12
	v_addc_co_u32_e32 v13, vcc, v4, v13, vcc
	v_lshlrev_b64 v[8:9], 2, v[8:9]
	v_add_co_u32_e32 v8, vcc, s14, v8
	v_addc_co_u32_e32 v9, vcc, v4, v9, vcc
	v_lshlrev_b64 v[14:15], 2, v[14:15]
	;; [unrolled: 3-line block ×3, first 2 shown]
	v_add_co_u32_e32 v16, vcc, s14, v16
	v_addc_co_u32_e32 v17, vcc, v4, v17, vcc
	global_load_dword v30, v[12:13], off
	global_load_dword v31, v[8:9], off
	;; [unrolled: 1-line block ×4, first 2 shown]
	s_andn2_b64 vcc, exec, s[22:23]
	v_pk_mov_b32 v[8:9], s[10:11], s[10:11] op_sel:[0,1]
	v_pk_mov_b32 v[12:13], s[8:9], s[8:9] op_sel:[0,1]
	s_cbranch_vccnz .LBB56_13
; %bb.12:                               ;   in Loop: Header=BB56_3 Depth=1
	v_pk_mov_b32 v[8:9], s[10:11], s[10:11] op_sel:[0,1]
	flat_load_dwordx2 v[8:9], v[8:9]
	v_pk_mov_b32 v[12:13], s[8:9], s[8:9] op_sel:[0,1]
	flat_load_dwordx2 v[12:13], v[12:13]
	v_mov_b32_e32 v14, s17
	s_waitcnt vmcnt(0) lgkmcnt(0)
	v_add_co_u32_e32 v8, vcc, s16, v8
	v_addc_co_u32_e32 v9, vcc, v9, v14, vcc
.LBB56_13:                              ;   in Loop: Header=BB56_3 Depth=1
	v_alignbit_b32 v22, v9, v8, 2
	v_lshrrev_b32_e32 v23, 2, v9
	v_xor_b32_e32 v14, v6, v12
	v_and_b32_e32 v33, 3, v8
	v_mad_u64_u32 v[8:9], s[6:7], v22, s62, 0
	v_xor_b32_e32 v14, v14, v23
	v_xor_b32_e32 v9, v9, v13
	v_add_u32_e32 v38, 0xbb67ae85, v13
	v_mad_u64_u32 v[14:15], s[6:7], v14, s62, 0
	v_mad_u64_u32 v[16:17], s[6:7], v9, s57, 0
	v_xor_b32_e32 v15, v38, v15
	v_add_u32_e32 v37, 0x9e3779b9, v12
	v_xor_b32_e32 v9, v2, v17
	v_xor_b32_e32 v15, v15, v8
	v_xor_b32_e32 v9, v9, v37
	v_add_u32_e32 v39, 0x3c6ef372, v12
	v_mad_u64_u32 v[18:19], s[6:7], v15, s57, 0
	v_add_u32_e32 v40, 0x76cf5d0a, v13
	v_mad_u64_u32 v[8:9], s[6:7], v9, s62, 0
	v_xor_b32_e32 v15, v39, v19
	v_xor_b32_e32 v15, v15, v16
	v_xor_b32_e32 v9, v40, v9
	v_xor_b32_e32 v9, v9, v14
	v_add_u32_e32 v42, 0x32370b8f, v13
	v_mad_u64_u32 v[14:15], s[6:7], v15, s62, 0
	v_add_u32_e32 v41, 0xdaa66d2b, v12
	v_mad_u64_u32 v[16:17], s[6:7], v9, s57, 0
	v_xor_b32_e32 v15, v42, v15
	;; [unrolled: 8-line block ×5, first 2 shown]
	v_xor_b32_e32 v15, v15, v16
	v_xor_b32_e32 v9, v48, v9
	;; [unrolled: 1-line block ×3, first 2 shown]
	v_add_u32_e32 v50, 0x1fd5c5a3, v13
	v_mad_u64_u32 v[14:15], s[6:7], v15, s62, 0
	v_xor_b32_e32 v15, v50, v15
	v_xor_b32_e32 v8, v15, v8
	v_add_u32_e32 v49, 0x5384540f, v12
	v_mad_u64_u32 v[20:21], s[6:7], v9, s57, 0
	v_add_co_u32_e32 v35, vcc, s63, v12
	v_mad_u64_u32 v[16:17], s[6:7], v8, s57, 0
	v_xor_b32_e32 v9, v49, v21
	v_xor_b32_e32 v8, v35, v17
	;; [unrolled: 1-line block ×4, first 2 shown]
	v_mad_u64_u32 v[18:19], s[6:7], v9, s62, 0
	v_mad_u64_u32 v[8:9], s[6:7], v8, s62, 0
	v_add_u32_e32 v36, 0x96a522ad, v13
	v_xor_b32_e32 v9, v9, v18
	v_xor_b32_e32 v34, v36, v9
	v_add_co_u32_e32 v9, vcc, 1, v22
	v_cndmask_b32_e64 v18, 0, 1, vcc
	v_addc_co_u32_e32 v24, vcc, 0, v23, vcc
	v_cmp_eq_u32_e32 vcc, 0, v24
	v_cndmask_b32_e32 v18, 0, v18, vcc
	v_add_u32_e32 v22, v18, v1
	v_cmp_eq_u32_e32 vcc, 0, v22
	v_mad_u64_u32 v[20:21], s[6:7], v9, s62, 0
	v_mad_u64_u32 v[22:23], s[6:7], v22, s57, 0
	v_add_u32_e32 v17, 0x8ff34781, v12
	v_cndmask_b32_e32 v18, 0, v18, vcc
	v_xor_b32_e32 v9, v23, v12
	v_xor_b32_e32 v12, v21, v13
	;; [unrolled: 1-line block ×4, first 2 shown]
	v_mad_u64_u32 v[24:25], s[6:7], v18, s57, 0
	v_add_u32_e32 v15, 0xdb3d7428, v13
	v_mad_u64_u32 v[12:13], s[6:7], v9, s62, 0
	v_xor_b32_e32 v9, v37, v25
	v_xor_b32_e32 v9, v9, v22
	v_xor_b32_e32 v13, v38, v13
	v_xor_b32_e32 v13, v13, v20
	v_mad_u64_u32 v[20:21], s[6:7], v9, s62, 0
	v_mad_u64_u32 v[22:23], s[6:7], v13, s57, 0
	v_xor_b32_e32 v13, v40, v21
	v_xor_b32_e32 v9, v39, v23
	v_xor_b32_e32 v18, v13, v12
	v_xor_b32_e32 v9, v9, v24
	v_mad_u64_u32 v[24:25], s[6:7], v18, s57, 0
	;; [unrolled: 6-line block ×7, first 2 shown]
	v_xor_b32_e32 v9, v15, v23
	v_xor_b32_e32 v9, v9, v12
	v_mad_u64_u32 v[24:25], s[6:7], v13, s57, 0
	v_mad_u64_u32 v[12:13], s[6:7], v9, s57, 0
	v_xor_b32_e32 v9, v13, v24
	v_xor_b32_e32 v9, v17, v9
	v_cmp_lt_i32_e32 vcc, 1, v33
                                        ; implicit-def: $vgpr21
	s_and_saveexec_b64 s[6:7], vcc
	s_xor_b64 s[6:7], exec, s[6:7]
	s_cbranch_execz .LBB56_19
; %bb.14:                               ;   in Loop: Header=BB56_3 Depth=1
	v_cmp_lt_i32_e32 vcc, 2, v33
                                        ; implicit-def: $vgpr21
	s_and_saveexec_b64 s[42:43], vcc
	s_xor_b64 s[42:43], exec, s[42:43]
; %bb.15:                               ;   in Loop: Header=BB56_3 Depth=1
	v_xor_b32_e32 v13, v35, v25
	v_xor_b32_e32 v13, v13, v20
	v_mul_hi_u32 v13, v13, s62
	v_xor_b32_e32 v13, v13, v22
	v_xor_b32_e32 v21, v36, v13
                                        ; implicit-def: $vgpr34
; %bb.16:                               ;   in Loop: Header=BB56_3 Depth=1
	s_andn2_saveexec_b64 s[42:43], s[42:43]
; %bb.17:                               ;   in Loop: Header=BB56_3 Depth=1
	v_mov_b32_e32 v21, v12
	v_mov_b32_e32 v12, v9
	;; [unrolled: 1-line block ×4, first 2 shown]
; %bb.18:                               ;   in Loop: Header=BB56_3 Depth=1
	s_or_b64 exec, exec, s[42:43]
                                        ; implicit-def: $vgpr14_vgpr15
                                        ; implicit-def: $vgpr16_vgpr17
                                        ; implicit-def: $vgpr33
                                        ; implicit-def: $vgpr34
                                        ; implicit-def: $vgpr18_vgpr19
                                        ; implicit-def: $vgpr15
                                        ; implicit-def: $vgpr17
.LBB56_19:                              ;   in Loop: Header=BB56_3 Depth=1
	s_andn2_saveexec_b64 s[6:7], s[6:7]
	s_cbranch_execz .LBB56_23
; %bb.20:                               ;   in Loop: Header=BB56_3 Depth=1
	v_xor_b32_e32 v12, v15, v19
	v_xor_b32_e32 v12, v12, v14
	v_mad_u64_u32 v[14:15], s[42:43], v12, s57, 0
	v_xor_b32_e32 v12, v15, v16
	v_xor_b32_e32 v13, v17, v12
	v_cmp_eq_u32_e32 vcc, 1, v33
	v_mov_b32_e32 v21, v8
	v_mov_b32_e32 v12, v34
	;; [unrolled: 1-line block ×3, first 2 shown]
	s_and_saveexec_b64 s[42:43], vcc
; %bb.21:                               ;   in Loop: Header=BB56_3 Depth=1
	v_mov_b32_e32 v21, v9
	v_mov_b32_e32 v12, v8
	;; [unrolled: 1-line block ×4, first 2 shown]
; %bb.22:                               ;   in Loop: Header=BB56_3 Depth=1
	s_or_b64 exec, exec, s[42:43]
	v_mov_b32_e32 v8, v13
	v_mov_b32_e32 v9, v15
.LBB56_23:                              ;   in Loop: Header=BB56_3 Depth=1
	s_or_b64 exec, exec, s[6:7]
	v_min_i32_e32 v13, 4, v7
	v_cmp_lt_i32_e32 vcc, 2, v13
	s_mov_b64 s[42:43], 0
	s_mov_b64 s[52:53], 0
                                        ; implicit-def: $sgpr6_sgpr7
                                        ; implicit-def: $sgpr44_sgpr45
                                        ; implicit-def: $sgpr46_sgpr47
	s_and_saveexec_b64 s[48:49], vcc
	s_xor_b64 s[48:49], exec, s[48:49]
	s_cbranch_execz .LBB56_33
; %bb.24:                               ;   in Loop: Header=BB56_3 Depth=1
	v_cmp_lt_i32_e32 vcc, 3, v13
	s_mov_b64 s[6:7], -1
                                        ; implicit-def: $sgpr44_sgpr45
                                        ; implicit-def: $sgpr50_sgpr51
	s_and_saveexec_b64 s[46:47], vcc
	s_cbranch_execz .LBB56_28
; %bb.25:                               ;   in Loop: Header=BB56_3 Depth=1
	s_waitcnt vmcnt(0)
	v_cmp_le_f32_e32 vcc, 0, v4
	v_cmp_ge_f32_e64 s[6:7], 1.0, v4
	s_and_b64 s[52:53], vcc, s[6:7]
	s_mov_b64 s[44:45], 0
	s_mov_b64 s[6:7], 0
	s_and_saveexec_b64 s[50:51], s[52:53]
	s_cbranch_execz .LBB56_27
; %bb.26:                               ;   in Loop: Header=BB56_3 Depth=1
	v_cvt_f32_u32_e32 v14, v21
	v_mov_b32_e32 v15, 0x2f800000
	v_lshlrev_b64 v[10:11], 1, v[10:11]
	v_add_co_u32_e32 v10, vcc, s12, v10
	v_fmac_f32_e32 v15, 0x2f800000, v14
	v_mov_b32_e32 v14, s13
	v_addc_co_u32_e32 v11, vcc, v14, v11, vcc
	v_cmp_le_f32_e32 vcc, v15, v4
	s_mov_b64 s[6:7], exec
	v_cndmask_b32_e64 v4, 0, 1, vcc
	global_store_short v[10:11], v4, off
.LBB56_27:                              ;   in Loop: Header=BB56_3 Depth=1
	s_or_b64 exec, exec, s[50:51]
	s_mov_b64 s[50:51], -1
	s_orn2_b64 s[6:7], s[6:7], exec
.LBB56_28:                              ;   in Loop: Header=BB56_3 Depth=1
	s_or_b64 exec, exec, s[46:47]
	s_mov_b64 s[52:53], 0
	s_mov_b64 s[54:55], s[44:45]
	s_and_saveexec_b64 s[46:47], s[6:7]
	s_cbranch_execz .LBB56_32
; %bb.29:                               ;   in Loop: Header=BB56_3 Depth=1
	s_waitcnt vmcnt(1)
	v_cmp_le_f32_e32 vcc, 0, v32
	v_cmp_ge_f32_e64 s[6:7], 1.0, v32
	s_and_b64 s[52:53], vcc, s[6:7]
	s_mov_b64 s[6:7], 0
	s_and_saveexec_b64 s[54:55], s[52:53]
	s_xor_b64 s[52:53], exec, s[54:55]
	s_cbranch_execz .LBB56_31
; %bb.30:                               ;   in Loop: Header=BB56_3 Depth=1
	s_waitcnt vmcnt(0)
	v_cvt_f32_u32_e32 v4, v12
	v_mov_b32_e32 v12, 0x2f800000
	v_add_u32_e32 v10, s58, v28
	s_mov_b64 s[6:7], exec
	v_fmac_f32_e32 v12, 0x2f800000, v4
	v_cndmask_b32_e64 v4, 0, v10, s[4:5]
	v_lshlrev_b64 v[10:11], 1, v[4:5]
	v_mov_b32_e32 v4, s13
	v_add_co_u32_e32 v10, vcc, s12, v10
	v_addc_co_u32_e32 v11, vcc, v4, v11, vcc
	v_cmp_le_f32_e32 vcc, v12, v32
	v_cndmask_b32_e64 v4, 0, 1, vcc
	global_store_short v[10:11], v4, off
.LBB56_31:                              ;   in Loop: Header=BB56_3 Depth=1
	s_or_b64 exec, exec, s[52:53]
	s_andn2_b64 s[54:55], s[44:45], exec
	s_or_b64 s[44:45], s[44:45], exec
	s_andn2_b64 s[50:51], s[50:51], exec
	s_and_b64 s[52:53], s[6:7], exec
.LBB56_32:                              ;   in Loop: Header=BB56_3 Depth=1
	s_or_b64 exec, exec, s[46:47]
	s_and_b64 s[46:47], s[54:55], exec
	s_and_b64 s[44:45], s[44:45], exec
	;; [unrolled: 1-line block ×4, first 2 shown]
.LBB56_33:                              ;   in Loop: Header=BB56_3 Depth=1
	s_andn2_saveexec_b64 s[4:5], s[48:49]
; %bb.34:                               ;   in Loop: Header=BB56_3 Depth=1
	v_cmp_lt_i32_e32 vcc, 1, v13
	s_andn2_b64 s[48:49], s[52:53], exec
	s_and_b64 s[50:51], vcc, exec
	s_mov_b64 s[42:43], exec
	s_andn2_b64 s[46:47], s[46:47], exec
	s_andn2_b64 s[44:45], s[44:45], exec
	;; [unrolled: 1-line block ×3, first 2 shown]
	s_or_b64 s[52:53], s[48:49], s[50:51]
; %bb.35:                               ;   in Loop: Header=BB56_3 Depth=1
	s_or_b64 exec, exec, s[4:5]
	s_mov_b64 s[48:49], 0
	s_mov_b64 s[50:51], 0
	s_mov_b64 s[4:5], s[46:47]
	s_and_saveexec_b64 s[54:55], s[52:53]
	s_cbranch_execnz .LBB56_38
; %bb.36:                               ;   in Loop: Header=BB56_3 Depth=1
	s_or_b64 exec, exec, s[54:55]
	s_and_saveexec_b64 s[2:3], s[42:43]
	s_cbranch_execnz .LBB56_41
.LBB56_37:                              ;   in Loop: Header=BB56_3 Depth=1
	s_or_b64 exec, exec, s[2:3]
	s_and_saveexec_b64 s[42:43], s[50:51]
	s_cbranch_execnz .LBB56_42
	s_branch .LBB56_45
.LBB56_38:                              ;   in Loop: Header=BB56_3 Depth=1
	s_waitcnt vmcnt(2)
	v_cmp_le_f32_e32 vcc, 0, v31
	v_cmp_ge_f32_e64 s[4:5], 1.0, v31
	s_and_b64 s[4:5], vcc, s[4:5]
	s_and_saveexec_b64 s[52:53], s[4:5]
	s_xor_b64 s[4:5], exec, s[52:53]
	s_cbranch_execz .LBB56_40
; %bb.39:                               ;   in Loop: Header=BB56_3 Depth=1
	s_waitcnt vmcnt(0)
	v_cvt_f32_u32_e32 v4, v9
	v_mov_b32_e32 v9, 0x2f800000
	v_add_u32_e32 v10, s58, v27
	s_mov_b64 s[50:51], exec
	v_fmac_f32_e32 v9, 0x2f800000, v4
	v_cndmask_b32_e64 v4, 0, v10, s[2:3]
	v_lshlrev_b64 v[10:11], 1, v[4:5]
	v_mov_b32_e32 v4, s13
	v_add_co_u32_e32 v10, vcc, s12, v10
	v_addc_co_u32_e32 v11, vcc, v4, v11, vcc
	v_cmp_le_f32_e32 vcc, v9, v31
	v_cndmask_b32_e64 v4, 0, 1, vcc
	global_store_short v[10:11], v4, off
.LBB56_40:                              ;   in Loop: Header=BB56_3 Depth=1
	s_or_b64 exec, exec, s[4:5]
	s_andn2_b64 s[4:5], s[46:47], exec
	s_or_b64 s[46:47], s[46:47], exec
	s_andn2_b64 s[44:45], s[44:45], exec
	s_andn2_b64 s[6:7], s[6:7], exec
	s_and_b64 s[50:51], s[50:51], exec
	s_andn2_b64 s[42:43], s[42:43], exec
	s_or_b64 exec, exec, s[54:55]
	s_and_saveexec_b64 s[2:3], s[42:43]
	s_cbranch_execz .LBB56_37
.LBB56_41:                              ;   in Loop: Header=BB56_3 Depth=1
	v_cmp_eq_u32_e32 vcc, 1, v13
	s_andn2_b64 s[42:43], s[50:51], exec
	s_and_b64 s[50:51], vcc, exec
	s_mov_b64 s[48:49], exec
	s_andn2_b64 s[4:5], s[4:5], exec
	s_andn2_b64 s[46:47], s[46:47], exec
	;; [unrolled: 1-line block ×4, first 2 shown]
	s_or_b64 s[50:51], s[42:43], s[50:51]
	s_or_b64 exec, exec, s[2:3]
	s_and_saveexec_b64 s[42:43], s[50:51]
	s_cbranch_execz .LBB56_45
.LBB56_42:                              ;   in Loop: Header=BB56_3 Depth=1
	s_waitcnt vmcnt(3)
	v_cmp_le_f32_e32 vcc, 0, v30
	v_cmp_ge_f32_e64 s[2:3], 1.0, v30
	s_and_b64 s[52:53], vcc, s[2:3]
	s_mov_b64 s[2:3], 0
	s_and_saveexec_b64 s[50:51], s[52:53]
	s_cbranch_execz .LBB56_44
; %bb.43:                               ;   in Loop: Header=BB56_3 Depth=1
	s_waitcnt vmcnt(0)
	v_cvt_f32_u32_e32 v4, v8
	v_mov_b32_e32 v10, 0x2f800000
	v_add_u32_e32 v8, s58, v26
	s_mov_b64 s[2:3], exec
	v_fmac_f32_e32 v10, 0x2f800000, v4
	v_cndmask_b32_e64 v4, 0, v8, s[0:1]
	v_lshlrev_b64 v[8:9], 1, v[4:5]
	v_mov_b32_e32 v4, s13
	v_add_co_u32_e32 v8, vcc, s12, v8
	v_addc_co_u32_e32 v9, vcc, v4, v9, vcc
	v_cmp_le_f32_e32 vcc, v10, v30
	v_cndmask_b32_e64 v4, 0, 1, vcc
	global_store_short v[8:9], v4, off
.LBB56_44:                              ;   in Loop: Header=BB56_3 Depth=1
	s_or_b64 exec, exec, s[50:51]
	s_andn2_b64 s[0:1], s[48:49], exec
	s_and_b64 s[2:3], s[2:3], exec
	s_or_b64 s[4:5], s[4:5], exec
	s_andn2_b64 s[46:47], s[46:47], exec
	s_andn2_b64 s[44:45], s[44:45], exec
	;; [unrolled: 1-line block ×3, first 2 shown]
	s_or_b64 s[48:49], s[0:1], s[2:3]
.LBB56_45:                              ;   in Loop: Header=BB56_3 Depth=1
	s_or_b64 exec, exec, s[42:43]
	s_andn2_b64 s[2:3], s[40:41], exec
	s_and_b64 s[4:5], s[4:5], exec
	s_or_b64 s[40:41], s[2:3], s[4:5]
	s_andn2_b64 s[2:3], s[38:39], exec
	s_and_b64 s[4:5], s[46:47], exec
	s_or_b64 s[38:39], s[2:3], s[4:5]
	;; [unrolled: 3-line block ×3, first 2 shown]
	s_andn2_b64 s[2:3], s[34:35], exec
	s_and_b64 s[4:5], s[6:7], exec
	s_mov_b64 s[0:1], -1
	s_or_b64 s[34:35], s[2:3], s[4:5]
	s_and_saveexec_b64 s[2:3], s[48:49]
	s_cbranch_execz .LBB56_2
; %bb.46:                               ;   in Loop: Header=BB56_3 Depth=1
	v_add_u32_e32 v0, s59, v0
	v_cmp_le_u32_e32 vcc, s33, v0
	v_subrev_u32_e32 v7, s59, v7
	s_add_i32 s58, s58, s61
	s_andn2_b64 s[40:41], s[40:41], exec
	s_andn2_b64 s[38:39], s[38:39], exec
	;; [unrolled: 1-line block ×4, first 2 shown]
	s_orn2_b64 s[0:1], vcc, exec
	s_branch .LBB56_2
.LBB56_47:
	s_or_b64 exec, exec, s[24:25]
	s_xor_b64 s[6:7], s[30:31], -1
	s_xor_b64 s[8:9], s[28:29], -1
	;; [unrolled: 1-line block ×3, first 2 shown]
	s_mov_b64 s[2:3], 0
	s_and_saveexec_b64 s[4:5], s[0:1]
	s_xor_b64 s[0:1], exec, s[4:5]
	s_cbranch_execnz .LBB56_52
; %bb.48:
	s_andn2_saveexec_b64 s[0:1], s[0:1]
	s_cbranch_execnz .LBB56_60
.LBB56_49:
	s_or_b64 exec, exec, s[0:1]
	s_and_b64 exec, exec, s[2:3]
.LBB56_50:
	; divergent unreachable
.LBB56_51:
	s_endpgm
.LBB56_52:
	s_mov_b64 s[4:5], 0
	s_and_saveexec_b64 s[2:3], s[8:9]
	s_xor_b64 s[2:3], exec, s[2:3]
	s_cbranch_execz .LBB56_58
; %bb.53:
	s_and_saveexec_b64 s[8:9], s[6:7]
	s_xor_b64 s[6:7], exec, s[8:9]
	s_cbranch_execz .LBB56_56
; %bb.54:
	s_and_saveexec_b64 s[8:9], s[20:21]
	s_xor_b64 s[8:9], exec, s[8:9]
	s_cbranch_execnz .LBB56_63
.LBB56_55:
	s_or_b64 exec, exec, s[8:9]
	s_and_b64 s[4:5], s[4:5], exec
.LBB56_56:
	s_andn2_saveexec_b64 s[6:7], s[6:7]
	s_cbranch_execnz .LBB56_62
.LBB56_57:
	s_or_b64 exec, exec, s[6:7]
	s_and_b64 s[4:5], s[4:5], exec
.LBB56_58:
	s_andn2_saveexec_b64 s[2:3], s[2:3]
	s_cbranch_execnz .LBB56_61
.LBB56_59:
	s_or_b64 exec, exec, s[2:3]
	s_and_b64 s[2:3], s[4:5], exec
	s_andn2_saveexec_b64 s[0:1], s[0:1]
	s_cbranch_execz .LBB56_49
.LBB56_60:
	s_or_b64 s[2:3], s[2:3], exec
	s_trap 2
	s_or_b64 exec, exec, s[0:1]
	s_and_b64 exec, exec, s[2:3]
	s_cbranch_execnz .LBB56_50
	s_branch .LBB56_51
.LBB56_61:
	s_or_b64 s[4:5], s[4:5], exec
	s_trap 2
	s_branch .LBB56_59
.LBB56_62:
	s_trap 2
	s_or_b64 s[4:5], s[4:5], exec
	s_branch .LBB56_57
.LBB56_63:
	s_mov_b64 s[4:5], exec
	s_trap 2
	s_branch .LBB56_55
	.section	.rodata,"a",@progbits
	.p2align	6, 0x0
	.amdhsa_kernel _ZN2at4cuda12_GLOBAL__N_121kernelPointwiseApply2IZNS_6native9templates4cuda28bernoulli_tensor_cuda_kernelIsfEEvRKNS_10TensorBaseES9_NS_15PhiloxCudaStateEEUliRsSB_SB_SB_RKfSD_SD_SD_E_sSC_jLi1ELi2ELi4ELi512ELi2EEEvNS0_6detail10TensorInfoIT0_T2_EENSG_IT1_SI_EESI_T_
		.amdhsa_group_segment_fixed_size 0
		.amdhsa_private_segment_fixed_size 0
		.amdhsa_kernarg_size 728
		.amdhsa_user_sgpr_count 6
		.amdhsa_user_sgpr_private_segment_buffer 1
		.amdhsa_user_sgpr_dispatch_ptr 0
		.amdhsa_user_sgpr_queue_ptr 0
		.amdhsa_user_sgpr_kernarg_segment_ptr 1
		.amdhsa_user_sgpr_dispatch_id 0
		.amdhsa_user_sgpr_flat_scratch_init 0
		.amdhsa_user_sgpr_kernarg_preload_length 0
		.amdhsa_user_sgpr_kernarg_preload_offset 0
		.amdhsa_user_sgpr_private_segment_size 0
		.amdhsa_uses_dynamic_stack 0
		.amdhsa_system_sgpr_private_segment_wavefront_offset 0
		.amdhsa_system_sgpr_workgroup_id_x 1
		.amdhsa_system_sgpr_workgroup_id_y 0
		.amdhsa_system_sgpr_workgroup_id_z 0
		.amdhsa_system_sgpr_workgroup_info 0
		.amdhsa_system_vgpr_workitem_id 0
		.amdhsa_next_free_vgpr 51
		.amdhsa_next_free_sgpr 64
		.amdhsa_accum_offset 52
		.amdhsa_reserve_vcc 1
		.amdhsa_reserve_flat_scratch 0
		.amdhsa_float_round_mode_32 0
		.amdhsa_float_round_mode_16_64 0
		.amdhsa_float_denorm_mode_32 3
		.amdhsa_float_denorm_mode_16_64 3
		.amdhsa_dx10_clamp 1
		.amdhsa_ieee_mode 1
		.amdhsa_fp16_overflow 0
		.amdhsa_tg_split 0
		.amdhsa_exception_fp_ieee_invalid_op 0
		.amdhsa_exception_fp_denorm_src 0
		.amdhsa_exception_fp_ieee_div_zero 0
		.amdhsa_exception_fp_ieee_overflow 0
		.amdhsa_exception_fp_ieee_underflow 0
		.amdhsa_exception_fp_ieee_inexact 0
		.amdhsa_exception_int_div_zero 0
	.end_amdhsa_kernel
	.section	.text._ZN2at4cuda12_GLOBAL__N_121kernelPointwiseApply2IZNS_6native9templates4cuda28bernoulli_tensor_cuda_kernelIsfEEvRKNS_10TensorBaseES9_NS_15PhiloxCudaStateEEUliRsSB_SB_SB_RKfSD_SD_SD_E_sSC_jLi1ELi2ELi4ELi512ELi2EEEvNS0_6detail10TensorInfoIT0_T2_EENSG_IT1_SI_EESI_T_,"axG",@progbits,_ZN2at4cuda12_GLOBAL__N_121kernelPointwiseApply2IZNS_6native9templates4cuda28bernoulli_tensor_cuda_kernelIsfEEvRKNS_10TensorBaseES9_NS_15PhiloxCudaStateEEUliRsSB_SB_SB_RKfSD_SD_SD_E_sSC_jLi1ELi2ELi4ELi512ELi2EEEvNS0_6detail10TensorInfoIT0_T2_EENSG_IT1_SI_EESI_T_,comdat
.Lfunc_end56:
	.size	_ZN2at4cuda12_GLOBAL__N_121kernelPointwiseApply2IZNS_6native9templates4cuda28bernoulli_tensor_cuda_kernelIsfEEvRKNS_10TensorBaseES9_NS_15PhiloxCudaStateEEUliRsSB_SB_SB_RKfSD_SD_SD_E_sSC_jLi1ELi2ELi4ELi512ELi2EEEvNS0_6detail10TensorInfoIT0_T2_EENSG_IT1_SI_EESI_T_, .Lfunc_end56-_ZN2at4cuda12_GLOBAL__N_121kernelPointwiseApply2IZNS_6native9templates4cuda28bernoulli_tensor_cuda_kernelIsfEEvRKNS_10TensorBaseES9_NS_15PhiloxCudaStateEEUliRsSB_SB_SB_RKfSD_SD_SD_E_sSC_jLi1ELi2ELi4ELi512ELi2EEEvNS0_6detail10TensorInfoIT0_T2_EENSG_IT1_SI_EESI_T_
                                        ; -- End function
	.section	.AMDGPU.csdata,"",@progbits
; Kernel info:
; codeLenInByte = 3032
; NumSgprs: 68
; NumVgprs: 51
; NumAgprs: 0
; TotalNumVgprs: 51
; ScratchSize: 0
; MemoryBound: 0
; FloatMode: 240
; IeeeMode: 1
; LDSByteSize: 0 bytes/workgroup (compile time only)
; SGPRBlocks: 8
; VGPRBlocks: 6
; NumSGPRsForWavesPerEU: 68
; NumVGPRsForWavesPerEU: 51
; AccumOffset: 52
; Occupancy: 8
; WaveLimiterHint : 1
; COMPUTE_PGM_RSRC2:SCRATCH_EN: 0
; COMPUTE_PGM_RSRC2:USER_SGPR: 6
; COMPUTE_PGM_RSRC2:TRAP_HANDLER: 0
; COMPUTE_PGM_RSRC2:TGID_X_EN: 1
; COMPUTE_PGM_RSRC2:TGID_Y_EN: 0
; COMPUTE_PGM_RSRC2:TGID_Z_EN: 0
; COMPUTE_PGM_RSRC2:TIDIG_COMP_CNT: 0
; COMPUTE_PGM_RSRC3_GFX90A:ACCUM_OFFSET: 12
; COMPUTE_PGM_RSRC3_GFX90A:TG_SPLIT: 0
	.section	.text._ZN2at4cuda12_GLOBAL__N_121kernelPointwiseApply2IZNS_6native9templates4cuda28bernoulli_tensor_cuda_kernelIsfEEvRKNS_10TensorBaseES9_NS_15PhiloxCudaStateEEUliRsSB_SB_SB_RKfSD_SD_SD_E_sSC_jLi1ELin1ELi4ELi512ELi2EEEvNS0_6detail10TensorInfoIT0_T2_EENSG_IT1_SI_EESI_T_,"axG",@progbits,_ZN2at4cuda12_GLOBAL__N_121kernelPointwiseApply2IZNS_6native9templates4cuda28bernoulli_tensor_cuda_kernelIsfEEvRKNS_10TensorBaseES9_NS_15PhiloxCudaStateEEUliRsSB_SB_SB_RKfSD_SD_SD_E_sSC_jLi1ELin1ELi4ELi512ELi2EEEvNS0_6detail10TensorInfoIT0_T2_EENSG_IT1_SI_EESI_T_,comdat
	.globl	_ZN2at4cuda12_GLOBAL__N_121kernelPointwiseApply2IZNS_6native9templates4cuda28bernoulli_tensor_cuda_kernelIsfEEvRKNS_10TensorBaseES9_NS_15PhiloxCudaStateEEUliRsSB_SB_SB_RKfSD_SD_SD_E_sSC_jLi1ELin1ELi4ELi512ELi2EEEvNS0_6detail10TensorInfoIT0_T2_EENSG_IT1_SI_EESI_T_ ; -- Begin function _ZN2at4cuda12_GLOBAL__N_121kernelPointwiseApply2IZNS_6native9templates4cuda28bernoulli_tensor_cuda_kernelIsfEEvRKNS_10TensorBaseES9_NS_15PhiloxCudaStateEEUliRsSB_SB_SB_RKfSD_SD_SD_E_sSC_jLi1ELin1ELi4ELi512ELi2EEEvNS0_6detail10TensorInfoIT0_T2_EENSG_IT1_SI_EESI_T_
	.p2align	8
	.type	_ZN2at4cuda12_GLOBAL__N_121kernelPointwiseApply2IZNS_6native9templates4cuda28bernoulli_tensor_cuda_kernelIsfEEvRKNS_10TensorBaseES9_NS_15PhiloxCudaStateEEUliRsSB_SB_SB_RKfSD_SD_SD_E_sSC_jLi1ELin1ELi4ELi512ELi2EEEvNS0_6detail10TensorInfoIT0_T2_EENSG_IT1_SI_EESI_T_,@function
_ZN2at4cuda12_GLOBAL__N_121kernelPointwiseApply2IZNS_6native9templates4cuda28bernoulli_tensor_cuda_kernelIsfEEvRKNS_10TensorBaseES9_NS_15PhiloxCudaStateEEUliRsSB_SB_SB_RKfSD_SD_SD_E_sSC_jLi1ELin1ELi4ELi512ELi2EEEvNS0_6detail10TensorInfoIT0_T2_EENSG_IT1_SI_EESI_T_: ; @_ZN2at4cuda12_GLOBAL__N_121kernelPointwiseApply2IZNS_6native9templates4cuda28bernoulli_tensor_cuda_kernelIsfEEvRKNS_10TensorBaseES9_NS_15PhiloxCudaStateEEUliRsSB_SB_SB_RKfSD_SD_SD_E_sSC_jLi1ELin1ELi4ELi512ELi2EEEvNS0_6detail10TensorInfoIT0_T2_EENSG_IT1_SI_EESI_T_
; %bb.0:
	s_load_dword s2, s[4:5], 0x1e4
	s_load_dword s33, s[4:5], 0x1b0
	s_add_u32 s0, s4, 0x1d8
	s_addc_u32 s1, s5, 0
	s_waitcnt lgkmcnt(0)
	s_and_b32 s2, s2, 0xffff
	s_mul_i32 s6, s6, s2
	v_add_u32_e32 v5, s6, v0
	v_lshlrev_b32_e32 v24, 2, v5
	v_cmp_gt_u32_e32 vcc, s33, v24
	s_and_saveexec_b64 s[6:7], vcc
	s_cbranch_execz .LBB57_65
; %bb.1:
	s_load_dword s3, s[0:1], 0x0
	s_load_dwordx4 s[12:15], s[4:5], 0x1b8
	s_load_dword s8, s[4:5], 0x1a8
	s_load_dwordx2 s[10:11], s[4:5], 0x0
	s_load_dword s60, s[4:5], 0x6c
	s_waitcnt lgkmcnt(0)
	s_mul_i32 s9, s3, s2
	s_load_dwordx2 s[16:17], s[4:5], 0x1c8
	s_load_dword s2, s[4:5], 0x1d0
	s_add_u32 s6, s4, 0xd8
	s_addc_u32 s7, s5, 0
	s_cmp_gt_i32 s8, 1
	s_mov_b32 s62, 0xcd9e8d57
	s_cselect_b64 s[0:1], -1, 0
	s_waitcnt lgkmcnt(0)
	s_bitcmp1_b32 s2, 0
	v_mad_u64_u32 v[0:1], s[2:3], v5, s62, 0
	s_cselect_b64 s[22:23], -1, 0
	s_add_i32 s2, s8, -1
	s_mov_b32 s3, 0
	s_load_dword s61, s[4:5], 0x144
	s_load_dwordx2 s[18:19], s[4:5], 0xd8
	s_lshl_b32 s63, s9, 2
	s_add_i32 s64, s8, 1
	s_lshl_b64 s[2:3], s[2:3], 2
	s_add_u32 s2, s2, s6
	s_addc_u32 s3, s3, s7
	v_mov_b32_e32 v4, v1
	s_add_u32 s24, s2, 8
	v_cndmask_b32_e64 v1, 0, 1, s[0:1]
	v_mov_b32_e32 v3, 0
	s_addc_u32 s25, s3, 0
	s_mov_b64 s[26:27], 0
	s_mov_b32 s65, 0xd2511f53
	v_cmp_ne_u32_e64 s[0:1], 1, v1
	s_mov_b32 s66, 0xf1bbcdc8
                                        ; implicit-def: $sgpr28_sgpr29
                                        ; implicit-def: $sgpr30_sgpr31
                                        ; implicit-def: $sgpr34_sgpr35
                                        ; implicit-def: $sgpr20_sgpr21
                                        ; implicit-def: $sgpr36_sgpr37
                                        ; implicit-def: $sgpr38_sgpr39
                                        ; implicit-def: $sgpr40_sgpr41
                                        ; implicit-def: $sgpr42_sgpr43
	s_branch .LBB57_3
.LBB57_2:                               ;   in Loop: Header=BB57_3 Depth=1
	s_or_b64 exec, exec, s[4:5]
	s_and_b64 s[2:3], exec, s[2:3]
	s_or_b64 s[26:27], s[2:3], s[26:27]
	s_andn2_b64 s[2:3], s[20:21], exec
	s_and_b64 s[4:5], s[42:43], exec
	s_or_b64 s[20:21], s[2:3], s[4:5]
	s_andn2_b64 s[2:3], s[34:35], exec
	s_and_b64 s[4:5], s[40:41], exec
	;; [unrolled: 3-line block ×4, first 2 shown]
	s_or_b64 s[28:29], s[2:3], s[4:5]
	s_andn2_b64 exec, exec, s[26:27]
	s_cbranch_execz .LBB57_61
.LBB57_3:                               ; =>This Loop Header: Depth=1
                                        ;     Child Loop BB57_6 Depth 2
                                        ;     Child Loop BB57_11 Depth 2
	;; [unrolled: 1-line block ×4, first 2 shown]
	v_sub_u32_e32 v25, s33, v24
	v_cmp_lt_i32_e64 s[2:3], 0, v25
	s_waitcnt vmcnt(0)
	v_mov_b32_e32 v2, 0
	s_and_saveexec_b64 s[4:5], s[2:3]
	s_cbranch_execz .LBB57_8
; %bb.4:                                ;   in Loop: Header=BB57_3 Depth=1
	s_and_b64 vcc, exec, s[0:1]
	v_mov_b32_e32 v6, 0
	v_mov_b32_e32 v1, v24
	s_cbranch_vccnz .LBB57_7
; %bb.5:                                ;   in Loop: Header=BB57_3 Depth=1
	v_mov_b32_e32 v6, 0
	s_mov_b64 s[6:7], s[24:25]
	s_mov_b32 s8, s64
	v_mov_b32_e32 v1, v24
.LBB57_6:                               ;   Parent Loop BB57_3 Depth=1
                                        ; =>  This Inner Loop Header: Depth=2
	s_load_dword s9, s[6:7], 0x0
	s_load_dword s44, s[6:7], 0x64
	v_mov_b32_e32 v2, v1
	s_add_i32 s8, s8, -1
	s_waitcnt lgkmcnt(0)
	v_cvt_f32_u32_e32 v1, s9
	s_sub_i32 s45, 0, s9
	s_add_u32 s6, s6, -4
	s_addc_u32 s7, s7, -1
	v_rcp_iflag_f32_e32 v1, v1
	s_cmp_gt_u32 s8, 2
	v_mul_f32_e32 v1, 0x4f7ffffe, v1
	v_cvt_u32_f32_e32 v1, v1
	v_mul_lo_u32 v7, s45, v1
	v_mul_hi_u32 v7, v1, v7
	v_add_u32_e32 v1, v1, v7
	v_mul_hi_u32 v1, v2, v1
	v_mul_lo_u32 v7, v1, s9
	v_sub_u32_e32 v7, v2, v7
	v_add_u32_e32 v8, 1, v1
	v_cmp_le_u32_e32 vcc, s9, v7
	v_cndmask_b32_e32 v1, v1, v8, vcc
	v_subrev_u32_e32 v8, s9, v7
	v_cndmask_b32_e32 v7, v7, v8, vcc
	v_add_u32_e32 v8, 1, v1
	v_cmp_le_u32_e32 vcc, s9, v7
	v_cndmask_b32_e32 v1, v1, v8, vcc
	v_mul_lo_u32 v7, v1, s9
	v_sub_u32_e32 v2, v2, v7
	v_mad_u64_u32 v[6:7], s[44:45], s44, v2, v[6:7]
	s_cbranch_scc1 .LBB57_6
.LBB57_7:                               ;   in Loop: Header=BB57_3 Depth=1
	s_waitcnt lgkmcnt(0)
	v_mad_u64_u32 v[6:7], s[6:7], s61, v1, v[6:7]
	v_mov_b32_e32 v2, v6
.LBB57_8:                               ;   in Loop: Header=BB57_3 Depth=1
	s_or_b64 exec, exec, s[4:5]
	v_cmp_lt_i32_e64 s[4:5], 1, v25
	v_pk_mov_b32 v[6:7], 0, 0
	s_and_saveexec_b64 s[6:7], s[4:5]
	s_cbranch_execz .LBB57_13
; %bb.9:                                ;   in Loop: Header=BB57_3 Depth=1
	v_or_b32_e32 v1, 1, v24
	s_and_b64 vcc, exec, s[0:1]
	v_mov_b32_e32 v6, 0
	s_cbranch_vccnz .LBB57_12
; %bb.10:                               ;   in Loop: Header=BB57_3 Depth=1
	v_mov_b32_e32 v6, 0
	s_mov_b64 s[8:9], s[24:25]
	s_mov_b32 s44, s64
.LBB57_11:                              ;   Parent Loop BB57_3 Depth=1
                                        ; =>  This Inner Loop Header: Depth=2
	s_load_dword s45, s[8:9], 0x0
	s_load_dword s46, s[8:9], 0x64
	v_mov_b32_e32 v7, v1
	s_add_i32 s44, s44, -1
	s_waitcnt lgkmcnt(0)
	v_cvt_f32_u32_e32 v1, s45
	s_sub_i32 s47, 0, s45
	s_add_u32 s8, s8, -4
	s_addc_u32 s9, s9, -1
	v_rcp_iflag_f32_e32 v1, v1
	s_cmp_gt_u32 s44, 2
	v_mul_f32_e32 v1, 0x4f7ffffe, v1
	v_cvt_u32_f32_e32 v1, v1
	v_mul_lo_u32 v8, s47, v1
	v_mul_hi_u32 v8, v1, v8
	v_add_u32_e32 v1, v1, v8
	v_mul_hi_u32 v1, v7, v1
	v_mul_lo_u32 v8, v1, s45
	v_sub_u32_e32 v8, v7, v8
	v_add_u32_e32 v9, 1, v1
	v_cmp_le_u32_e32 vcc, s45, v8
	v_cndmask_b32_e32 v1, v1, v9, vcc
	v_subrev_u32_e32 v9, s45, v8
	v_cndmask_b32_e32 v8, v8, v9, vcc
	v_add_u32_e32 v9, 1, v1
	v_cmp_le_u32_e32 vcc, s45, v8
	v_cndmask_b32_e32 v1, v1, v9, vcc
	v_mul_lo_u32 v8, v1, s45
	v_sub_u32_e32 v7, v7, v8
	v_mad_u64_u32 v[6:7], s[46:47], s46, v7, v[6:7]
	s_cbranch_scc1 .LBB57_11
.LBB57_12:                              ;   in Loop: Header=BB57_3 Depth=1
	s_waitcnt lgkmcnt(0)
	v_mad_u64_u32 v[6:7], s[8:9], s61, v1, v[6:7]
	v_mov_b32_e32 v7, v3
.LBB57_13:                              ;   in Loop: Header=BB57_3 Depth=1
	s_or_b64 exec, exec, s[6:7]
	v_cmp_lt_i32_e64 s[6:7], 2, v25
	v_pk_mov_b32 v[10:11], 0, 0
	s_and_saveexec_b64 s[8:9], s[6:7]
	s_cbranch_execz .LBB57_18
; %bb.14:                               ;   in Loop: Header=BB57_3 Depth=1
	v_or_b32_e32 v1, 2, v24
	s_and_b64 vcc, exec, s[0:1]
	v_mov_b32_e32 v8, 0
	s_cbranch_vccnz .LBB57_17
; %bb.15:                               ;   in Loop: Header=BB57_3 Depth=1
	v_mov_b32_e32 v8, 0
	s_mov_b64 s[44:45], s[24:25]
	s_mov_b32 s46, s64
.LBB57_16:                              ;   Parent Loop BB57_3 Depth=1
                                        ; =>  This Inner Loop Header: Depth=2
	s_load_dword s47, s[44:45], 0x0
	s_load_dword s48, s[44:45], 0x64
	v_mov_b32_e32 v9, v1
	s_add_i32 s46, s46, -1
	s_waitcnt lgkmcnt(0)
	v_cvt_f32_u32_e32 v1, s47
	s_sub_i32 s49, 0, s47
	s_add_u32 s44, s44, -4
	s_addc_u32 s45, s45, -1
	v_rcp_iflag_f32_e32 v1, v1
	s_cmp_gt_u32 s46, 2
	v_mul_f32_e32 v1, 0x4f7ffffe, v1
	v_cvt_u32_f32_e32 v1, v1
	v_mul_lo_u32 v10, s49, v1
	v_mul_hi_u32 v10, v1, v10
	v_add_u32_e32 v1, v1, v10
	v_mul_hi_u32 v1, v9, v1
	v_mul_lo_u32 v10, v1, s47
	v_sub_u32_e32 v10, v9, v10
	v_add_u32_e32 v11, 1, v1
	v_cmp_le_u32_e32 vcc, s47, v10
	v_cndmask_b32_e32 v1, v1, v11, vcc
	v_subrev_u32_e32 v11, s47, v10
	v_cndmask_b32_e32 v10, v10, v11, vcc
	v_add_u32_e32 v11, 1, v1
	v_cmp_le_u32_e32 vcc, s47, v10
	v_cndmask_b32_e32 v1, v1, v11, vcc
	v_mul_lo_u32 v10, v1, s47
	v_sub_u32_e32 v9, v9, v10
	v_mad_u64_u32 v[8:9], s[48:49], s48, v9, v[8:9]
	s_cbranch_scc1 .LBB57_16
.LBB57_17:                              ;   in Loop: Header=BB57_3 Depth=1
	s_waitcnt lgkmcnt(0)
	v_mad_u64_u32 v[10:11], s[44:45], s61, v1, v[8:9]
	v_mov_b32_e32 v11, v3
.LBB57_18:                              ;   in Loop: Header=BB57_3 Depth=1
	s_or_b64 exec, exec, s[8:9]
	v_mul_lo_u32 v1, v24, s60
	v_add_u32_e32 v26, s60, v1
	v_pk_mov_b32 v[12:13], 0, 0
	v_add_u32_e32 v28, s60, v26
	v_cmp_lt_i32_e32 vcc, 3, v25
	v_pk_mov_b32 v[8:9], v[12:13], v[12:13] op_sel:[0,1]
	s_and_saveexec_b64 s[8:9], vcc
	s_cbranch_execz .LBB57_23
; %bb.19:                               ;   in Loop: Header=BB57_3 Depth=1
	v_or_b32_e32 v14, 3, v24
	s_and_b64 vcc, exec, s[0:1]
	v_mov_b32_e32 v12, 0
	s_cbranch_vccnz .LBB57_22
; %bb.20:                               ;   in Loop: Header=BB57_3 Depth=1
	v_mov_b32_e32 v12, 0
	s_mov_b64 s[44:45], s[24:25]
	s_mov_b32 s46, s64
.LBB57_21:                              ;   Parent Loop BB57_3 Depth=1
                                        ; =>  This Inner Loop Header: Depth=2
	s_load_dword s47, s[44:45], 0x0
	s_load_dword s48, s[44:45], 0x64
	v_mov_b32_e32 v8, v14
	s_add_i32 s46, s46, -1
	s_waitcnt lgkmcnt(0)
	v_cvt_f32_u32_e32 v9, s47
	s_sub_i32 s49, 0, s47
	s_add_u32 s44, s44, -4
	s_addc_u32 s45, s45, -1
	v_rcp_iflag_f32_e32 v9, v9
	s_cmp_gt_u32 s46, 2
	v_mul_f32_e32 v9, 0x4f7ffffe, v9
	v_cvt_u32_f32_e32 v9, v9
	v_mul_lo_u32 v13, s49, v9
	v_mul_hi_u32 v13, v9, v13
	v_add_u32_e32 v9, v9, v13
	v_mul_hi_u32 v9, v8, v9
	v_mul_lo_u32 v13, v9, s47
	v_sub_u32_e32 v13, v8, v13
	v_add_u32_e32 v14, 1, v9
	v_cmp_le_u32_e32 vcc, s47, v13
	v_cndmask_b32_e32 v9, v9, v14, vcc
	v_subrev_u32_e32 v14, s47, v13
	v_cndmask_b32_e32 v13, v13, v14, vcc
	v_add_u32_e32 v14, 1, v9
	v_cmp_le_u32_e32 vcc, s47, v13
	v_cndmask_b32_e32 v14, v9, v14, vcc
	v_mul_lo_u32 v9, v14, s47
	v_sub_u32_e32 v8, v8, v9
	v_mad_u64_u32 v[12:13], s[48:49], s48, v8, v[12:13]
	s_cbranch_scc1 .LBB57_21
.LBB57_22:                              ;   in Loop: Header=BB57_3 Depth=1
	s_waitcnt lgkmcnt(0)
	v_mad_u64_u32 v[12:13], s[44:45], s61, v14, v[12:13]
	v_add_u32_e32 v8, s60, v28
	v_mov_b32_e32 v9, v3
	v_mov_b32_e32 v13, v3
.LBB57_23:                              ;   in Loop: Header=BB57_3 Depth=1
	s_or_b64 exec, exec, s[8:9]
	v_lshlrev_b64 v[14:15], 2, v[2:3]
	s_waitcnt lgkmcnt(0)
	v_mov_b32_e32 v2, s19
	v_add_co_u32_e32 v14, vcc, s18, v14
	v_addc_co_u32_e32 v15, vcc, v2, v15, vcc
	v_lshlrev_b64 v[6:7], 2, v[6:7]
	v_add_co_u32_e32 v6, vcc, s18, v6
	v_addc_co_u32_e32 v7, vcc, v2, v7, vcc
	v_lshlrev_b64 v[10:11], 2, v[10:11]
	;; [unrolled: 3-line block ×3, first 2 shown]
	v_add_co_u32_e32 v12, vcc, s18, v12
	v_addc_co_u32_e32 v13, vcc, v2, v13, vcc
	global_load_dword v27, v[14:15], off
	global_load_dword v29, v[6:7], off
	;; [unrolled: 1-line block ×4, first 2 shown]
	s_andn2_b64 vcc, exec, s[22:23]
	v_pk_mov_b32 v[6:7], s[14:15], s[14:15] op_sel:[0,1]
	v_pk_mov_b32 v[10:11], s[12:13], s[12:13] op_sel:[0,1]
	s_cbranch_vccnz .LBB57_25
; %bb.24:                               ;   in Loop: Header=BB57_3 Depth=1
	v_pk_mov_b32 v[6:7], s[14:15], s[14:15] op_sel:[0,1]
	flat_load_dwordx2 v[6:7], v[6:7]
	v_pk_mov_b32 v[10:11], s[12:13], s[12:13] op_sel:[0,1]
	flat_load_dwordx2 v[10:11], v[10:11]
	v_mov_b32_e32 v12, s17
	s_waitcnt vmcnt(0) lgkmcnt(0)
	v_add_co_u32_e32 v6, vcc, s16, v6
	v_addc_co_u32_e32 v7, vcc, v7, v12, vcc
.LBB57_25:                              ;   in Loop: Header=BB57_3 Depth=1
	v_alignbit_b32 v20, v7, v6, 2
	v_lshrrev_b32_e32 v21, 2, v7
	v_xor_b32_e32 v12, v4, v10
	v_and_b32_e32 v31, 3, v6
	v_mad_u64_u32 v[6:7], s[8:9], v20, s65, 0
	v_xor_b32_e32 v12, v12, v21
	v_xor_b32_e32 v7, v7, v11
	v_add_u32_e32 v36, 0xbb67ae85, v11
	v_mad_u64_u32 v[12:13], s[8:9], v12, s65, 0
	v_mad_u64_u32 v[14:15], s[8:9], v7, s62, 0
	v_xor_b32_e32 v13, v36, v13
	v_add_u32_e32 v35, 0x9e3779b9, v10
	v_xor_b32_e32 v7, v0, v15
	v_xor_b32_e32 v13, v13, v6
	v_xor_b32_e32 v7, v7, v35
	v_add_u32_e32 v37, 0x3c6ef372, v10
	v_mad_u64_u32 v[16:17], s[8:9], v13, s62, 0
	v_add_u32_e32 v38, 0x76cf5d0a, v11
	v_mad_u64_u32 v[6:7], s[8:9], v7, s65, 0
	v_xor_b32_e32 v13, v37, v17
	v_xor_b32_e32 v13, v13, v14
	v_xor_b32_e32 v7, v38, v7
	v_xor_b32_e32 v7, v7, v12
	v_add_u32_e32 v40, 0x32370b8f, v11
	v_mad_u64_u32 v[12:13], s[8:9], v13, s65, 0
	v_add_u32_e32 v39, 0xdaa66d2b, v10
	v_mad_u64_u32 v[14:15], s[8:9], v7, s62, 0
	v_xor_b32_e32 v13, v40, v13
	;; [unrolled: 8-line block ×5, first 2 shown]
	v_xor_b32_e32 v13, v13, v14
	v_xor_b32_e32 v7, v46, v7
	;; [unrolled: 1-line block ×3, first 2 shown]
	v_add_u32_e32 v48, 0x1fd5c5a3, v11
	v_mad_u64_u32 v[12:13], s[8:9], v13, s65, 0
	v_xor_b32_e32 v13, v48, v13
	v_xor_b32_e32 v6, v13, v6
	v_add_u32_e32 v47, 0x5384540f, v10
	v_mad_u64_u32 v[18:19], s[8:9], v7, s62, 0
	v_add_co_u32_e32 v33, vcc, s66, v10
	v_mad_u64_u32 v[14:15], s[8:9], v6, s62, 0
	v_xor_b32_e32 v7, v47, v19
	v_xor_b32_e32 v6, v33, v15
	;; [unrolled: 1-line block ×4, first 2 shown]
	v_mad_u64_u32 v[16:17], s[8:9], v7, s65, 0
	v_mad_u64_u32 v[6:7], s[8:9], v6, s65, 0
	v_add_u32_e32 v34, 0x96a522ad, v11
	v_xor_b32_e32 v7, v7, v16
	v_xor_b32_e32 v32, v34, v7
	v_add_co_u32_e32 v7, vcc, 1, v20
	v_cndmask_b32_e64 v16, 0, 1, vcc
	v_addc_co_u32_e32 v22, vcc, 0, v21, vcc
	v_cmp_eq_u32_e32 vcc, 0, v22
	v_cndmask_b32_e32 v16, 0, v16, vcc
	v_add_u32_e32 v20, v16, v5
	v_cmp_eq_u32_e32 vcc, 0, v20
	v_mad_u64_u32 v[18:19], s[8:9], v7, s65, 0
	v_mad_u64_u32 v[20:21], s[8:9], v20, s62, 0
	v_add_u32_e32 v15, 0x8ff34781, v10
	v_cndmask_b32_e32 v16, 0, v16, vcc
	v_xor_b32_e32 v7, v21, v10
	v_xor_b32_e32 v10, v19, v11
	;; [unrolled: 1-line block ×4, first 2 shown]
	v_mad_u64_u32 v[22:23], s[8:9], v16, s62, 0
	v_add_u32_e32 v13, 0xdb3d7428, v11
	v_mad_u64_u32 v[10:11], s[8:9], v7, s65, 0
	v_xor_b32_e32 v7, v35, v23
	v_xor_b32_e32 v7, v7, v20
	v_xor_b32_e32 v11, v36, v11
	v_xor_b32_e32 v11, v11, v18
	v_mad_u64_u32 v[18:19], s[8:9], v7, s65, 0
	v_mad_u64_u32 v[20:21], s[8:9], v11, s62, 0
	v_xor_b32_e32 v11, v38, v19
	v_xor_b32_e32 v7, v37, v21
	v_xor_b32_e32 v16, v11, v10
	v_xor_b32_e32 v7, v7, v22
	v_mad_u64_u32 v[22:23], s[8:9], v16, s62, 0
	;; [unrolled: 6-line block ×7, first 2 shown]
	v_xor_b32_e32 v7, v13, v21
	v_xor_b32_e32 v7, v7, v10
	v_mad_u64_u32 v[22:23], s[8:9], v11, s62, 0
	v_mad_u64_u32 v[10:11], s[8:9], v7, s62, 0
	v_xor_b32_e32 v7, v11, v22
	v_xor_b32_e32 v7, v15, v7
	v_cmp_lt_i32_e32 vcc, 1, v31
                                        ; implicit-def: $vgpr19
	s_and_saveexec_b64 s[8:9], vcc
	s_xor_b64 s[8:9], exec, s[8:9]
	s_cbranch_execz .LBB57_31
; %bb.26:                               ;   in Loop: Header=BB57_3 Depth=1
	v_cmp_lt_i32_e32 vcc, 2, v31
                                        ; implicit-def: $vgpr19
	s_and_saveexec_b64 s[44:45], vcc
	s_xor_b64 s[44:45], exec, s[44:45]
; %bb.27:                               ;   in Loop: Header=BB57_3 Depth=1
	v_xor_b32_e32 v11, v33, v23
	v_xor_b32_e32 v11, v11, v18
	v_mul_hi_u32 v11, v11, s65
	v_xor_b32_e32 v11, v11, v20
	v_xor_b32_e32 v19, v34, v11
                                        ; implicit-def: $vgpr32
; %bb.28:                               ;   in Loop: Header=BB57_3 Depth=1
	s_andn2_saveexec_b64 s[44:45], s[44:45]
; %bb.29:                               ;   in Loop: Header=BB57_3 Depth=1
	v_mov_b32_e32 v19, v10
	v_mov_b32_e32 v10, v7
	;; [unrolled: 1-line block ×4, first 2 shown]
; %bb.30:                               ;   in Loop: Header=BB57_3 Depth=1
	s_or_b64 exec, exec, s[44:45]
                                        ; implicit-def: $vgpr12_vgpr13
                                        ; implicit-def: $vgpr14_vgpr15
                                        ; implicit-def: $vgpr31
                                        ; implicit-def: $vgpr32
                                        ; implicit-def: $vgpr16_vgpr17
                                        ; implicit-def: $vgpr13
                                        ; implicit-def: $vgpr15
.LBB57_31:                              ;   in Loop: Header=BB57_3 Depth=1
	s_andn2_saveexec_b64 s[8:9], s[8:9]
	s_cbranch_execz .LBB57_35
; %bb.32:                               ;   in Loop: Header=BB57_3 Depth=1
	v_xor_b32_e32 v10, v13, v17
	v_xor_b32_e32 v10, v10, v12
	v_mad_u64_u32 v[12:13], s[44:45], v10, s62, 0
	v_xor_b32_e32 v10, v13, v14
	v_xor_b32_e32 v11, v15, v10
	v_cmp_eq_u32_e32 vcc, 1, v31
	v_mov_b32_e32 v19, v6
	v_mov_b32_e32 v10, v32
	;; [unrolled: 1-line block ×3, first 2 shown]
	s_and_saveexec_b64 s[44:45], vcc
; %bb.33:                               ;   in Loop: Header=BB57_3 Depth=1
	v_mov_b32_e32 v19, v7
	v_mov_b32_e32 v10, v6
	;; [unrolled: 1-line block ×4, first 2 shown]
; %bb.34:                               ;   in Loop: Header=BB57_3 Depth=1
	s_or_b64 exec, exec, s[44:45]
	v_mov_b32_e32 v6, v11
	v_mov_b32_e32 v7, v13
.LBB57_35:                              ;   in Loop: Header=BB57_3 Depth=1
	s_or_b64 exec, exec, s[8:9]
	v_min_i32_e32 v11, 4, v25
	v_cmp_lt_i32_e32 vcc, 2, v11
	s_mov_b64 s[44:45], 0
	s_mov_b64 s[54:55], 0
	;; [unrolled: 1-line block ×3, first 2 shown]
                                        ; implicit-def: $sgpr46_sgpr47
                                        ; implicit-def: $sgpr48_sgpr49
                                        ; implicit-def: $sgpr50_sgpr51
	s_and_saveexec_b64 s[52:53], vcc
	s_xor_b64 s[52:53], exec, s[52:53]
	s_cbranch_execz .LBB57_47
; %bb.36:                               ;   in Loop: Header=BB57_3 Depth=1
	v_cmp_lt_i32_e32 vcc, 3, v11
	s_mov_b64 s[8:9], -1
	s_mov_b64 s[58:59], 0
                                        ; implicit-def: $sgpr46_sgpr47
                                        ; implicit-def: $sgpr56_sgpr57
	s_and_saveexec_b64 s[48:49], vcc
	s_cbranch_execz .LBB57_42
; %bb.37:                               ;   in Loop: Header=BB57_3 Depth=1
	v_cmp_eq_u32_e32 vcc, 4, v11
	s_mov_b64 s[8:9], 0
	s_mov_b64 s[58:59], -1
                                        ; implicit-def: $sgpr46_sgpr47
                                        ; implicit-def: $sgpr56_sgpr57
	s_and_saveexec_b64 s[50:51], vcc
	s_cbranch_execz .LBB57_41
; %bb.38:                               ;   in Loop: Header=BB57_3 Depth=1
	s_waitcnt vmcnt(0)
	v_cmp_le_f32_e32 vcc, 0, v2
	v_cmp_ge_f32_e64 s[8:9], 1.0, v2
	s_and_b64 s[58:59], vcc, s[8:9]
	s_mov_b64 s[46:47], 0
	s_mov_b64 s[8:9], 0
	s_and_saveexec_b64 s[56:57], s[58:59]
	s_cbranch_execz .LBB57_40
; %bb.39:                               ;   in Loop: Header=BB57_3 Depth=1
	v_cvt_f32_u32_e32 v12, v19
	v_mov_b32_e32 v13, 0x2f800000
	v_lshlrev_b64 v[8:9], 1, v[8:9]
	v_add_co_u32_e32 v8, vcc, s10, v8
	v_fmac_f32_e32 v13, 0x2f800000, v12
	v_mov_b32_e32 v12, s11
	v_addc_co_u32_e32 v9, vcc, v12, v9, vcc
	v_cmp_le_f32_e32 vcc, v13, v2
	s_mov_b64 s[8:9], exec
	v_cndmask_b32_e64 v2, 0, 1, vcc
	global_store_short v[8:9], v2, off
.LBB57_40:                              ;   in Loop: Header=BB57_3 Depth=1
	s_or_b64 exec, exec, s[56:57]
	s_mov_b64 s[56:57], -1
	s_xor_b64 s[58:59], exec, -1
	s_and_b64 s[8:9], s[8:9], exec
.LBB57_41:                              ;   in Loop: Header=BB57_3 Depth=1
	s_or_b64 exec, exec, s[50:51]
	s_and_b64 s[58:59], s[58:59], exec
	s_orn2_b64 s[8:9], s[8:9], exec
.LBB57_42:                              ;   in Loop: Header=BB57_3 Depth=1
	s_or_b64 exec, exec, s[48:49]
	s_mov_b64 s[50:51], s[46:47]
	s_and_saveexec_b64 s[48:49], s[8:9]
	s_cbranch_execz .LBB57_46
; %bb.43:                               ;   in Loop: Header=BB57_3 Depth=1
	s_waitcnt vmcnt(1)
	v_cmp_le_f32_e32 vcc, 0, v30
	v_cmp_ge_f32_e64 s[8:9], 1.0, v30
	s_and_b64 s[50:51], vcc, s[8:9]
	s_mov_b64 s[8:9], 0
	s_and_saveexec_b64 s[54:55], s[50:51]
	s_xor_b64 s[50:51], exec, s[54:55]
	s_cbranch_execz .LBB57_45
; %bb.44:                               ;   in Loop: Header=BB57_3 Depth=1
	v_cvt_f32_u32_e32 v8, v10
	v_mov_b32_e32 v10, 0x2f800000
	s_waitcnt vmcnt(0)
	v_cndmask_b32_e64 v2, 0, v28, s[6:7]
	s_mov_b64 s[8:9], exec
	v_fmac_f32_e32 v10, 0x2f800000, v8
	v_lshlrev_b64 v[8:9], 1, v[2:3]
	v_mov_b32_e32 v2, s11
	v_add_co_u32_e32 v8, vcc, s10, v8
	v_addc_co_u32_e32 v9, vcc, v2, v9, vcc
	v_cmp_le_f32_e32 vcc, v10, v30
	v_cndmask_b32_e64 v2, 0, 1, vcc
	global_store_short v[8:9], v2, off
.LBB57_45:                              ;   in Loop: Header=BB57_3 Depth=1
	s_or_b64 exec, exec, s[50:51]
	s_andn2_b64 s[50:51], s[46:47], exec
	s_or_b64 s[46:47], s[46:47], exec
	s_andn2_b64 s[56:57], s[56:57], exec
	s_and_b64 s[54:55], s[8:9], exec
.LBB57_46:                              ;   in Loop: Header=BB57_3 Depth=1
	s_or_b64 exec, exec, s[48:49]
	s_and_b64 s[50:51], s[50:51], exec
	s_and_b64 s[48:49], s[46:47], exec
	;; [unrolled: 1-line block ×5, first 2 shown]
.LBB57_47:                              ;   in Loop: Header=BB57_3 Depth=1
	s_andn2_saveexec_b64 s[6:7], s[52:53]
; %bb.48:                               ;   in Loop: Header=BB57_3 Depth=1
	v_cmp_lt_i32_e32 vcc, 1, v11
	s_andn2_b64 s[52:53], s[54:55], exec
	s_and_b64 s[54:55], vcc, exec
	s_mov_b64 s[44:45], exec
	s_andn2_b64 s[50:51], s[50:51], exec
	s_andn2_b64 s[48:49], s[48:49], exec
	;; [unrolled: 1-line block ×3, first 2 shown]
	s_or_b64 s[54:55], s[52:53], s[54:55]
; %bb.49:                               ;   in Loop: Header=BB57_3 Depth=1
	s_or_b64 exec, exec, s[6:7]
	s_mov_b64 s[52:53], 0
	s_mov_b64 s[6:7], s[50:51]
	s_and_saveexec_b64 s[56:57], s[54:55]
	s_cbranch_execnz .LBB57_52
; %bb.50:                               ;   in Loop: Header=BB57_3 Depth=1
	s_or_b64 exec, exec, s[56:57]
	s_and_saveexec_b64 s[4:5], s[44:45]
	s_cbranch_execnz .LBB57_55
.LBB57_51:                              ;   in Loop: Header=BB57_3 Depth=1
	s_or_b64 exec, exec, s[4:5]
	s_and_saveexec_b64 s[44:45], s[52:53]
	s_cbranch_execnz .LBB57_56
	s_branch .LBB57_59
.LBB57_52:                              ;   in Loop: Header=BB57_3 Depth=1
	s_waitcnt vmcnt(2)
	v_cmp_le_f32_e32 vcc, 0, v29
	v_cmp_ge_f32_e64 s[6:7], 1.0, v29
	s_and_b64 s[6:7], vcc, s[6:7]
	s_and_saveexec_b64 s[54:55], s[6:7]
	s_xor_b64 s[6:7], exec, s[54:55]
	s_cbranch_execz .LBB57_54
; %bb.53:                               ;   in Loop: Header=BB57_3 Depth=1
	v_cvt_f32_u32_e32 v7, v7
	s_waitcnt vmcnt(0)
	v_cndmask_b32_e64 v2, 0, v26, s[4:5]
	v_lshlrev_b64 v[8:9], 1, v[2:3]
	v_mov_b32_e32 v10, 0x2f800000
	v_mov_b32_e32 v2, s11
	v_add_co_u32_e32 v8, vcc, s10, v8
	v_fmac_f32_e32 v10, 0x2f800000, v7
	v_addc_co_u32_e32 v9, vcc, v2, v9, vcc
	v_cmp_le_f32_e32 vcc, v10, v29
	v_cndmask_b32_e64 v2, 0, 1, vcc
	s_mov_b64 s[52:53], exec
	global_store_short v[8:9], v2, off
.LBB57_54:                              ;   in Loop: Header=BB57_3 Depth=1
	s_or_b64 exec, exec, s[6:7]
	s_andn2_b64 s[6:7], s[50:51], exec
	s_or_b64 s[50:51], s[50:51], exec
	s_andn2_b64 s[48:49], s[48:49], exec
	s_andn2_b64 s[46:47], s[46:47], exec
	s_and_b64 s[52:53], s[52:53], exec
	s_andn2_b64 s[44:45], s[44:45], exec
	s_or_b64 exec, exec, s[56:57]
	s_and_saveexec_b64 s[4:5], s[44:45]
	s_cbranch_execz .LBB57_51
.LBB57_55:                              ;   in Loop: Header=BB57_3 Depth=1
	v_cmp_eq_u32_e32 vcc, 1, v11
	s_andn2_b64 s[44:45], s[52:53], exec
	s_and_b64 s[52:53], vcc, exec
	s_andn2_b64 s[6:7], s[6:7], exec
	s_andn2_b64 s[50:51], s[50:51], exec
	s_andn2_b64 s[48:49], s[48:49], exec
	s_andn2_b64 s[46:47], s[46:47], exec
	s_or_b64 s[8:9], s[8:9], exec
	s_or_b64 s[52:53], s[44:45], s[52:53]
	s_or_b64 exec, exec, s[4:5]
	s_and_saveexec_b64 s[44:45], s[52:53]
	s_cbranch_execz .LBB57_59
.LBB57_56:                              ;   in Loop: Header=BB57_3 Depth=1
	s_waitcnt vmcnt(3)
	v_cmp_le_f32_e32 vcc, 0, v27
	v_cmp_ge_f32_e64 s[4:5], 1.0, v27
	s_and_b64 s[54:55], vcc, s[4:5]
	s_mov_b64 s[4:5], 0
	s_and_saveexec_b64 s[52:53], s[54:55]
	s_cbranch_execz .LBB57_58
; %bb.57:                               ;   in Loop: Header=BB57_3 Depth=1
	v_cvt_f32_u32_e32 v6, v6
	v_mov_b32_e32 v8, 0x2f800000
	s_waitcnt vmcnt(0)
	v_cndmask_b32_e64 v2, 0, v1, s[2:3]
	v_mov_b32_e32 v1, s11
	v_fmac_f32_e32 v8, 0x2f800000, v6
	v_lshlrev_b64 v[6:7], 1, v[2:3]
	v_add_co_u32_e32 v6, vcc, s10, v6
	v_addc_co_u32_e32 v7, vcc, v1, v7, vcc
	v_cmp_le_f32_e32 vcc, v8, v27
	s_mov_b64 s[4:5], exec
	v_cndmask_b32_e64 v1, 0, 1, vcc
	global_store_short v[6:7], v1, off
.LBB57_58:                              ;   in Loop: Header=BB57_3 Depth=1
	s_or_b64 exec, exec, s[52:53]
	s_andn2_b64 s[2:3], s[8:9], exec
	s_and_b64 s[4:5], s[4:5], exec
	s_or_b64 s[6:7], s[6:7], exec
	s_andn2_b64 s[50:51], s[50:51], exec
	s_andn2_b64 s[48:49], s[48:49], exec
	;; [unrolled: 1-line block ×3, first 2 shown]
	s_or_b64 s[8:9], s[2:3], s[4:5]
.LBB57_59:                              ;   in Loop: Header=BB57_3 Depth=1
	s_or_b64 exec, exec, s[44:45]
	s_andn2_b64 s[4:5], s[42:43], exec
	s_and_b64 s[6:7], s[6:7], exec
	s_or_b64 s[42:43], s[4:5], s[6:7]
	s_andn2_b64 s[4:5], s[40:41], exec
	s_and_b64 s[6:7], s[50:51], exec
	s_or_b64 s[40:41], s[4:5], s[6:7]
	;; [unrolled: 3-line block ×3, first 2 shown]
	s_andn2_b64 s[4:5], s[36:37], exec
	s_and_b64 s[6:7], s[46:47], exec
	s_mov_b64 s[2:3], -1
	s_or_b64 s[36:37], s[4:5], s[6:7]
	s_and_saveexec_b64 s[4:5], s[8:9]
	s_cbranch_execz .LBB57_2
; %bb.60:                               ;   in Loop: Header=BB57_3 Depth=1
	v_add_u32_e32 v24, s63, v24
	v_cmp_le_u32_e32 vcc, s33, v24
	s_andn2_b64 s[42:43], s[42:43], exec
	s_andn2_b64 s[40:41], s[40:41], exec
	s_andn2_b64 s[38:39], s[38:39], exec
	s_andn2_b64 s[36:37], s[36:37], exec
	s_orn2_b64 s[2:3], vcc, exec
	s_branch .LBB57_2
.LBB57_61:
	s_or_b64 exec, exec, s[26:27]
	s_xor_b64 s[6:7], s[34:35], -1
	s_xor_b64 s[8:9], s[30:31], -1
	;; [unrolled: 1-line block ×3, first 2 shown]
	s_mov_b64 s[2:3], 0
	s_and_saveexec_b64 s[4:5], s[0:1]
	s_xor_b64 s[0:1], exec, s[4:5]
	s_cbranch_execnz .LBB57_66
; %bb.62:
	s_andn2_saveexec_b64 s[0:1], s[0:1]
	s_cbranch_execnz .LBB57_74
.LBB57_63:
	s_or_b64 exec, exec, s[0:1]
	s_and_b64 exec, exec, s[2:3]
.LBB57_64:
	; divergent unreachable
.LBB57_65:
	s_endpgm
.LBB57_66:
	s_mov_b64 s[4:5], 0
	s_and_saveexec_b64 s[2:3], s[8:9]
	s_xor_b64 s[2:3], exec, s[2:3]
	s_cbranch_execz .LBB57_72
; %bb.67:
	s_and_saveexec_b64 s[8:9], s[6:7]
	s_xor_b64 s[6:7], exec, s[8:9]
	s_cbranch_execz .LBB57_70
; %bb.68:
	s_and_saveexec_b64 s[8:9], s[20:21]
	s_xor_b64 s[8:9], exec, s[8:9]
	s_cbranch_execnz .LBB57_77
.LBB57_69:
	s_or_b64 exec, exec, s[8:9]
	s_and_b64 s[4:5], s[4:5], exec
.LBB57_70:
	s_andn2_saveexec_b64 s[6:7], s[6:7]
	s_cbranch_execnz .LBB57_76
.LBB57_71:
	s_or_b64 exec, exec, s[6:7]
	s_and_b64 s[4:5], s[4:5], exec
.LBB57_72:
	s_andn2_saveexec_b64 s[2:3], s[2:3]
	s_cbranch_execnz .LBB57_75
.LBB57_73:
	s_or_b64 exec, exec, s[2:3]
	s_and_b64 s[2:3], s[4:5], exec
	s_andn2_saveexec_b64 s[0:1], s[0:1]
	s_cbranch_execz .LBB57_63
.LBB57_74:
	s_or_b64 s[2:3], s[2:3], exec
	s_trap 2
	s_or_b64 exec, exec, s[0:1]
	s_and_b64 exec, exec, s[2:3]
	s_cbranch_execnz .LBB57_64
	s_branch .LBB57_65
.LBB57_75:
	s_or_b64 s[4:5], s[4:5], exec
	s_trap 2
	s_branch .LBB57_73
.LBB57_76:
	s_trap 2
	s_or_b64 s[4:5], s[4:5], exec
	s_branch .LBB57_71
.LBB57_77:
	s_mov_b64 s[4:5], exec
	s_trap 2
	s_branch .LBB57_69
	.section	.rodata,"a",@progbits
	.p2align	6, 0x0
	.amdhsa_kernel _ZN2at4cuda12_GLOBAL__N_121kernelPointwiseApply2IZNS_6native9templates4cuda28bernoulli_tensor_cuda_kernelIsfEEvRKNS_10TensorBaseES9_NS_15PhiloxCudaStateEEUliRsSB_SB_SB_RKfSD_SD_SD_E_sSC_jLi1ELin1ELi4ELi512ELi2EEEvNS0_6detail10TensorInfoIT0_T2_EENSG_IT1_SI_EESI_T_
		.amdhsa_group_segment_fixed_size 0
		.amdhsa_private_segment_fixed_size 0
		.amdhsa_kernarg_size 728
		.amdhsa_user_sgpr_count 6
		.amdhsa_user_sgpr_private_segment_buffer 1
		.amdhsa_user_sgpr_dispatch_ptr 0
		.amdhsa_user_sgpr_queue_ptr 0
		.amdhsa_user_sgpr_kernarg_segment_ptr 1
		.amdhsa_user_sgpr_dispatch_id 0
		.amdhsa_user_sgpr_flat_scratch_init 0
		.amdhsa_user_sgpr_kernarg_preload_length 0
		.amdhsa_user_sgpr_kernarg_preload_offset 0
		.amdhsa_user_sgpr_private_segment_size 0
		.amdhsa_uses_dynamic_stack 0
		.amdhsa_system_sgpr_private_segment_wavefront_offset 0
		.amdhsa_system_sgpr_workgroup_id_x 1
		.amdhsa_system_sgpr_workgroup_id_y 0
		.amdhsa_system_sgpr_workgroup_id_z 0
		.amdhsa_system_sgpr_workgroup_info 0
		.amdhsa_system_vgpr_workitem_id 0
		.amdhsa_next_free_vgpr 49
		.amdhsa_next_free_sgpr 67
		.amdhsa_accum_offset 52
		.amdhsa_reserve_vcc 1
		.amdhsa_reserve_flat_scratch 0
		.amdhsa_float_round_mode_32 0
		.amdhsa_float_round_mode_16_64 0
		.amdhsa_float_denorm_mode_32 3
		.amdhsa_float_denorm_mode_16_64 3
		.amdhsa_dx10_clamp 1
		.amdhsa_ieee_mode 1
		.amdhsa_fp16_overflow 0
		.amdhsa_tg_split 0
		.amdhsa_exception_fp_ieee_invalid_op 0
		.amdhsa_exception_fp_denorm_src 0
		.amdhsa_exception_fp_ieee_div_zero 0
		.amdhsa_exception_fp_ieee_overflow 0
		.amdhsa_exception_fp_ieee_underflow 0
		.amdhsa_exception_fp_ieee_inexact 0
		.amdhsa_exception_int_div_zero 0
	.end_amdhsa_kernel
	.section	.text._ZN2at4cuda12_GLOBAL__N_121kernelPointwiseApply2IZNS_6native9templates4cuda28bernoulli_tensor_cuda_kernelIsfEEvRKNS_10TensorBaseES9_NS_15PhiloxCudaStateEEUliRsSB_SB_SB_RKfSD_SD_SD_E_sSC_jLi1ELin1ELi4ELi512ELi2EEEvNS0_6detail10TensorInfoIT0_T2_EENSG_IT1_SI_EESI_T_,"axG",@progbits,_ZN2at4cuda12_GLOBAL__N_121kernelPointwiseApply2IZNS_6native9templates4cuda28bernoulli_tensor_cuda_kernelIsfEEvRKNS_10TensorBaseES9_NS_15PhiloxCudaStateEEUliRsSB_SB_SB_RKfSD_SD_SD_E_sSC_jLi1ELin1ELi4ELi512ELi2EEEvNS0_6detail10TensorInfoIT0_T2_EENSG_IT1_SI_EESI_T_,comdat
.Lfunc_end57:
	.size	_ZN2at4cuda12_GLOBAL__N_121kernelPointwiseApply2IZNS_6native9templates4cuda28bernoulli_tensor_cuda_kernelIsfEEvRKNS_10TensorBaseES9_NS_15PhiloxCudaStateEEUliRsSB_SB_SB_RKfSD_SD_SD_E_sSC_jLi1ELin1ELi4ELi512ELi2EEEvNS0_6detail10TensorInfoIT0_T2_EENSG_IT1_SI_EESI_T_, .Lfunc_end57-_ZN2at4cuda12_GLOBAL__N_121kernelPointwiseApply2IZNS_6native9templates4cuda28bernoulli_tensor_cuda_kernelIsfEEvRKNS_10TensorBaseES9_NS_15PhiloxCudaStateEEUliRsSB_SB_SB_RKfSD_SD_SD_E_sSC_jLi1ELin1ELi4ELi512ELi2EEEvNS0_6detail10TensorInfoIT0_T2_EENSG_IT1_SI_EESI_T_
                                        ; -- End function
	.section	.AMDGPU.csdata,"",@progbits
; Kernel info:
; codeLenInByte = 3504
; NumSgprs: 71
; NumVgprs: 49
; NumAgprs: 0
; TotalNumVgprs: 49
; ScratchSize: 0
; MemoryBound: 0
; FloatMode: 240
; IeeeMode: 1
; LDSByteSize: 0 bytes/workgroup (compile time only)
; SGPRBlocks: 8
; VGPRBlocks: 6
; NumSGPRsForWavesPerEU: 71
; NumVGPRsForWavesPerEU: 49
; AccumOffset: 52
; Occupancy: 8
; WaveLimiterHint : 1
; COMPUTE_PGM_RSRC2:SCRATCH_EN: 0
; COMPUTE_PGM_RSRC2:USER_SGPR: 6
; COMPUTE_PGM_RSRC2:TRAP_HANDLER: 0
; COMPUTE_PGM_RSRC2:TGID_X_EN: 1
; COMPUTE_PGM_RSRC2:TGID_Y_EN: 0
; COMPUTE_PGM_RSRC2:TGID_Z_EN: 0
; COMPUTE_PGM_RSRC2:TIDIG_COMP_CNT: 0
; COMPUTE_PGM_RSRC3_GFX90A:ACCUM_OFFSET: 12
; COMPUTE_PGM_RSRC3_GFX90A:TG_SPLIT: 0
	.section	.text._ZN2at4cuda12_GLOBAL__N_121kernelPointwiseApply2IZNS_6native9templates4cuda28bernoulli_tensor_cuda_kernelIsfEEvRKNS_10TensorBaseES9_NS_15PhiloxCudaStateEEUliRsSB_SB_SB_RKfSD_SD_SD_E_sSC_jLi2ELi1ELi4ELi512ELi2EEEvNS0_6detail10TensorInfoIT0_T2_EENSG_IT1_SI_EESI_T_,"axG",@progbits,_ZN2at4cuda12_GLOBAL__N_121kernelPointwiseApply2IZNS_6native9templates4cuda28bernoulli_tensor_cuda_kernelIsfEEvRKNS_10TensorBaseES9_NS_15PhiloxCudaStateEEUliRsSB_SB_SB_RKfSD_SD_SD_E_sSC_jLi2ELi1ELi4ELi512ELi2EEEvNS0_6detail10TensorInfoIT0_T2_EENSG_IT1_SI_EESI_T_,comdat
	.globl	_ZN2at4cuda12_GLOBAL__N_121kernelPointwiseApply2IZNS_6native9templates4cuda28bernoulli_tensor_cuda_kernelIsfEEvRKNS_10TensorBaseES9_NS_15PhiloxCudaStateEEUliRsSB_SB_SB_RKfSD_SD_SD_E_sSC_jLi2ELi1ELi4ELi512ELi2EEEvNS0_6detail10TensorInfoIT0_T2_EENSG_IT1_SI_EESI_T_ ; -- Begin function _ZN2at4cuda12_GLOBAL__N_121kernelPointwiseApply2IZNS_6native9templates4cuda28bernoulli_tensor_cuda_kernelIsfEEvRKNS_10TensorBaseES9_NS_15PhiloxCudaStateEEUliRsSB_SB_SB_RKfSD_SD_SD_E_sSC_jLi2ELi1ELi4ELi512ELi2EEEvNS0_6detail10TensorInfoIT0_T2_EENSG_IT1_SI_EESI_T_
	.p2align	8
	.type	_ZN2at4cuda12_GLOBAL__N_121kernelPointwiseApply2IZNS_6native9templates4cuda28bernoulli_tensor_cuda_kernelIsfEEvRKNS_10TensorBaseES9_NS_15PhiloxCudaStateEEUliRsSB_SB_SB_RKfSD_SD_SD_E_sSC_jLi2ELi1ELi4ELi512ELi2EEEvNS0_6detail10TensorInfoIT0_T2_EENSG_IT1_SI_EESI_T_,@function
_ZN2at4cuda12_GLOBAL__N_121kernelPointwiseApply2IZNS_6native9templates4cuda28bernoulli_tensor_cuda_kernelIsfEEvRKNS_10TensorBaseES9_NS_15PhiloxCudaStateEEUliRsSB_SB_SB_RKfSD_SD_SD_E_sSC_jLi2ELi1ELi4ELi512ELi2EEEvNS0_6detail10TensorInfoIT0_T2_EENSG_IT1_SI_EESI_T_: ; @_ZN2at4cuda12_GLOBAL__N_121kernelPointwiseApply2IZNS_6native9templates4cuda28bernoulli_tensor_cuda_kernelIsfEEvRKNS_10TensorBaseES9_NS_15PhiloxCudaStateEEUliRsSB_SB_SB_RKfSD_SD_SD_E_sSC_jLi2ELi1ELi4ELi512ELi2EEEvNS0_6detail10TensorInfoIT0_T2_EENSG_IT1_SI_EESI_T_
; %bb.0:
	s_load_dword s2, s[4:5], 0x1e4
	s_load_dword s33, s[4:5], 0x1b0
	s_add_u32 s0, s4, 0x1d8
	s_addc_u32 s1, s5, 0
	s_waitcnt lgkmcnt(0)
	s_and_b32 s2, s2, 0xffff
	s_mul_i32 s6, s6, s2
	v_add_u32_e32 v1, s6, v0
	v_lshlrev_b32_e32 v0, 2, v1
	v_cmp_gt_u32_e32 vcc, s33, v0
	s_and_saveexec_b64 s[6:7], vcc
	s_cbranch_execz .LBB58_51
; %bb.1:
	s_load_dwordx2 s[12:13], s[4:5], 0x0
	s_load_dword s52, s[4:5], 0xc
	s_load_dwordx2 s[14:15], s[4:5], 0x6c
	s_load_dwordx2 s[16:17], s[4:5], 0xd8
	s_load_dword s3, s[0:1], 0x0
	s_load_dwordx2 s[18:19], s[4:5], 0x1c8
	s_load_dword s6, s[4:5], 0x1d0
	s_load_dword s7, s[4:5], 0x144
	s_load_dwordx4 s[8:11], s[4:5], 0x1b8
	s_waitcnt lgkmcnt(0)
	v_cvt_f32_u32_e32 v2, s52
	s_mov_b32 s53, 0xcd9e8d57
	s_bitcmp1_b32 s6, 0
	s_cselect_b64 s[22:23], -1, 0
	v_rcp_iflag_f32_e32 v4, v2
	v_mad_u64_u32 v[2:3], s[0:1], v1, s53, 0
	s_sub_i32 s56, 0, s52
	v_mul_f32_e32 v4, 0x4f7ffffe, v4
	v_cvt_u32_f32_e32 v4, v4
	v_mov_b32_e32 v6, v3
	s_mul_i32 s3, s3, s2
	s_lshl_b32 s55, s3, 2
	v_mul_lo_u32 v3, s56, v4
	v_mul_hi_u32 v3, v4, v3
	v_add_u32_e32 v3, v4, v3
	v_add_u32_e32 v4, 2, v0
	v_mul_lo_u32 v32, v0, s7
	v_mul_lo_u32 v34, s7, v4
	v_add_u32_e32 v4, 3, v0
	s_mov_b32 s54, 0
	v_mov_b32_e32 v5, 0
	v_sub_u32_e32 v7, s33, v0
	v_add_u32_e32 v33, s7, v32
	s_mul_i32 s57, s55, s7
	v_mul_lo_u32 v35, s7, v4
	s_mov_b64 s[24:25], 0
	s_mov_b32 s58, 0xd2511f53
	s_mov_b32 s59, 0xf1bbcdc8
                                        ; implicit-def: $sgpr26_sgpr27
                                        ; implicit-def: $sgpr28_sgpr29
                                        ; implicit-def: $sgpr30_sgpr31
                                        ; implicit-def: $sgpr20_sgpr21
                                        ; implicit-def: $sgpr34_sgpr35
                                        ; implicit-def: $sgpr36_sgpr37
                                        ; implicit-def: $sgpr38_sgpr39
                                        ; implicit-def: $sgpr40_sgpr41
	s_branch .LBB58_3
.LBB58_2:                               ;   in Loop: Header=BB58_3 Depth=1
	s_or_b64 exec, exec, s[2:3]
	s_and_b64 s[0:1], exec, s[0:1]
	s_or_b64 s[24:25], s[0:1], s[24:25]
	s_andn2_b64 s[0:1], s[20:21], exec
	s_and_b64 s[2:3], s[40:41], exec
	s_or_b64 s[20:21], s[0:1], s[2:3]
	s_andn2_b64 s[0:1], s[30:31], exec
	s_and_b64 s[2:3], s[38:39], exec
	;; [unrolled: 3-line block ×4, first 2 shown]
	s_or_b64 s[26:27], s[0:1], s[2:3]
	s_andn2_b64 exec, exec, s[24:25]
	s_cbranch_execz .LBB58_47
.LBB58_3:                               ; =>This Inner Loop Header: Depth=1
	v_pk_mov_b32 v[10:11], 0, 0
	v_cmp_lt_i32_e32 vcc, 0, v7
	v_pk_mov_b32 v[8:9], v[10:11], v[10:11] op_sel:[0,1]
	s_and_saveexec_b64 s[2:3], vcc
	s_cbranch_execz .LBB58_5
; %bb.4:                                ;   in Loop: Header=BB58_3 Depth=1
	s_waitcnt vmcnt(3)
	v_mul_hi_u32 v4, v3, v0
	v_not_b32_e32 v12, v4
	v_mad_u64_u32 v[8:9], s[0:1], s56, v4, v[0:1]
	v_add_u32_e32 v9, 1, v4
	v_cmp_le_u32_e64 s[0:1], s52, v8
	v_mad_u64_u32 v[12:13], s[4:5], s52, v12, v[0:1]
	v_cndmask_b32_e64 v4, v4, v9, s[0:1]
	v_cndmask_b32_e64 v8, v8, v12, s[0:1]
	v_add_u32_e32 v9, 1, v4
	v_cmp_le_u32_e64 s[0:1], s52, v8
	v_cndmask_b32_e64 v12, v4, v9, s[0:1]
	v_mad_u64_u32 v[8:9], s[0:1], s56, v12, v[0:1]
	v_mul_lo_u32 v4, v8, s15
	v_mad_u64_u32 v[8:9], s[0:1], v12, s14, v[4:5]
	v_mov_b32_e32 v9, v5
.LBB58_5:                               ;   in Loop: Header=BB58_3 Depth=1
	s_or_b64 exec, exec, s[2:3]
	v_cmp_lt_i32_e64 s[0:1], 1, v7
	s_and_saveexec_b64 s[4:5], s[0:1]
	s_cbranch_execz .LBB58_7
; %bb.6:                                ;   in Loop: Header=BB58_3 Depth=1
	s_waitcnt vmcnt(3)
	v_add_u32_e32 v4, 1, v0
	v_mul_hi_u32 v10, v4, v3
	v_mul_lo_u32 v11, v10, s52
	v_sub_u32_e32 v11, v4, v11
	v_add_u32_e32 v12, 1, v10
	v_cmp_le_u32_e64 s[2:3], s52, v11
	v_cndmask_b32_e64 v10, v10, v12, s[2:3]
	v_subrev_u32_e32 v12, s52, v11
	v_cndmask_b32_e64 v11, v11, v12, s[2:3]
	v_add_u32_e32 v12, 1, v10
	v_cmp_le_u32_e64 s[2:3], s52, v11
	v_cndmask_b32_e64 v10, v10, v12, s[2:3]
	v_mul_lo_u32 v11, v10, s52
	v_sub_u32_e32 v4, v4, v11
	v_mul_lo_u32 v4, v4, s15
	v_mad_u64_u32 v[10:11], s[2:3], v10, s14, v[4:5]
	v_mov_b32_e32 v11, v5
.LBB58_7:                               ;   in Loop: Header=BB58_3 Depth=1
	s_or_b64 exec, exec, s[4:5]
	v_pk_mov_b32 v[16:17], 0, 0
	v_cmp_lt_i32_e64 s[2:3], 2, v7
	v_pk_mov_b32 v[14:15], v[16:17], v[16:17] op_sel:[0,1]
	s_and_saveexec_b64 s[6:7], s[2:3]
	s_cbranch_execz .LBB58_9
; %bb.8:                                ;   in Loop: Header=BB58_3 Depth=1
	s_waitcnt vmcnt(3)
	v_add_u32_e32 v4, 2, v0
	v_mul_hi_u32 v12, v4, v3
	v_mul_lo_u32 v13, v12, s52
	v_sub_u32_e32 v13, v4, v13
	v_add_u32_e32 v14, 1, v12
	v_cmp_le_u32_e64 s[4:5], s52, v13
	v_cndmask_b32_e64 v12, v12, v14, s[4:5]
	v_subrev_u32_e32 v14, s52, v13
	v_cndmask_b32_e64 v13, v13, v14, s[4:5]
	v_add_u32_e32 v14, 1, v12
	v_cmp_le_u32_e64 s[4:5], s52, v13
	v_cndmask_b32_e64 v12, v12, v14, s[4:5]
	v_mul_lo_u32 v13, v12, s52
	v_sub_u32_e32 v4, v4, v13
	v_mul_lo_u32 v4, v4, s15
	v_mad_u64_u32 v[14:15], s[4:5], v12, s14, v[4:5]
	v_mov_b32_e32 v15, v5
.LBB58_9:                               ;   in Loop: Header=BB58_3 Depth=1
	s_or_b64 exec, exec, s[6:7]
	v_cmp_lt_i32_e64 s[4:5], 3, v7
	s_and_saveexec_b64 s[42:43], s[4:5]
	s_cbranch_execz .LBB58_11
; %bb.10:                               ;   in Loop: Header=BB58_3 Depth=1
	s_waitcnt vmcnt(3)
	v_add_u32_e32 v4, 3, v0
	v_mul_hi_u32 v12, v4, v3
	v_mul_lo_u32 v13, v12, s52
	v_sub_u32_e32 v13, v4, v13
	v_add_u32_e32 v16, 1, v12
	v_cmp_le_u32_e64 s[6:7], s52, v13
	v_cndmask_b32_e64 v12, v12, v16, s[6:7]
	v_subrev_u32_e32 v16, s52, v13
	v_cndmask_b32_e64 v13, v13, v16, s[6:7]
	v_add_u32_e32 v16, 1, v12
	v_cmp_le_u32_e64 s[6:7], s52, v13
	v_cndmask_b32_e64 v12, v12, v16, s[6:7]
	v_mul_lo_u32 v13, v12, s52
	v_sub_u32_e32 v4, v4, v13
	v_mul_lo_u32 v4, v4, s15
	v_mad_u64_u32 v[16:17], s[6:7], v12, s14, v[4:5]
	v_mov_b32_e32 v17, v5
.LBB58_11:                              ;   in Loop: Header=BB58_3 Depth=1
	s_or_b64 exec, exec, s[42:43]
	s_waitcnt vmcnt(3)
	v_add_u32_e32 v4, s54, v32
	v_cndmask_b32_e32 v4, 0, v4, vcc
	v_add_u32_e32 v18, s54, v33
	v_lshlrev_b64 v[12:13], 2, v[4:5]
	v_mov_b32_e32 v24, s17
	v_add_co_u32_e32 v12, vcc, s16, v12
	v_cndmask_b32_e64 v4, 0, v18, s[0:1]
	v_add_u32_e32 v20, s54, v34
	v_addc_co_u32_e32 v13, vcc, v24, v13, vcc
	v_lshlrev_b64 v[18:19], 2, v[4:5]
	v_add_co_u32_e32 v18, vcc, s16, v18
	v_cndmask_b32_e64 v4, 0, v20, s[2:3]
	v_add_u32_e32 v22, s54, v35
	v_addc_co_u32_e32 v19, vcc, v24, v19, vcc
	v_lshlrev_b64 v[20:21], 2, v[4:5]
	v_add_co_u32_e32 v20, vcc, s16, v20
	v_cndmask_b32_e64 v4, 0, v22, s[4:5]
	v_addc_co_u32_e32 v21, vcc, v24, v21, vcc
	v_lshlrev_b64 v[22:23], 2, v[4:5]
	v_add_co_u32_e32 v22, vcc, s16, v22
	v_addc_co_u32_e32 v23, vcc, v24, v23, vcc
	global_load_dword v4, v[12:13], off
	global_load_dword v36, v[18:19], off
	;; [unrolled: 1-line block ×4, first 2 shown]
	s_andn2_b64 vcc, exec, s[22:23]
	v_pk_mov_b32 v[12:13], s[10:11], s[10:11] op_sel:[0,1]
	v_pk_mov_b32 v[18:19], s[8:9], s[8:9] op_sel:[0,1]
	s_cbranch_vccnz .LBB58_13
; %bb.12:                               ;   in Loop: Header=BB58_3 Depth=1
	v_pk_mov_b32 v[12:13], s[10:11], s[10:11] op_sel:[0,1]
	flat_load_dwordx2 v[12:13], v[12:13]
	v_pk_mov_b32 v[18:19], s[8:9], s[8:9] op_sel:[0,1]
	flat_load_dwordx2 v[18:19], v[18:19]
	v_mov_b32_e32 v20, s19
	s_waitcnt vmcnt(0) lgkmcnt(0)
	v_add_co_u32_e32 v12, vcc, s18, v12
	v_addc_co_u32_e32 v13, vcc, v13, v20, vcc
.LBB58_13:                              ;   in Loop: Header=BB58_3 Depth=1
	v_alignbit_b32 v28, v13, v12, 2
	v_lshrrev_b32_e32 v29, 2, v13
	v_xor_b32_e32 v20, v6, v18
	v_and_b32_e32 v39, 3, v12
	v_mad_u64_u32 v[12:13], s[0:1], v28, s58, 0
	v_xor_b32_e32 v20, v20, v29
	v_xor_b32_e32 v13, v13, v19
	v_add_u32_e32 v44, 0xbb67ae85, v19
	v_mad_u64_u32 v[20:21], s[0:1], v20, s58, 0
	v_mad_u64_u32 v[22:23], s[0:1], v13, s53, 0
	v_xor_b32_e32 v21, v44, v21
	v_add_u32_e32 v43, 0x9e3779b9, v18
	v_xor_b32_e32 v13, v2, v23
	v_xor_b32_e32 v21, v21, v12
	v_xor_b32_e32 v13, v13, v43
	v_add_u32_e32 v45, 0x3c6ef372, v18
	v_mad_u64_u32 v[24:25], s[0:1], v21, s53, 0
	v_add_u32_e32 v46, 0x76cf5d0a, v19
	v_mad_u64_u32 v[12:13], s[0:1], v13, s58, 0
	v_xor_b32_e32 v21, v45, v25
	v_xor_b32_e32 v21, v21, v22
	v_xor_b32_e32 v13, v46, v13
	v_xor_b32_e32 v13, v13, v20
	v_add_u32_e32 v48, 0x32370b8f, v19
	v_mad_u64_u32 v[20:21], s[0:1], v21, s58, 0
	v_add_u32_e32 v47, 0xdaa66d2b, v18
	v_mad_u64_u32 v[22:23], s[0:1], v13, s53, 0
	v_xor_b32_e32 v21, v48, v21
	;; [unrolled: 8-line block ×5, first 2 shown]
	v_xor_b32_e32 v21, v21, v22
	v_xor_b32_e32 v13, v54, v13
	;; [unrolled: 1-line block ×3, first 2 shown]
	v_add_u32_e32 v56, 0x1fd5c5a3, v19
	v_mad_u64_u32 v[20:21], s[0:1], v21, s58, 0
	v_xor_b32_e32 v21, v56, v21
	v_xor_b32_e32 v12, v21, v12
	v_add_u32_e32 v55, 0x5384540f, v18
	v_mad_u64_u32 v[26:27], s[0:1], v13, s53, 0
	v_add_co_u32_e32 v41, vcc, s59, v18
	v_mad_u64_u32 v[22:23], s[0:1], v12, s53, 0
	v_xor_b32_e32 v13, v55, v27
	v_xor_b32_e32 v12, v41, v23
	;; [unrolled: 1-line block ×4, first 2 shown]
	v_mad_u64_u32 v[24:25], s[0:1], v13, s58, 0
	v_mad_u64_u32 v[12:13], s[0:1], v12, s58, 0
	v_add_u32_e32 v42, 0x96a522ad, v19
	v_xor_b32_e32 v13, v13, v24
	v_xor_b32_e32 v40, v42, v13
	v_add_co_u32_e32 v13, vcc, 1, v28
	v_cndmask_b32_e64 v24, 0, 1, vcc
	v_addc_co_u32_e32 v30, vcc, 0, v29, vcc
	v_cmp_eq_u32_e32 vcc, 0, v30
	v_cndmask_b32_e32 v24, 0, v24, vcc
	v_add_u32_e32 v28, v24, v1
	v_cmp_eq_u32_e32 vcc, 0, v28
	v_mad_u64_u32 v[26:27], s[0:1], v13, s58, 0
	v_mad_u64_u32 v[28:29], s[0:1], v28, s53, 0
	v_add_u32_e32 v23, 0x8ff34781, v18
	v_cndmask_b32_e32 v24, 0, v24, vcc
	v_xor_b32_e32 v13, v29, v18
	v_xor_b32_e32 v18, v27, v19
	;; [unrolled: 1-line block ×4, first 2 shown]
	v_mad_u64_u32 v[30:31], s[0:1], v24, s53, 0
	v_add_u32_e32 v21, 0xdb3d7428, v19
	v_mad_u64_u32 v[18:19], s[0:1], v13, s58, 0
	v_xor_b32_e32 v13, v43, v31
	v_xor_b32_e32 v13, v13, v28
	v_xor_b32_e32 v19, v44, v19
	v_xor_b32_e32 v19, v19, v26
	v_mad_u64_u32 v[26:27], s[0:1], v13, s58, 0
	v_mad_u64_u32 v[28:29], s[0:1], v19, s53, 0
	v_xor_b32_e32 v19, v46, v27
	v_xor_b32_e32 v13, v45, v29
	v_xor_b32_e32 v24, v19, v18
	v_xor_b32_e32 v13, v13, v30
	v_mad_u64_u32 v[30:31], s[0:1], v24, s53, 0
	;; [unrolled: 6-line block ×7, first 2 shown]
	v_xor_b32_e32 v13, v21, v29
	v_xor_b32_e32 v13, v13, v18
	v_mad_u64_u32 v[30:31], s[0:1], v19, s53, 0
	v_mad_u64_u32 v[18:19], s[0:1], v13, s53, 0
	v_xor_b32_e32 v13, v19, v30
	v_xor_b32_e32 v13, v23, v13
	v_cmp_lt_i32_e32 vcc, 1, v39
                                        ; implicit-def: $vgpr27
	s_and_saveexec_b64 s[0:1], vcc
	s_xor_b64 s[0:1], exec, s[0:1]
	s_cbranch_execz .LBB58_19
; %bb.14:                               ;   in Loop: Header=BB58_3 Depth=1
	v_cmp_lt_i32_e32 vcc, 2, v39
                                        ; implicit-def: $vgpr27
	s_and_saveexec_b64 s[2:3], vcc
	s_xor_b64 s[2:3], exec, s[2:3]
; %bb.15:                               ;   in Loop: Header=BB58_3 Depth=1
	v_xor_b32_e32 v19, v41, v31
	v_xor_b32_e32 v19, v19, v26
	v_mul_hi_u32 v19, v19, s58
	v_xor_b32_e32 v19, v19, v28
	v_xor_b32_e32 v27, v42, v19
                                        ; implicit-def: $vgpr40
; %bb.16:                               ;   in Loop: Header=BB58_3 Depth=1
	s_andn2_saveexec_b64 s[2:3], s[2:3]
; %bb.17:                               ;   in Loop: Header=BB58_3 Depth=1
	v_mov_b32_e32 v27, v18
	v_mov_b32_e32 v18, v13
	;; [unrolled: 1-line block ×4, first 2 shown]
; %bb.18:                               ;   in Loop: Header=BB58_3 Depth=1
	s_or_b64 exec, exec, s[2:3]
                                        ; implicit-def: $vgpr20_vgpr21
                                        ; implicit-def: $vgpr22_vgpr23
                                        ; implicit-def: $vgpr39
                                        ; implicit-def: $vgpr40
                                        ; implicit-def: $vgpr24_vgpr25
                                        ; implicit-def: $vgpr21
                                        ; implicit-def: $vgpr23
.LBB58_19:                              ;   in Loop: Header=BB58_3 Depth=1
	s_andn2_saveexec_b64 s[0:1], s[0:1]
	s_cbranch_execz .LBB58_23
; %bb.20:                               ;   in Loop: Header=BB58_3 Depth=1
	v_xor_b32_e32 v18, v21, v25
	v_xor_b32_e32 v18, v18, v20
	v_mad_u64_u32 v[20:21], s[2:3], v18, s53, 0
	v_xor_b32_e32 v18, v21, v22
	v_xor_b32_e32 v19, v23, v18
	v_cmp_eq_u32_e32 vcc, 1, v39
	v_mov_b32_e32 v27, v12
	v_mov_b32_e32 v18, v40
	;; [unrolled: 1-line block ×3, first 2 shown]
	s_and_saveexec_b64 s[2:3], vcc
; %bb.21:                               ;   in Loop: Header=BB58_3 Depth=1
	v_mov_b32_e32 v27, v13
	v_mov_b32_e32 v18, v12
	v_mov_b32_e32 v21, v40
	v_mov_b32_e32 v19, v20
; %bb.22:                               ;   in Loop: Header=BB58_3 Depth=1
	s_or_b64 exec, exec, s[2:3]
	v_mov_b32_e32 v12, v19
	v_mov_b32_e32 v13, v21
.LBB58_23:                              ;   in Loop: Header=BB58_3 Depth=1
	s_or_b64 exec, exec, s[0:1]
	v_min_i32_e32 v19, 4, v7
	v_cmp_lt_i32_e32 vcc, 2, v19
	s_mov_b64 s[2:3], 0
	s_mov_b64 s[48:49], 0
                                        ; implicit-def: $sgpr4_sgpr5
                                        ; implicit-def: $sgpr6_sgpr7
                                        ; implicit-def: $sgpr42_sgpr43
	s_and_saveexec_b64 s[0:1], vcc
	s_xor_b64 s[44:45], exec, s[0:1]
	s_cbranch_execz .LBB58_33
; %bb.24:                               ;   in Loop: Header=BB58_3 Depth=1
	v_cmp_lt_i32_e32 vcc, 3, v19
	s_mov_b64 s[42:43], -1
                                        ; implicit-def: $sgpr4_sgpr5
                                        ; implicit-def: $sgpr46_sgpr47
	s_and_saveexec_b64 s[6:7], vcc
	s_cbranch_execz .LBB58_28
; %bb.25:                               ;   in Loop: Header=BB58_3 Depth=1
	s_waitcnt vmcnt(0)
	v_cmp_le_f32_e32 vcc, 0, v38
	v_cmp_ge_f32_e64 s[0:1], 1.0, v38
	s_and_b64 s[46:47], vcc, s[0:1]
	s_mov_b64 s[4:5], 0
	s_mov_b64 s[0:1], 0
	s_and_saveexec_b64 s[42:43], s[46:47]
	s_cbranch_execz .LBB58_27
; %bb.26:                               ;   in Loop: Header=BB58_3 Depth=1
	v_cvt_f32_u32_e32 v20, v27
	v_mov_b32_e32 v21, 0x2f800000
	v_lshlrev_b64 v[16:17], 1, v[16:17]
	v_add_co_u32_e32 v16, vcc, s12, v16
	v_fmac_f32_e32 v21, 0x2f800000, v20
	v_mov_b32_e32 v20, s13
	v_addc_co_u32_e32 v17, vcc, v20, v17, vcc
	v_cmp_le_f32_e32 vcc, v21, v38
	s_mov_b64 s[0:1], exec
	v_cndmask_b32_e64 v20, 0, 1, vcc
	global_store_short v[16:17], v20, off
.LBB58_27:                              ;   in Loop: Header=BB58_3 Depth=1
	s_or_b64 exec, exec, s[42:43]
	s_mov_b64 s[46:47], -1
	s_orn2_b64 s[42:43], s[0:1], exec
.LBB58_28:                              ;   in Loop: Header=BB58_3 Depth=1
	s_or_b64 exec, exec, s[6:7]
	s_mov_b64 s[0:1], 0
	s_mov_b64 s[48:49], s[4:5]
	s_and_saveexec_b64 s[6:7], s[42:43]
	s_cbranch_execz .LBB58_32
; %bb.29:                               ;   in Loop: Header=BB58_3 Depth=1
	s_waitcnt vmcnt(1)
	v_cmp_le_f32_e32 vcc, 0, v37
	v_cmp_ge_f32_e64 s[0:1], 1.0, v37
	s_and_b64 s[42:43], vcc, s[0:1]
	s_mov_b64 s[0:1], 0
	s_and_saveexec_b64 s[48:49], s[42:43]
	s_xor_b64 s[42:43], exec, s[48:49]
	s_cbranch_execz .LBB58_31
; %bb.30:                               ;   in Loop: Header=BB58_3 Depth=1
	v_cvt_f32_u32_e32 v16, v18
	v_mov_b32_e32 v17, 0x2f800000
	v_lshlrev_b64 v[14:15], 1, v[14:15]
	v_add_co_u32_e32 v14, vcc, s12, v14
	v_fmac_f32_e32 v17, 0x2f800000, v16
	v_mov_b32_e32 v16, s13
	v_addc_co_u32_e32 v15, vcc, v16, v15, vcc
	v_cmp_le_f32_e32 vcc, v17, v37
	v_cndmask_b32_e64 v16, 0, 1, vcc
	s_mov_b64 s[0:1], exec
	global_store_short v[14:15], v16, off
.LBB58_31:                              ;   in Loop: Header=BB58_3 Depth=1
	s_or_b64 exec, exec, s[42:43]
	s_andn2_b64 s[48:49], s[4:5], exec
	s_or_b64 s[4:5], s[4:5], exec
	s_andn2_b64 s[46:47], s[46:47], exec
	s_and_b64 s[0:1], s[0:1], exec
.LBB58_32:                              ;   in Loop: Header=BB58_3 Depth=1
	s_or_b64 exec, exec, s[6:7]
	s_and_b64 s[42:43], s[48:49], exec
	s_and_b64 s[6:7], s[4:5], exec
	;; [unrolled: 1-line block ×4, first 2 shown]
.LBB58_33:                              ;   in Loop: Header=BB58_3 Depth=1
	s_andn2_saveexec_b64 s[0:1], s[44:45]
; %bb.34:                               ;   in Loop: Header=BB58_3 Depth=1
	v_cmp_lt_i32_e32 vcc, 1, v19
	s_andn2_b64 s[44:45], s[48:49], exec
	s_and_b64 s[46:47], vcc, exec
	s_mov_b64 s[2:3], exec
	s_andn2_b64 s[42:43], s[42:43], exec
	s_andn2_b64 s[6:7], s[6:7], exec
	;; [unrolled: 1-line block ×3, first 2 shown]
	s_or_b64 s[48:49], s[44:45], s[46:47]
; %bb.35:                               ;   in Loop: Header=BB58_3 Depth=1
	s_or_b64 exec, exec, s[0:1]
	s_mov_b64 s[44:45], 0
	s_mov_b64 s[0:1], 0
	;; [unrolled: 1-line block ×3, first 2 shown]
	s_and_saveexec_b64 s[50:51], s[48:49]
	s_cbranch_execnz .LBB58_38
; %bb.36:                               ;   in Loop: Header=BB58_3 Depth=1
	s_or_b64 exec, exec, s[50:51]
	s_and_saveexec_b64 s[48:49], s[2:3]
	s_cbranch_execnz .LBB58_41
.LBB58_37:                              ;   in Loop: Header=BB58_3 Depth=1
	s_or_b64 exec, exec, s[48:49]
	s_and_saveexec_b64 s[2:3], s[0:1]
	s_cbranch_execnz .LBB58_42
	s_branch .LBB58_45
.LBB58_38:                              ;   in Loop: Header=BB58_3 Depth=1
	s_waitcnt vmcnt(2)
	v_cmp_le_f32_e32 vcc, 0, v36
	v_cmp_ge_f32_e64 s[0:1], 1.0, v36
	s_and_b64 s[46:47], vcc, s[0:1]
	s_mov_b64 s[0:1], 0
	s_and_saveexec_b64 s[48:49], s[46:47]
	s_xor_b64 s[46:47], exec, s[48:49]
	s_cbranch_execz .LBB58_40
; %bb.39:                               ;   in Loop: Header=BB58_3 Depth=1
	v_cvt_f32_u32_e32 v13, v13
	v_mov_b32_e32 v14, 0x2f800000
	v_lshlrev_b64 v[10:11], 1, v[10:11]
	v_add_co_u32_e32 v10, vcc, s12, v10
	v_fmac_f32_e32 v14, 0x2f800000, v13
	v_mov_b32_e32 v13, s13
	v_addc_co_u32_e32 v11, vcc, v13, v11, vcc
	v_cmp_le_f32_e32 vcc, v14, v36
	v_cndmask_b32_e64 v13, 0, 1, vcc
	s_mov_b64 s[0:1], exec
	global_store_short v[10:11], v13, off
.LBB58_40:                              ;   in Loop: Header=BB58_3 Depth=1
	s_or_b64 exec, exec, s[46:47]
	s_andn2_b64 s[46:47], s[42:43], exec
	s_or_b64 s[42:43], s[42:43], exec
	s_andn2_b64 s[6:7], s[6:7], exec
	s_andn2_b64 s[4:5], s[4:5], exec
	s_and_b64 s[0:1], s[0:1], exec
	s_andn2_b64 s[2:3], s[2:3], exec
	s_or_b64 exec, exec, s[50:51]
	s_and_saveexec_b64 s[48:49], s[2:3]
	s_cbranch_execz .LBB58_37
.LBB58_41:                              ;   in Loop: Header=BB58_3 Depth=1
	v_cmp_eq_u32_e32 vcc, 1, v19
	s_andn2_b64 s[0:1], s[0:1], exec
	s_and_b64 s[2:3], vcc, exec
	s_mov_b64 s[44:45], exec
	s_andn2_b64 s[46:47], s[46:47], exec
	s_andn2_b64 s[42:43], s[42:43], exec
	;; [unrolled: 1-line block ×4, first 2 shown]
	s_or_b64 s[0:1], s[0:1], s[2:3]
	s_or_b64 exec, exec, s[48:49]
	s_and_saveexec_b64 s[2:3], s[0:1]
	s_cbranch_execz .LBB58_45
.LBB58_42:                              ;   in Loop: Header=BB58_3 Depth=1
	s_waitcnt vmcnt(3)
	v_cmp_le_f32_e32 vcc, 0, v4
	v_cmp_ge_f32_e64 s[0:1], 1.0, v4
	s_and_b64 s[50:51], vcc, s[0:1]
	s_mov_b64 s[0:1], 0
	s_and_saveexec_b64 s[48:49], s[50:51]
	s_cbranch_execz .LBB58_44
; %bb.43:                               ;   in Loop: Header=BB58_3 Depth=1
	v_cvt_f32_u32_e32 v10, v12
	v_mov_b32_e32 v11, 0x2f800000
	v_lshlrev_b64 v[8:9], 1, v[8:9]
	v_add_co_u32_e32 v8, vcc, s12, v8
	v_fmac_f32_e32 v11, 0x2f800000, v10
	v_mov_b32_e32 v10, s13
	v_addc_co_u32_e32 v9, vcc, v10, v9, vcc
	v_cmp_le_f32_e32 vcc, v11, v4
	s_mov_b64 s[0:1], exec
	v_cndmask_b32_e64 v4, 0, 1, vcc
	global_store_short v[8:9], v4, off
.LBB58_44:                              ;   in Loop: Header=BB58_3 Depth=1
	s_or_b64 exec, exec, s[48:49]
	s_andn2_b64 s[44:45], s[44:45], exec
	s_and_b64 s[0:1], s[0:1], exec
	s_or_b64 s[46:47], s[46:47], exec
	s_andn2_b64 s[42:43], s[42:43], exec
	s_andn2_b64 s[6:7], s[6:7], exec
	;; [unrolled: 1-line block ×3, first 2 shown]
	s_or_b64 s[44:45], s[44:45], s[0:1]
.LBB58_45:                              ;   in Loop: Header=BB58_3 Depth=1
	s_or_b64 exec, exec, s[2:3]
	s_andn2_b64 s[2:3], s[40:41], exec
	s_and_b64 s[40:41], s[46:47], exec
	s_or_b64 s[40:41], s[2:3], s[40:41]
	s_andn2_b64 s[2:3], s[38:39], exec
	s_and_b64 s[38:39], s[42:43], exec
	s_or_b64 s[38:39], s[2:3], s[38:39]
	;; [unrolled: 3-line block ×3, first 2 shown]
	s_andn2_b64 s[2:3], s[34:35], exec
	s_and_b64 s[4:5], s[4:5], exec
	s_mov_b64 s[0:1], -1
	s_or_b64 s[34:35], s[2:3], s[4:5]
	s_and_saveexec_b64 s[2:3], s[44:45]
	s_cbranch_execz .LBB58_2
; %bb.46:                               ;   in Loop: Header=BB58_3 Depth=1
	v_add_u32_e32 v0, s55, v0
	v_cmp_le_u32_e32 vcc, s33, v0
	v_subrev_u32_e32 v7, s55, v7
	s_add_i32 s54, s54, s57
	s_andn2_b64 s[40:41], s[40:41], exec
	s_andn2_b64 s[38:39], s[38:39], exec
	;; [unrolled: 1-line block ×4, first 2 shown]
	s_orn2_b64 s[0:1], vcc, exec
	s_branch .LBB58_2
.LBB58_47:
	s_or_b64 exec, exec, s[24:25]
	s_xor_b64 s[6:7], s[30:31], -1
	s_xor_b64 s[8:9], s[28:29], -1
	;; [unrolled: 1-line block ×3, first 2 shown]
	s_mov_b64 s[2:3], 0
	s_and_saveexec_b64 s[4:5], s[0:1]
	s_xor_b64 s[0:1], exec, s[4:5]
	s_cbranch_execnz .LBB58_52
; %bb.48:
	s_andn2_saveexec_b64 s[0:1], s[0:1]
	s_cbranch_execnz .LBB58_60
.LBB58_49:
	s_or_b64 exec, exec, s[0:1]
	s_and_b64 exec, exec, s[2:3]
.LBB58_50:
	; divergent unreachable
.LBB58_51:
	s_endpgm
.LBB58_52:
	s_mov_b64 s[4:5], 0
	s_and_saveexec_b64 s[2:3], s[8:9]
	s_xor_b64 s[2:3], exec, s[2:3]
	s_cbranch_execz .LBB58_58
; %bb.53:
	s_and_saveexec_b64 s[8:9], s[6:7]
	s_xor_b64 s[6:7], exec, s[8:9]
	s_cbranch_execz .LBB58_56
; %bb.54:
	s_and_saveexec_b64 s[8:9], s[20:21]
	s_xor_b64 s[8:9], exec, s[8:9]
	s_cbranch_execnz .LBB58_63
.LBB58_55:
	s_or_b64 exec, exec, s[8:9]
	s_and_b64 s[4:5], s[4:5], exec
.LBB58_56:
	s_andn2_saveexec_b64 s[6:7], s[6:7]
	s_cbranch_execnz .LBB58_62
.LBB58_57:
	s_or_b64 exec, exec, s[6:7]
	s_and_b64 s[4:5], s[4:5], exec
.LBB58_58:
	s_andn2_saveexec_b64 s[2:3], s[2:3]
	s_cbranch_execnz .LBB58_61
.LBB58_59:
	s_or_b64 exec, exec, s[2:3]
	s_and_b64 s[2:3], s[4:5], exec
	s_andn2_saveexec_b64 s[0:1], s[0:1]
	s_cbranch_execz .LBB58_49
.LBB58_60:
	s_or_b64 s[2:3], s[2:3], exec
	s_trap 2
	s_or_b64 exec, exec, s[0:1]
	s_and_b64 exec, exec, s[2:3]
	s_cbranch_execnz .LBB58_50
	s_branch .LBB58_51
.LBB58_61:
	s_or_b64 s[4:5], s[4:5], exec
	s_trap 2
	s_branch .LBB58_59
.LBB58_62:
	s_trap 2
	s_or_b64 s[4:5], s[4:5], exec
	s_branch .LBB58_57
.LBB58_63:
	s_mov_b64 s[4:5], exec
	s_trap 2
	s_branch .LBB58_55
	.section	.rodata,"a",@progbits
	.p2align	6, 0x0
	.amdhsa_kernel _ZN2at4cuda12_GLOBAL__N_121kernelPointwiseApply2IZNS_6native9templates4cuda28bernoulli_tensor_cuda_kernelIsfEEvRKNS_10TensorBaseES9_NS_15PhiloxCudaStateEEUliRsSB_SB_SB_RKfSD_SD_SD_E_sSC_jLi2ELi1ELi4ELi512ELi2EEEvNS0_6detail10TensorInfoIT0_T2_EENSG_IT1_SI_EESI_T_
		.amdhsa_group_segment_fixed_size 0
		.amdhsa_private_segment_fixed_size 0
		.amdhsa_kernarg_size 728
		.amdhsa_user_sgpr_count 6
		.amdhsa_user_sgpr_private_segment_buffer 1
		.amdhsa_user_sgpr_dispatch_ptr 0
		.amdhsa_user_sgpr_queue_ptr 0
		.amdhsa_user_sgpr_kernarg_segment_ptr 1
		.amdhsa_user_sgpr_dispatch_id 0
		.amdhsa_user_sgpr_flat_scratch_init 0
		.amdhsa_user_sgpr_kernarg_preload_length 0
		.amdhsa_user_sgpr_kernarg_preload_offset 0
		.amdhsa_user_sgpr_private_segment_size 0
		.amdhsa_uses_dynamic_stack 0
		.amdhsa_system_sgpr_private_segment_wavefront_offset 0
		.amdhsa_system_sgpr_workgroup_id_x 1
		.amdhsa_system_sgpr_workgroup_id_y 0
		.amdhsa_system_sgpr_workgroup_id_z 0
		.amdhsa_system_sgpr_workgroup_info 0
		.amdhsa_system_vgpr_workitem_id 0
		.amdhsa_next_free_vgpr 57
		.amdhsa_next_free_sgpr 60
		.amdhsa_accum_offset 60
		.amdhsa_reserve_vcc 1
		.amdhsa_reserve_flat_scratch 0
		.amdhsa_float_round_mode_32 0
		.amdhsa_float_round_mode_16_64 0
		.amdhsa_float_denorm_mode_32 3
		.amdhsa_float_denorm_mode_16_64 3
		.amdhsa_dx10_clamp 1
		.amdhsa_ieee_mode 1
		.amdhsa_fp16_overflow 0
		.amdhsa_tg_split 0
		.amdhsa_exception_fp_ieee_invalid_op 0
		.amdhsa_exception_fp_denorm_src 0
		.amdhsa_exception_fp_ieee_div_zero 0
		.amdhsa_exception_fp_ieee_overflow 0
		.amdhsa_exception_fp_ieee_underflow 0
		.amdhsa_exception_fp_ieee_inexact 0
		.amdhsa_exception_int_div_zero 0
	.end_amdhsa_kernel
	.section	.text._ZN2at4cuda12_GLOBAL__N_121kernelPointwiseApply2IZNS_6native9templates4cuda28bernoulli_tensor_cuda_kernelIsfEEvRKNS_10TensorBaseES9_NS_15PhiloxCudaStateEEUliRsSB_SB_SB_RKfSD_SD_SD_E_sSC_jLi2ELi1ELi4ELi512ELi2EEEvNS0_6detail10TensorInfoIT0_T2_EENSG_IT1_SI_EESI_T_,"axG",@progbits,_ZN2at4cuda12_GLOBAL__N_121kernelPointwiseApply2IZNS_6native9templates4cuda28bernoulli_tensor_cuda_kernelIsfEEvRKNS_10TensorBaseES9_NS_15PhiloxCudaStateEEUliRsSB_SB_SB_RKfSD_SD_SD_E_sSC_jLi2ELi1ELi4ELi512ELi2EEEvNS0_6detail10TensorInfoIT0_T2_EENSG_IT1_SI_EESI_T_,comdat
.Lfunc_end58:
	.size	_ZN2at4cuda12_GLOBAL__N_121kernelPointwiseApply2IZNS_6native9templates4cuda28bernoulli_tensor_cuda_kernelIsfEEvRKNS_10TensorBaseES9_NS_15PhiloxCudaStateEEUliRsSB_SB_SB_RKfSD_SD_SD_E_sSC_jLi2ELi1ELi4ELi512ELi2EEEvNS0_6detail10TensorInfoIT0_T2_EENSG_IT1_SI_EESI_T_, .Lfunc_end58-_ZN2at4cuda12_GLOBAL__N_121kernelPointwiseApply2IZNS_6native9templates4cuda28bernoulli_tensor_cuda_kernelIsfEEvRKNS_10TensorBaseES9_NS_15PhiloxCudaStateEEUliRsSB_SB_SB_RKfSD_SD_SD_E_sSC_jLi2ELi1ELi4ELi512ELi2EEEvNS0_6detail10TensorInfoIT0_T2_EENSG_IT1_SI_EESI_T_
                                        ; -- End function
	.section	.AMDGPU.csdata,"",@progbits
; Kernel info:
; codeLenInByte = 3092
; NumSgprs: 64
; NumVgprs: 57
; NumAgprs: 0
; TotalNumVgprs: 57
; ScratchSize: 0
; MemoryBound: 0
; FloatMode: 240
; IeeeMode: 1
; LDSByteSize: 0 bytes/workgroup (compile time only)
; SGPRBlocks: 7
; VGPRBlocks: 7
; NumSGPRsForWavesPerEU: 64
; NumVGPRsForWavesPerEU: 57
; AccumOffset: 60
; Occupancy: 8
; WaveLimiterHint : 1
; COMPUTE_PGM_RSRC2:SCRATCH_EN: 0
; COMPUTE_PGM_RSRC2:USER_SGPR: 6
; COMPUTE_PGM_RSRC2:TRAP_HANDLER: 0
; COMPUTE_PGM_RSRC2:TGID_X_EN: 1
; COMPUTE_PGM_RSRC2:TGID_Y_EN: 0
; COMPUTE_PGM_RSRC2:TGID_Z_EN: 0
; COMPUTE_PGM_RSRC2:TIDIG_COMP_CNT: 0
; COMPUTE_PGM_RSRC3_GFX90A:ACCUM_OFFSET: 14
; COMPUTE_PGM_RSRC3_GFX90A:TG_SPLIT: 0
	.section	.text._ZN2at4cuda12_GLOBAL__N_121kernelPointwiseApply2IZNS_6native9templates4cuda28bernoulli_tensor_cuda_kernelIsfEEvRKNS_10TensorBaseES9_NS_15PhiloxCudaStateEEUliRsSB_SB_SB_RKfSD_SD_SD_E_sSC_jLi2ELi2ELi4ELi512ELi2EEEvNS0_6detail10TensorInfoIT0_T2_EENSG_IT1_SI_EESI_T_,"axG",@progbits,_ZN2at4cuda12_GLOBAL__N_121kernelPointwiseApply2IZNS_6native9templates4cuda28bernoulli_tensor_cuda_kernelIsfEEvRKNS_10TensorBaseES9_NS_15PhiloxCudaStateEEUliRsSB_SB_SB_RKfSD_SD_SD_E_sSC_jLi2ELi2ELi4ELi512ELi2EEEvNS0_6detail10TensorInfoIT0_T2_EENSG_IT1_SI_EESI_T_,comdat
	.globl	_ZN2at4cuda12_GLOBAL__N_121kernelPointwiseApply2IZNS_6native9templates4cuda28bernoulli_tensor_cuda_kernelIsfEEvRKNS_10TensorBaseES9_NS_15PhiloxCudaStateEEUliRsSB_SB_SB_RKfSD_SD_SD_E_sSC_jLi2ELi2ELi4ELi512ELi2EEEvNS0_6detail10TensorInfoIT0_T2_EENSG_IT1_SI_EESI_T_ ; -- Begin function _ZN2at4cuda12_GLOBAL__N_121kernelPointwiseApply2IZNS_6native9templates4cuda28bernoulli_tensor_cuda_kernelIsfEEvRKNS_10TensorBaseES9_NS_15PhiloxCudaStateEEUliRsSB_SB_SB_RKfSD_SD_SD_E_sSC_jLi2ELi2ELi4ELi512ELi2EEEvNS0_6detail10TensorInfoIT0_T2_EENSG_IT1_SI_EESI_T_
	.p2align	8
	.type	_ZN2at4cuda12_GLOBAL__N_121kernelPointwiseApply2IZNS_6native9templates4cuda28bernoulli_tensor_cuda_kernelIsfEEvRKNS_10TensorBaseES9_NS_15PhiloxCudaStateEEUliRsSB_SB_SB_RKfSD_SD_SD_E_sSC_jLi2ELi2ELi4ELi512ELi2EEEvNS0_6detail10TensorInfoIT0_T2_EENSG_IT1_SI_EESI_T_,@function
_ZN2at4cuda12_GLOBAL__N_121kernelPointwiseApply2IZNS_6native9templates4cuda28bernoulli_tensor_cuda_kernelIsfEEvRKNS_10TensorBaseES9_NS_15PhiloxCudaStateEEUliRsSB_SB_SB_RKfSD_SD_SD_E_sSC_jLi2ELi2ELi4ELi512ELi2EEEvNS0_6detail10TensorInfoIT0_T2_EENSG_IT1_SI_EESI_T_: ; @_ZN2at4cuda12_GLOBAL__N_121kernelPointwiseApply2IZNS_6native9templates4cuda28bernoulli_tensor_cuda_kernelIsfEEvRKNS_10TensorBaseES9_NS_15PhiloxCudaStateEEUliRsSB_SB_SB_RKfSD_SD_SD_E_sSC_jLi2ELi2ELi4ELi512ELi2EEEvNS0_6detail10TensorInfoIT0_T2_EENSG_IT1_SI_EESI_T_
; %bb.0:
	s_load_dword s2, s[4:5], 0x1e4
	s_load_dword s33, s[4:5], 0x1b0
	s_add_u32 s0, s4, 0x1d8
	s_addc_u32 s1, s5, 0
	s_waitcnt lgkmcnt(0)
	s_and_b32 s18, s2, 0xffff
	s_mul_i32 s6, s6, s18
	v_add_u32_e32 v1, s6, v0
	v_lshlrev_b32_e32 v0, 2, v1
	v_cmp_gt_u32_e32 vcc, s33, v0
	s_and_saveexec_b64 s[2:3], vcc
	s_cbranch_execz .LBB59_59
; %bb.1:
	s_load_dwordx2 s[2:3], s[4:5], 0x0
	s_load_dword s54, s[4:5], 0xc
	s_load_dwordx2 s[6:7], s[4:5], 0x6c
	s_load_dwordx2 s[12:13], s[4:5], 0xd8
	s_load_dword s19, s[0:1], 0x0
	s_load_dword s20, s[4:5], 0x1d0
	;; [unrolled: 1-line block ×3, first 2 shown]
	s_load_dwordx2 s[14:15], s[4:5], 0x144
	s_load_dwordx2 s[16:17], s[4:5], 0x1c8
	s_load_dwordx4 s[8:11], s[4:5], 0x1b8
	s_waitcnt lgkmcnt(0)
	v_cvt_f32_u32_e32 v4, s54
	v_cvt_f32_u32_e32 v7, s55
	s_mov_b32 s56, 0xcd9e8d57
	v_mad_u64_u32 v[2:3], s[0:1], v1, s56, 0
	v_rcp_iflag_f32_e32 v4, v4
	v_mov_b32_e32 v6, v3
	s_bitcmp1_b32 s20, 0
	s_cselect_b64 s[4:5], -1, 0
	v_mul_f32_e32 v3, 0x4f7ffffe, v4
	v_rcp_iflag_f32_e32 v4, v7
	v_cvt_u32_f32_e32 v3, v3
	s_sub_i32 s58, 0, s54
	s_sub_i32 s59, 0, s55
	v_mul_f32_e32 v4, 0x4f7ffffe, v4
	v_cvt_u32_f32_e32 v4, v4
	v_mul_lo_u32 v7, s58, v3
	v_mul_hi_u32 v7, v3, v7
	v_add_u32_e32 v3, v3, v7
	v_mul_lo_u32 v7, s59, v4
	s_mul_i32 s19, s19, s18
	v_mul_hi_u32 v7, v4, v7
	v_mov_b32_e32 v5, 0
	s_lshl_b32 s57, s19, 2
	v_add_u32_e32 v7, v4, v7
	v_sub_u32_e32 v32, s33, v0
	s_mov_b64 s[20:21], 0
	s_mov_b32 s60, 0xd2511f53
	s_mov_b32 s61, 0xf1bbcdc8
                                        ; implicit-def: $sgpr22_sgpr23
                                        ; implicit-def: $sgpr24_sgpr25
                                        ; implicit-def: $sgpr26_sgpr27
                                        ; implicit-def: $sgpr18_sgpr19
                                        ; implicit-def: $sgpr28_sgpr29
                                        ; implicit-def: $sgpr30_sgpr31
                                        ; implicit-def: $sgpr34_sgpr35
                                        ; implicit-def: $sgpr36_sgpr37
	s_branch .LBB59_3
.LBB59_2:                               ;   in Loop: Header=BB59_3 Depth=1
	s_or_b64 exec, exec, s[38:39]
	s_and_b64 s[0:1], exec, s[0:1]
	s_or_b64 s[20:21], s[0:1], s[20:21]
	s_andn2_b64 s[0:1], s[18:19], exec
	s_and_b64 s[18:19], s[36:37], exec
	s_or_b64 s[18:19], s[0:1], s[18:19]
	s_andn2_b64 s[0:1], s[26:27], exec
	s_and_b64 s[26:27], s[34:35], exec
	;; [unrolled: 3-line block ×4, first 2 shown]
	s_or_b64 s[22:23], s[0:1], s[22:23]
	s_andn2_b64 exec, exec, s[20:21]
	s_cbranch_execz .LBB59_55
.LBB59_3:                               ; =>This Inner Loop Header: Depth=1
	v_cmp_lt_i32_e32 vcc, 0, v32
	v_mov_b32_e32 v8, 0
	s_and_saveexec_b64 s[38:39], vcc
	s_cbranch_execz .LBB59_5
; %bb.4:                                ;   in Loop: Header=BB59_3 Depth=1
	s_waitcnt vmcnt(3)
	v_mul_hi_u32 v4, v3, v0
	v_not_b32_e32 v10, v4
	s_waitcnt vmcnt(2)
	v_mad_u64_u32 v[8:9], s[0:1], s58, v4, v[0:1]
	v_add_u32_e32 v9, 1, v4
	v_cmp_le_u32_e64 s[0:1], s54, v8
	v_mad_u64_u32 v[10:11], s[40:41], s54, v10, v[0:1]
	v_cndmask_b32_e64 v4, v4, v9, s[0:1]
	v_cndmask_b32_e64 v8, v8, v10, s[0:1]
	v_add_u32_e32 v9, 1, v4
	v_cmp_le_u32_e64 s[0:1], s54, v8
	v_cndmask_b32_e64 v10, v4, v9, s[0:1]
	v_mad_u64_u32 v[8:9], s[0:1], s58, v10, v[0:1]
	v_mul_lo_u32 v4, v8, s7
	v_mad_u64_u32 v[8:9], s[0:1], v10, s6, v[4:5]
.LBB59_5:                               ;   in Loop: Header=BB59_3 Depth=1
	s_or_b64 exec, exec, s[38:39]
	s_waitcnt vmcnt(3)
	v_mov_b32_e32 v4, 0
	s_and_saveexec_b64 s[0:1], vcc
	s_cbranch_execz .LBB59_7
; %bb.6:                                ;   in Loop: Header=BB59_3 Depth=1
	v_mul_hi_u32 v4, v7, v0
	s_waitcnt vmcnt(2)
	v_not_b32_e32 v9, v4
	v_mad_u64_u32 v[10:11], s[38:39], s59, v4, v[0:1]
	v_add_u32_e32 v11, 1, v4
	v_cmp_le_u32_e32 vcc, s55, v10
	v_mad_u64_u32 v[12:13], s[38:39], s55, v9, v[0:1]
	v_cndmask_b32_e32 v4, v4, v11, vcc
	v_cndmask_b32_e32 v9, v10, v12, vcc
	v_add_u32_e32 v10, 1, v4
	v_cmp_le_u32_e32 vcc, s55, v9
	v_cndmask_b32_e32 v9, v4, v10, vcc
	v_mad_u64_u32 v[10:11], s[38:39], s59, v9, v[0:1]
	v_mul_lo_u32 v4, v10, s15
	v_mad_u64_u32 v[10:11], s[38:39], v9, s14, v[4:5]
	v_mov_b32_e32 v4, v10
.LBB59_7:                               ;   in Loop: Header=BB59_3 Depth=1
	s_or_b64 exec, exec, s[0:1]
	v_pk_mov_b32 v[14:15], 0, 0
	s_waitcnt vmcnt(2)
	v_add_u32_e32 v9, 1, v0
	v_cmp_lt_i32_e32 vcc, 1, v32
	v_pk_mov_b32 v[10:11], v[14:15], v[14:15] op_sel:[0,1]
	s_and_saveexec_b64 s[38:39], vcc
	s_cbranch_execz .LBB59_9
; %bb.8:                                ;   in Loop: Header=BB59_3 Depth=1
	v_mul_hi_u32 v10, v9, v3
	v_mul_lo_u32 v11, v10, s54
	v_sub_u32_e32 v11, v9, v11
	v_add_u32_e32 v12, 1, v10
	v_cmp_le_u32_e64 s[0:1], s54, v11
	v_cndmask_b32_e64 v10, v10, v12, s[0:1]
	v_subrev_u32_e32 v12, s54, v11
	v_cndmask_b32_e64 v11, v11, v12, s[0:1]
	v_add_u32_e32 v12, 1, v10
	v_cmp_le_u32_e64 s[0:1], s54, v11
	v_cndmask_b32_e64 v11, v10, v12, s[0:1]
	v_mul_lo_u32 v10, v11, s54
	v_sub_u32_e32 v10, v9, v10
	v_mul_lo_u32 v10, v10, s7
	v_mad_u64_u32 v[10:11], s[0:1], v11, s6, v[10:11]
	v_mov_b32_e32 v11, v5
.LBB59_9:                               ;   in Loop: Header=BB59_3 Depth=1
	s_or_b64 exec, exec, s[38:39]
	s_and_saveexec_b64 s[0:1], vcc
	s_cbranch_execz .LBB59_11
; %bb.10:                               ;   in Loop: Header=BB59_3 Depth=1
	v_mul_hi_u32 v12, v9, v7
	v_mul_lo_u32 v13, v12, s55
	v_sub_u32_e32 v13, v9, v13
	v_add_u32_e32 v14, 1, v12
	v_cmp_le_u32_e32 vcc, s55, v13
	v_cndmask_b32_e32 v12, v12, v14, vcc
	v_subrev_u32_e32 v14, s55, v13
	v_cndmask_b32_e32 v13, v13, v14, vcc
	v_add_u32_e32 v14, 1, v12
	v_cmp_le_u32_e32 vcc, s55, v13
	v_cndmask_b32_e32 v13, v12, v14, vcc
	v_mul_lo_u32 v12, v13, s55
	v_sub_u32_e32 v9, v9, v12
	v_mul_lo_u32 v12, v9, s15
	v_mad_u64_u32 v[14:15], s[38:39], v13, s14, v[12:13]
	v_mov_b32_e32 v15, v5
.LBB59_11:                              ;   in Loop: Header=BB59_3 Depth=1
	s_or_b64 exec, exec, s[0:1]
	v_pk_mov_b32 v[18:19], 0, 0
	v_add_u32_e32 v9, 2, v0
	v_cmp_lt_i32_e32 vcc, 2, v32
	v_pk_mov_b32 v[12:13], v[18:19], v[18:19] op_sel:[0,1]
	s_and_saveexec_b64 s[38:39], vcc
	s_cbranch_execz .LBB59_13
; %bb.12:                               ;   in Loop: Header=BB59_3 Depth=1
	v_mul_hi_u32 v12, v9, v3
	v_mul_lo_u32 v13, v12, s54
	v_sub_u32_e32 v13, v9, v13
	v_add_u32_e32 v16, 1, v12
	v_cmp_le_u32_e64 s[0:1], s54, v13
	v_cndmask_b32_e64 v12, v12, v16, s[0:1]
	v_subrev_u32_e32 v16, s54, v13
	v_cndmask_b32_e64 v13, v13, v16, s[0:1]
	v_add_u32_e32 v16, 1, v12
	v_cmp_le_u32_e64 s[0:1], s54, v13
	v_cndmask_b32_e64 v13, v12, v16, s[0:1]
	v_mul_lo_u32 v12, v13, s54
	v_sub_u32_e32 v12, v9, v12
	v_mul_lo_u32 v12, v12, s7
	v_mad_u64_u32 v[12:13], s[0:1], v13, s6, v[12:13]
	v_mov_b32_e32 v13, v5
.LBB59_13:                              ;   in Loop: Header=BB59_3 Depth=1
	s_or_b64 exec, exec, s[38:39]
	s_and_saveexec_b64 s[0:1], vcc
	s_cbranch_execz .LBB59_15
; %bb.14:                               ;   in Loop: Header=BB59_3 Depth=1
	v_mul_hi_u32 v16, v9, v7
	v_mul_lo_u32 v17, v16, s55
	v_sub_u32_e32 v17, v9, v17
	v_add_u32_e32 v18, 1, v16
	v_cmp_le_u32_e32 vcc, s55, v17
	v_cndmask_b32_e32 v16, v16, v18, vcc
	v_subrev_u32_e32 v18, s55, v17
	v_cndmask_b32_e32 v17, v17, v18, vcc
	v_add_u32_e32 v18, 1, v16
	v_cmp_le_u32_e32 vcc, s55, v17
	v_cndmask_b32_e32 v17, v16, v18, vcc
	v_mul_lo_u32 v16, v17, s55
	v_sub_u32_e32 v9, v9, v16
	v_mul_lo_u32 v16, v9, s15
	v_mad_u64_u32 v[18:19], s[38:39], v17, s14, v[16:17]
	v_mov_b32_e32 v19, v5
.LBB59_15:                              ;   in Loop: Header=BB59_3 Depth=1
	s_or_b64 exec, exec, s[0:1]
	v_pk_mov_b32 v[20:21], 0, 0
	v_add_u32_e32 v9, 3, v0
	v_cmp_lt_i32_e32 vcc, 3, v32
	v_pk_mov_b32 v[16:17], v[20:21], v[20:21] op_sel:[0,1]
	s_and_saveexec_b64 s[38:39], vcc
	s_cbranch_execz .LBB59_17
; %bb.16:                               ;   in Loop: Header=BB59_3 Depth=1
	v_mul_hi_u32 v16, v9, v3
	v_mul_lo_u32 v17, v16, s54
	v_sub_u32_e32 v17, v9, v17
	v_add_u32_e32 v22, 1, v16
	v_cmp_le_u32_e64 s[0:1], s54, v17
	v_cndmask_b32_e64 v16, v16, v22, s[0:1]
	v_subrev_u32_e32 v22, s54, v17
	v_cndmask_b32_e64 v17, v17, v22, s[0:1]
	v_add_u32_e32 v22, 1, v16
	v_cmp_le_u32_e64 s[0:1], s54, v17
	v_cndmask_b32_e64 v17, v16, v22, s[0:1]
	v_mul_lo_u32 v16, v17, s54
	v_sub_u32_e32 v16, v9, v16
	v_mul_lo_u32 v16, v16, s7
	v_mad_u64_u32 v[16:17], s[0:1], v17, s6, v[16:17]
	v_mov_b32_e32 v17, v5
.LBB59_17:                              ;   in Loop: Header=BB59_3 Depth=1
	s_or_b64 exec, exec, s[38:39]
	s_and_saveexec_b64 s[0:1], vcc
	s_cbranch_execz .LBB59_19
; %bb.18:                               ;   in Loop: Header=BB59_3 Depth=1
	v_mul_hi_u32 v20, v9, v7
	v_mul_lo_u32 v21, v20, s55
	v_sub_u32_e32 v21, v9, v21
	v_add_u32_e32 v22, 1, v20
	v_cmp_le_u32_e32 vcc, s55, v21
	v_cndmask_b32_e32 v20, v20, v22, vcc
	v_subrev_u32_e32 v22, s55, v21
	v_cndmask_b32_e32 v21, v21, v22, vcc
	v_add_u32_e32 v22, 1, v20
	v_cmp_le_u32_e32 vcc, s55, v21
	v_cndmask_b32_e32 v21, v20, v22, vcc
	v_mul_lo_u32 v20, v21, s55
	v_sub_u32_e32 v9, v9, v20
	v_mul_lo_u32 v20, v9, s15
	v_mad_u64_u32 v[20:21], s[38:39], v21, s14, v[20:21]
	v_mov_b32_e32 v21, v5
.LBB59_19:                              ;   in Loop: Header=BB59_3 Depth=1
	s_or_b64 exec, exec, s[0:1]
	v_lshlrev_b64 v[22:23], 2, v[4:5]
	v_mov_b32_e32 v4, s13
	v_add_co_u32_e32 v22, vcc, s12, v22
	v_addc_co_u32_e32 v23, vcc, v4, v23, vcc
	v_lshlrev_b64 v[14:15], 2, v[14:15]
	v_add_co_u32_e32 v14, vcc, s12, v14
	v_addc_co_u32_e32 v15, vcc, v4, v15, vcc
	v_lshlrev_b64 v[18:19], 2, v[18:19]
	;; [unrolled: 3-line block ×3, first 2 shown]
	v_add_co_u32_e32 v20, vcc, s12, v20
	v_addc_co_u32_e32 v21, vcc, v4, v21, vcc
	global_load_dword v4, v[22:23], off
	global_load_dword v9, v[14:15], off
	;; [unrolled: 1-line block ×4, first 2 shown]
	s_andn2_b64 vcc, exec, s[4:5]
	v_pk_mov_b32 v[14:15], s[10:11], s[10:11] op_sel:[0,1]
	v_pk_mov_b32 v[18:19], s[8:9], s[8:9] op_sel:[0,1]
	s_cbranch_vccnz .LBB59_21
; %bb.20:                               ;   in Loop: Header=BB59_3 Depth=1
	v_pk_mov_b32 v[14:15], s[10:11], s[10:11] op_sel:[0,1]
	flat_load_dwordx2 v[14:15], v[14:15]
	v_pk_mov_b32 v[18:19], s[8:9], s[8:9] op_sel:[0,1]
	flat_load_dwordx2 v[18:19], v[18:19]
	v_mov_b32_e32 v20, s17
	s_waitcnt vmcnt(0) lgkmcnt(0)
	v_add_co_u32_e32 v14, vcc, s16, v14
	v_addc_co_u32_e32 v15, vcc, v15, v20, vcc
.LBB59_21:                              ;   in Loop: Header=BB59_3 Depth=1
	v_alignbit_b32 v28, v15, v14, 2
	v_lshrrev_b32_e32 v29, 2, v15
	v_xor_b32_e32 v20, v6, v18
	v_and_b32_e32 v35, 3, v14
	v_mad_u64_u32 v[14:15], s[0:1], v28, s60, 0
	v_xor_b32_e32 v20, v20, v29
	v_xor_b32_e32 v15, v15, v19
	v_add_u32_e32 v40, 0xbb67ae85, v19
	v_mad_u64_u32 v[20:21], s[0:1], v20, s60, 0
	v_mad_u64_u32 v[22:23], s[0:1], v15, s56, 0
	v_xor_b32_e32 v21, v40, v21
	v_add_u32_e32 v39, 0x9e3779b9, v18
	v_xor_b32_e32 v15, v2, v23
	v_xor_b32_e32 v21, v21, v14
	v_xor_b32_e32 v15, v15, v39
	v_add_u32_e32 v41, 0x3c6ef372, v18
	v_mad_u64_u32 v[24:25], s[0:1], v21, s56, 0
	v_add_u32_e32 v42, 0x76cf5d0a, v19
	v_mad_u64_u32 v[14:15], s[0:1], v15, s60, 0
	v_xor_b32_e32 v21, v41, v25
	v_xor_b32_e32 v21, v21, v22
	v_xor_b32_e32 v15, v42, v15
	v_xor_b32_e32 v15, v15, v20
	v_add_u32_e32 v44, 0x32370b8f, v19
	v_mad_u64_u32 v[20:21], s[0:1], v21, s60, 0
	v_add_u32_e32 v43, 0xdaa66d2b, v18
	v_mad_u64_u32 v[22:23], s[0:1], v15, s56, 0
	v_xor_b32_e32 v21, v44, v21
	;; [unrolled: 8-line block ×5, first 2 shown]
	v_xor_b32_e32 v21, v21, v22
	v_xor_b32_e32 v15, v50, v15
	;; [unrolled: 1-line block ×3, first 2 shown]
	v_add_u32_e32 v52, 0x1fd5c5a3, v19
	v_mad_u64_u32 v[20:21], s[0:1], v21, s60, 0
	v_xor_b32_e32 v21, v52, v21
	v_xor_b32_e32 v14, v21, v14
	v_add_u32_e32 v51, 0x5384540f, v18
	v_mad_u64_u32 v[26:27], s[0:1], v15, s56, 0
	v_add_co_u32_e32 v37, vcc, s61, v18
	v_mad_u64_u32 v[22:23], s[0:1], v14, s56, 0
	v_xor_b32_e32 v15, v51, v27
	v_xor_b32_e32 v14, v37, v23
	;; [unrolled: 1-line block ×4, first 2 shown]
	v_mad_u64_u32 v[24:25], s[0:1], v15, s60, 0
	v_mad_u64_u32 v[14:15], s[0:1], v14, s60, 0
	v_add_u32_e32 v38, 0x96a522ad, v19
	v_xor_b32_e32 v15, v15, v24
	v_xor_b32_e32 v36, v38, v15
	v_add_co_u32_e32 v15, vcc, 1, v28
	v_cndmask_b32_e64 v24, 0, 1, vcc
	v_addc_co_u32_e32 v30, vcc, 0, v29, vcc
	v_cmp_eq_u32_e32 vcc, 0, v30
	v_cndmask_b32_e32 v24, 0, v24, vcc
	v_add_u32_e32 v28, v24, v1
	v_cmp_eq_u32_e32 vcc, 0, v28
	v_mad_u64_u32 v[26:27], s[0:1], v15, s60, 0
	v_mad_u64_u32 v[28:29], s[0:1], v28, s56, 0
	v_add_u32_e32 v23, 0x8ff34781, v18
	v_cndmask_b32_e32 v24, 0, v24, vcc
	v_xor_b32_e32 v15, v29, v18
	v_xor_b32_e32 v18, v27, v19
	;; [unrolled: 1-line block ×4, first 2 shown]
	v_mad_u64_u32 v[30:31], s[0:1], v24, s56, 0
	v_add_u32_e32 v21, 0xdb3d7428, v19
	v_mad_u64_u32 v[18:19], s[0:1], v15, s60, 0
	v_xor_b32_e32 v15, v39, v31
	v_xor_b32_e32 v15, v15, v28
	v_xor_b32_e32 v19, v40, v19
	v_xor_b32_e32 v19, v19, v26
	v_mad_u64_u32 v[26:27], s[0:1], v15, s60, 0
	v_mad_u64_u32 v[28:29], s[0:1], v19, s56, 0
	v_xor_b32_e32 v19, v42, v27
	v_xor_b32_e32 v15, v41, v29
	v_xor_b32_e32 v24, v19, v18
	v_xor_b32_e32 v15, v15, v30
	v_mad_u64_u32 v[30:31], s[0:1], v24, s56, 0
	;; [unrolled: 6-line block ×7, first 2 shown]
	v_xor_b32_e32 v15, v21, v29
	v_xor_b32_e32 v15, v15, v18
	v_mad_u64_u32 v[30:31], s[0:1], v19, s56, 0
	v_mad_u64_u32 v[18:19], s[0:1], v15, s56, 0
	v_xor_b32_e32 v15, v19, v30
	v_xor_b32_e32 v15, v23, v15
	v_cmp_lt_i32_e32 vcc, 1, v35
                                        ; implicit-def: $vgpr27
	s_and_saveexec_b64 s[0:1], vcc
	s_xor_b64 s[0:1], exec, s[0:1]
	s_cbranch_execz .LBB59_27
; %bb.22:                               ;   in Loop: Header=BB59_3 Depth=1
	v_cmp_lt_i32_e32 vcc, 2, v35
                                        ; implicit-def: $vgpr27
	s_and_saveexec_b64 s[38:39], vcc
	s_xor_b64 s[38:39], exec, s[38:39]
; %bb.23:                               ;   in Loop: Header=BB59_3 Depth=1
	v_xor_b32_e32 v19, v37, v31
	v_xor_b32_e32 v19, v19, v26
	v_mul_hi_u32 v19, v19, s60
	v_xor_b32_e32 v19, v19, v28
	v_xor_b32_e32 v27, v38, v19
                                        ; implicit-def: $vgpr36
; %bb.24:                               ;   in Loop: Header=BB59_3 Depth=1
	s_andn2_saveexec_b64 s[38:39], s[38:39]
; %bb.25:                               ;   in Loop: Header=BB59_3 Depth=1
	v_mov_b32_e32 v27, v18
	v_mov_b32_e32 v18, v15
	;; [unrolled: 1-line block ×4, first 2 shown]
; %bb.26:                               ;   in Loop: Header=BB59_3 Depth=1
	s_or_b64 exec, exec, s[38:39]
                                        ; implicit-def: $vgpr20_vgpr21
                                        ; implicit-def: $vgpr22_vgpr23
                                        ; implicit-def: $vgpr35
                                        ; implicit-def: $vgpr36
                                        ; implicit-def: $vgpr24_vgpr25
                                        ; implicit-def: $vgpr21
                                        ; implicit-def: $vgpr23
.LBB59_27:                              ;   in Loop: Header=BB59_3 Depth=1
	s_andn2_saveexec_b64 s[0:1], s[0:1]
	s_cbranch_execz .LBB59_31
; %bb.28:                               ;   in Loop: Header=BB59_3 Depth=1
	v_xor_b32_e32 v18, v21, v25
	v_xor_b32_e32 v18, v18, v20
	v_mad_u64_u32 v[20:21], s[38:39], v18, s56, 0
	v_xor_b32_e32 v18, v21, v22
	v_xor_b32_e32 v19, v23, v18
	v_cmp_eq_u32_e32 vcc, 1, v35
	v_mov_b32_e32 v27, v14
	v_mov_b32_e32 v18, v36
	;; [unrolled: 1-line block ×3, first 2 shown]
	s_and_saveexec_b64 s[38:39], vcc
; %bb.29:                               ;   in Loop: Header=BB59_3 Depth=1
	v_mov_b32_e32 v27, v15
	v_mov_b32_e32 v18, v14
	;; [unrolled: 1-line block ×4, first 2 shown]
; %bb.30:                               ;   in Loop: Header=BB59_3 Depth=1
	s_or_b64 exec, exec, s[38:39]
	v_mov_b32_e32 v14, v19
	v_mov_b32_e32 v15, v21
.LBB59_31:                              ;   in Loop: Header=BB59_3 Depth=1
	s_or_b64 exec, exec, s[0:1]
	v_min_i32_e32 v19, 4, v32
	v_cmp_lt_i32_e32 vcc, 2, v19
	s_mov_b64 s[38:39], 0
	s_mov_b64 s[50:51], 0
                                        ; implicit-def: $sgpr40_sgpr41
                                        ; implicit-def: $sgpr42_sgpr43
                                        ; implicit-def: $sgpr44_sgpr45
	s_and_saveexec_b64 s[0:1], vcc
	s_xor_b64 s[46:47], exec, s[0:1]
	s_cbranch_execz .LBB59_41
; %bb.32:                               ;   in Loop: Header=BB59_3 Depth=1
	v_cmp_lt_i32_e32 vcc, 3, v19
	s_mov_b64 s[44:45], -1
                                        ; implicit-def: $sgpr40_sgpr41
                                        ; implicit-def: $sgpr48_sgpr49
	s_and_saveexec_b64 s[42:43], vcc
	s_cbranch_execz .LBB59_36
; %bb.33:                               ;   in Loop: Header=BB59_3 Depth=1
	s_waitcnt vmcnt(0)
	v_cmp_le_f32_e32 vcc, 0, v34
	v_cmp_ge_f32_e64 s[0:1], 1.0, v34
	s_and_b64 s[48:49], vcc, s[0:1]
	s_mov_b64 s[40:41], 0
	s_mov_b64 s[0:1], 0
	s_and_saveexec_b64 s[44:45], s[48:49]
	s_cbranch_execz .LBB59_35
; %bb.34:                               ;   in Loop: Header=BB59_3 Depth=1
	v_cvt_f32_u32_e32 v20, v27
	v_mov_b32_e32 v21, 0x2f800000
	v_lshlrev_b64 v[16:17], 1, v[16:17]
	v_add_co_u32_e32 v16, vcc, s2, v16
	v_fmac_f32_e32 v21, 0x2f800000, v20
	v_mov_b32_e32 v20, s3
	v_addc_co_u32_e32 v17, vcc, v20, v17, vcc
	v_cmp_le_f32_e32 vcc, v21, v34
	s_mov_b64 s[0:1], exec
	v_cndmask_b32_e64 v20, 0, 1, vcc
	global_store_short v[16:17], v20, off
.LBB59_35:                              ;   in Loop: Header=BB59_3 Depth=1
	s_or_b64 exec, exec, s[44:45]
	s_mov_b64 s[48:49], -1
	s_orn2_b64 s[44:45], s[0:1], exec
.LBB59_36:                              ;   in Loop: Header=BB59_3 Depth=1
	s_or_b64 exec, exec, s[42:43]
	s_mov_b64 s[0:1], 0
	s_mov_b64 s[50:51], s[40:41]
	s_and_saveexec_b64 s[42:43], s[44:45]
	s_cbranch_execz .LBB59_40
; %bb.37:                               ;   in Loop: Header=BB59_3 Depth=1
	s_waitcnt vmcnt(1)
	v_cmp_le_f32_e32 vcc, 0, v33
	v_cmp_ge_f32_e64 s[0:1], 1.0, v33
	s_and_b64 s[44:45], vcc, s[0:1]
	s_mov_b64 s[0:1], 0
	s_and_saveexec_b64 s[50:51], s[44:45]
	s_xor_b64 s[44:45], exec, s[50:51]
	s_cbranch_execz .LBB59_39
; %bb.38:                               ;   in Loop: Header=BB59_3 Depth=1
	v_cvt_f32_u32_e32 v16, v18
	v_mov_b32_e32 v17, 0x2f800000
	v_lshlrev_b64 v[12:13], 1, v[12:13]
	v_add_co_u32_e32 v12, vcc, s2, v12
	v_fmac_f32_e32 v17, 0x2f800000, v16
	v_mov_b32_e32 v16, s3
	v_addc_co_u32_e32 v13, vcc, v16, v13, vcc
	v_cmp_le_f32_e32 vcc, v17, v33
	v_cndmask_b32_e64 v16, 0, 1, vcc
	s_mov_b64 s[0:1], exec
	global_store_short v[12:13], v16, off
.LBB59_39:                              ;   in Loop: Header=BB59_3 Depth=1
	s_or_b64 exec, exec, s[44:45]
	s_andn2_b64 s[50:51], s[40:41], exec
	s_or_b64 s[40:41], s[40:41], exec
	s_andn2_b64 s[48:49], s[48:49], exec
	s_and_b64 s[0:1], s[0:1], exec
.LBB59_40:                              ;   in Loop: Header=BB59_3 Depth=1
	s_or_b64 exec, exec, s[42:43]
	s_and_b64 s[44:45], s[50:51], exec
	s_and_b64 s[42:43], s[40:41], exec
	;; [unrolled: 1-line block ×4, first 2 shown]
.LBB59_41:                              ;   in Loop: Header=BB59_3 Depth=1
	s_andn2_saveexec_b64 s[0:1], s[46:47]
; %bb.42:                               ;   in Loop: Header=BB59_3 Depth=1
	v_cmp_lt_i32_e32 vcc, 1, v19
	s_andn2_b64 s[46:47], s[50:51], exec
	s_and_b64 s[48:49], vcc, exec
	s_mov_b64 s[38:39], exec
	s_andn2_b64 s[44:45], s[44:45], exec
	s_andn2_b64 s[42:43], s[42:43], exec
	;; [unrolled: 1-line block ×3, first 2 shown]
	s_or_b64 s[50:51], s[46:47], s[48:49]
; %bb.43:                               ;   in Loop: Header=BB59_3 Depth=1
	s_or_b64 exec, exec, s[0:1]
	s_mov_b64 s[46:47], 0
	s_mov_b64 s[0:1], 0
	;; [unrolled: 1-line block ×3, first 2 shown]
	s_and_saveexec_b64 s[52:53], s[50:51]
	s_cbranch_execnz .LBB59_46
; %bb.44:                               ;   in Loop: Header=BB59_3 Depth=1
	s_or_b64 exec, exec, s[52:53]
	s_and_saveexec_b64 s[50:51], s[38:39]
	s_cbranch_execnz .LBB59_49
.LBB59_45:                              ;   in Loop: Header=BB59_3 Depth=1
	s_or_b64 exec, exec, s[50:51]
	s_and_saveexec_b64 s[38:39], s[0:1]
	s_cbranch_execnz .LBB59_50
	s_branch .LBB59_53
.LBB59_46:                              ;   in Loop: Header=BB59_3 Depth=1
	s_waitcnt vmcnt(2)
	v_cmp_le_f32_e32 vcc, 0, v9
	v_cmp_ge_f32_e64 s[0:1], 1.0, v9
	s_and_b64 s[48:49], vcc, s[0:1]
	s_mov_b64 s[0:1], 0
	s_and_saveexec_b64 s[50:51], s[48:49]
	s_xor_b64 s[48:49], exec, s[50:51]
	s_cbranch_execz .LBB59_48
; %bb.47:                               ;   in Loop: Header=BB59_3 Depth=1
	v_cvt_f32_u32_e32 v12, v15
	v_mov_b32_e32 v13, 0x2f800000
	v_lshlrev_b64 v[10:11], 1, v[10:11]
	v_add_co_u32_e32 v10, vcc, s2, v10
	v_fmac_f32_e32 v13, 0x2f800000, v12
	v_mov_b32_e32 v12, s3
	v_addc_co_u32_e32 v11, vcc, v12, v11, vcc
	v_cmp_le_f32_e32 vcc, v13, v9
	v_cndmask_b32_e64 v9, 0, 1, vcc
	s_mov_b64 s[0:1], exec
	global_store_short v[10:11], v9, off
.LBB59_48:                              ;   in Loop: Header=BB59_3 Depth=1
	s_or_b64 exec, exec, s[48:49]
	s_andn2_b64 s[48:49], s[44:45], exec
	s_or_b64 s[44:45], s[44:45], exec
	s_andn2_b64 s[42:43], s[42:43], exec
	s_andn2_b64 s[40:41], s[40:41], exec
	s_and_b64 s[0:1], s[0:1], exec
	s_andn2_b64 s[38:39], s[38:39], exec
	s_or_b64 exec, exec, s[52:53]
	s_and_saveexec_b64 s[50:51], s[38:39]
	s_cbranch_execz .LBB59_45
.LBB59_49:                              ;   in Loop: Header=BB59_3 Depth=1
	v_cmp_eq_u32_e32 vcc, 1, v19
	s_andn2_b64 s[0:1], s[0:1], exec
	s_and_b64 s[38:39], vcc, exec
	s_mov_b64 s[46:47], exec
	s_andn2_b64 s[48:49], s[48:49], exec
	s_andn2_b64 s[44:45], s[44:45], exec
	;; [unrolled: 1-line block ×4, first 2 shown]
	s_or_b64 s[0:1], s[0:1], s[38:39]
	s_or_b64 exec, exec, s[50:51]
	s_and_saveexec_b64 s[38:39], s[0:1]
	s_cbranch_execz .LBB59_53
.LBB59_50:                              ;   in Loop: Header=BB59_3 Depth=1
	s_waitcnt vmcnt(3)
	v_cmp_le_f32_e32 vcc, 0, v4
	v_cmp_ge_f32_e64 s[0:1], 1.0, v4
	s_and_b64 s[52:53], vcc, s[0:1]
	s_mov_b64 s[0:1], 0
	s_and_saveexec_b64 s[50:51], s[52:53]
	s_cbranch_execz .LBB59_52
; %bb.51:                               ;   in Loop: Header=BB59_3 Depth=1
	v_cvt_f32_u32_e32 v10, v14
	s_waitcnt vmcnt(2)
	v_mov_b32_e32 v9, v5
	v_mov_b32_e32 v11, 0x2f800000
	v_lshlrev_b64 v[8:9], 1, v[8:9]
	v_fmac_f32_e32 v11, 0x2f800000, v10
	v_mov_b32_e32 v10, s3
	v_add_co_u32_e32 v8, vcc, s2, v8
	v_addc_co_u32_e32 v9, vcc, v10, v9, vcc
	v_cmp_le_f32_e32 vcc, v11, v4
	s_mov_b64 s[0:1], exec
	v_cndmask_b32_e64 v4, 0, 1, vcc
	global_store_short v[8:9], v4, off
.LBB59_52:                              ;   in Loop: Header=BB59_3 Depth=1
	s_or_b64 exec, exec, s[50:51]
	s_andn2_b64 s[46:47], s[46:47], exec
	s_and_b64 s[0:1], s[0:1], exec
	s_or_b64 s[48:49], s[48:49], exec
	s_andn2_b64 s[44:45], s[44:45], exec
	s_andn2_b64 s[42:43], s[42:43], exec
	;; [unrolled: 1-line block ×3, first 2 shown]
	s_or_b64 s[46:47], s[46:47], s[0:1]
.LBB59_53:                              ;   in Loop: Header=BB59_3 Depth=1
	s_or_b64 exec, exec, s[38:39]
	s_andn2_b64 s[36:37], s[36:37], exec
	s_and_b64 s[38:39], s[48:49], exec
	s_or_b64 s[36:37], s[36:37], s[38:39]
	s_andn2_b64 s[34:35], s[34:35], exec
	s_and_b64 s[38:39], s[44:45], exec
	s_or_b64 s[34:35], s[34:35], s[38:39]
	;; [unrolled: 3-line block ×3, first 2 shown]
	s_andn2_b64 s[28:29], s[28:29], exec
	s_and_b64 s[38:39], s[40:41], exec
	s_mov_b64 s[0:1], -1
	s_or_b64 s[28:29], s[28:29], s[38:39]
	s_and_saveexec_b64 s[38:39], s[46:47]
	s_cbranch_execz .LBB59_2
; %bb.54:                               ;   in Loop: Header=BB59_3 Depth=1
	v_add_u32_e32 v0, s57, v0
	v_cmp_le_u32_e32 vcc, s33, v0
	v_subrev_u32_e32 v32, s57, v32
	s_andn2_b64 s[36:37], s[36:37], exec
	s_andn2_b64 s[34:35], s[34:35], exec
	;; [unrolled: 1-line block ×4, first 2 shown]
	s_orn2_b64 s[0:1], vcc, exec
	s_branch .LBB59_2
.LBB59_55:
	s_or_b64 exec, exec, s[20:21]
	s_xor_b64 s[6:7], s[26:27], -1
	s_xor_b64 s[8:9], s[24:25], -1
	;; [unrolled: 1-line block ×3, first 2 shown]
	s_mov_b64 s[2:3], 0
	s_and_saveexec_b64 s[4:5], s[0:1]
	s_xor_b64 s[0:1], exec, s[4:5]
	s_cbranch_execnz .LBB59_60
; %bb.56:
	s_andn2_saveexec_b64 s[0:1], s[0:1]
	s_cbranch_execnz .LBB59_68
.LBB59_57:
	s_or_b64 exec, exec, s[0:1]
	s_and_b64 exec, exec, s[2:3]
.LBB59_58:
	; divergent unreachable
.LBB59_59:
	s_endpgm
.LBB59_60:
	s_mov_b64 s[4:5], 0
	s_and_saveexec_b64 s[2:3], s[8:9]
	s_xor_b64 s[2:3], exec, s[2:3]
	s_cbranch_execz .LBB59_66
; %bb.61:
	s_and_saveexec_b64 s[8:9], s[6:7]
	s_xor_b64 s[6:7], exec, s[8:9]
	s_cbranch_execz .LBB59_64
; %bb.62:
	s_and_saveexec_b64 s[8:9], s[18:19]
	s_xor_b64 s[8:9], exec, s[8:9]
	s_cbranch_execnz .LBB59_71
.LBB59_63:
	s_or_b64 exec, exec, s[8:9]
	s_and_b64 s[4:5], s[4:5], exec
.LBB59_64:
	s_andn2_saveexec_b64 s[6:7], s[6:7]
	s_cbranch_execnz .LBB59_70
.LBB59_65:
	s_or_b64 exec, exec, s[6:7]
	s_and_b64 s[4:5], s[4:5], exec
.LBB59_66:
	s_andn2_saveexec_b64 s[2:3], s[2:3]
	s_cbranch_execnz .LBB59_69
.LBB59_67:
	s_or_b64 exec, exec, s[2:3]
	s_and_b64 s[2:3], s[4:5], exec
	s_andn2_saveexec_b64 s[0:1], s[0:1]
	s_cbranch_execz .LBB59_57
.LBB59_68:
	s_or_b64 s[2:3], s[2:3], exec
	s_trap 2
	s_or_b64 exec, exec, s[0:1]
	s_and_b64 exec, exec, s[2:3]
	s_cbranch_execnz .LBB59_58
	s_branch .LBB59_59
.LBB59_69:
	s_or_b64 s[4:5], s[4:5], exec
	s_trap 2
	s_branch .LBB59_67
.LBB59_70:
	s_trap 2
	s_or_b64 s[4:5], s[4:5], exec
	s_branch .LBB59_65
.LBB59_71:
	s_mov_b64 s[4:5], exec
	s_trap 2
	s_branch .LBB59_63
	.section	.rodata,"a",@progbits
	.p2align	6, 0x0
	.amdhsa_kernel _ZN2at4cuda12_GLOBAL__N_121kernelPointwiseApply2IZNS_6native9templates4cuda28bernoulli_tensor_cuda_kernelIsfEEvRKNS_10TensorBaseES9_NS_15PhiloxCudaStateEEUliRsSB_SB_SB_RKfSD_SD_SD_E_sSC_jLi2ELi2ELi4ELi512ELi2EEEvNS0_6detail10TensorInfoIT0_T2_EENSG_IT1_SI_EESI_T_
		.amdhsa_group_segment_fixed_size 0
		.amdhsa_private_segment_fixed_size 0
		.amdhsa_kernarg_size 728
		.amdhsa_user_sgpr_count 6
		.amdhsa_user_sgpr_private_segment_buffer 1
		.amdhsa_user_sgpr_dispatch_ptr 0
		.amdhsa_user_sgpr_queue_ptr 0
		.amdhsa_user_sgpr_kernarg_segment_ptr 1
		.amdhsa_user_sgpr_dispatch_id 0
		.amdhsa_user_sgpr_flat_scratch_init 0
		.amdhsa_user_sgpr_kernarg_preload_length 0
		.amdhsa_user_sgpr_kernarg_preload_offset 0
		.amdhsa_user_sgpr_private_segment_size 0
		.amdhsa_uses_dynamic_stack 0
		.amdhsa_system_sgpr_private_segment_wavefront_offset 0
		.amdhsa_system_sgpr_workgroup_id_x 1
		.amdhsa_system_sgpr_workgroup_id_y 0
		.amdhsa_system_sgpr_workgroup_id_z 0
		.amdhsa_system_sgpr_workgroup_info 0
		.amdhsa_system_vgpr_workitem_id 0
		.amdhsa_next_free_vgpr 53
		.amdhsa_next_free_sgpr 62
		.amdhsa_accum_offset 56
		.amdhsa_reserve_vcc 1
		.amdhsa_reserve_flat_scratch 0
		.amdhsa_float_round_mode_32 0
		.amdhsa_float_round_mode_16_64 0
		.amdhsa_float_denorm_mode_32 3
		.amdhsa_float_denorm_mode_16_64 3
		.amdhsa_dx10_clamp 1
		.amdhsa_ieee_mode 1
		.amdhsa_fp16_overflow 0
		.amdhsa_tg_split 0
		.amdhsa_exception_fp_ieee_invalid_op 0
		.amdhsa_exception_fp_denorm_src 0
		.amdhsa_exception_fp_ieee_div_zero 0
		.amdhsa_exception_fp_ieee_overflow 0
		.amdhsa_exception_fp_ieee_underflow 0
		.amdhsa_exception_fp_ieee_inexact 0
		.amdhsa_exception_int_div_zero 0
	.end_amdhsa_kernel
	.section	.text._ZN2at4cuda12_GLOBAL__N_121kernelPointwiseApply2IZNS_6native9templates4cuda28bernoulli_tensor_cuda_kernelIsfEEvRKNS_10TensorBaseES9_NS_15PhiloxCudaStateEEUliRsSB_SB_SB_RKfSD_SD_SD_E_sSC_jLi2ELi2ELi4ELi512ELi2EEEvNS0_6detail10TensorInfoIT0_T2_EENSG_IT1_SI_EESI_T_,"axG",@progbits,_ZN2at4cuda12_GLOBAL__N_121kernelPointwiseApply2IZNS_6native9templates4cuda28bernoulli_tensor_cuda_kernelIsfEEvRKNS_10TensorBaseES9_NS_15PhiloxCudaStateEEUliRsSB_SB_SB_RKfSD_SD_SD_E_sSC_jLi2ELi2ELi4ELi512ELi2EEEvNS0_6detail10TensorInfoIT0_T2_EENSG_IT1_SI_EESI_T_,comdat
.Lfunc_end59:
	.size	_ZN2at4cuda12_GLOBAL__N_121kernelPointwiseApply2IZNS_6native9templates4cuda28bernoulli_tensor_cuda_kernelIsfEEvRKNS_10TensorBaseES9_NS_15PhiloxCudaStateEEUliRsSB_SB_SB_RKfSD_SD_SD_E_sSC_jLi2ELi2ELi4ELi512ELi2EEEvNS0_6detail10TensorInfoIT0_T2_EENSG_IT1_SI_EESI_T_, .Lfunc_end59-_ZN2at4cuda12_GLOBAL__N_121kernelPointwiseApply2IZNS_6native9templates4cuda28bernoulli_tensor_cuda_kernelIsfEEvRKNS_10TensorBaseES9_NS_15PhiloxCudaStateEEUliRsSB_SB_SB_RKfSD_SD_SD_E_sSC_jLi2ELi2ELi4ELi512ELi2EEEvNS0_6detail10TensorInfoIT0_T2_EENSG_IT1_SI_EESI_T_
                                        ; -- End function
	.section	.AMDGPU.csdata,"",@progbits
; Kernel info:
; codeLenInByte = 3452
; NumSgprs: 66
; NumVgprs: 53
; NumAgprs: 0
; TotalNumVgprs: 53
; ScratchSize: 0
; MemoryBound: 0
; FloatMode: 240
; IeeeMode: 1
; LDSByteSize: 0 bytes/workgroup (compile time only)
; SGPRBlocks: 8
; VGPRBlocks: 6
; NumSGPRsForWavesPerEU: 66
; NumVGPRsForWavesPerEU: 53
; AccumOffset: 56
; Occupancy: 8
; WaveLimiterHint : 1
; COMPUTE_PGM_RSRC2:SCRATCH_EN: 0
; COMPUTE_PGM_RSRC2:USER_SGPR: 6
; COMPUTE_PGM_RSRC2:TRAP_HANDLER: 0
; COMPUTE_PGM_RSRC2:TGID_X_EN: 1
; COMPUTE_PGM_RSRC2:TGID_Y_EN: 0
; COMPUTE_PGM_RSRC2:TGID_Z_EN: 0
; COMPUTE_PGM_RSRC2:TIDIG_COMP_CNT: 0
; COMPUTE_PGM_RSRC3_GFX90A:ACCUM_OFFSET: 13
; COMPUTE_PGM_RSRC3_GFX90A:TG_SPLIT: 0
	.section	.text._ZN2at4cuda12_GLOBAL__N_121kernelPointwiseApply2IZNS_6native9templates4cuda28bernoulli_tensor_cuda_kernelIsfEEvRKNS_10TensorBaseES9_NS_15PhiloxCudaStateEEUliRsSB_SB_SB_RKfSD_SD_SD_E_sSC_jLi2ELin1ELi4ELi512ELi2EEEvNS0_6detail10TensorInfoIT0_T2_EENSG_IT1_SI_EESI_T_,"axG",@progbits,_ZN2at4cuda12_GLOBAL__N_121kernelPointwiseApply2IZNS_6native9templates4cuda28bernoulli_tensor_cuda_kernelIsfEEvRKNS_10TensorBaseES9_NS_15PhiloxCudaStateEEUliRsSB_SB_SB_RKfSD_SD_SD_E_sSC_jLi2ELin1ELi4ELi512ELi2EEEvNS0_6detail10TensorInfoIT0_T2_EENSG_IT1_SI_EESI_T_,comdat
	.globl	_ZN2at4cuda12_GLOBAL__N_121kernelPointwiseApply2IZNS_6native9templates4cuda28bernoulli_tensor_cuda_kernelIsfEEvRKNS_10TensorBaseES9_NS_15PhiloxCudaStateEEUliRsSB_SB_SB_RKfSD_SD_SD_E_sSC_jLi2ELin1ELi4ELi512ELi2EEEvNS0_6detail10TensorInfoIT0_T2_EENSG_IT1_SI_EESI_T_ ; -- Begin function _ZN2at4cuda12_GLOBAL__N_121kernelPointwiseApply2IZNS_6native9templates4cuda28bernoulli_tensor_cuda_kernelIsfEEvRKNS_10TensorBaseES9_NS_15PhiloxCudaStateEEUliRsSB_SB_SB_RKfSD_SD_SD_E_sSC_jLi2ELin1ELi4ELi512ELi2EEEvNS0_6detail10TensorInfoIT0_T2_EENSG_IT1_SI_EESI_T_
	.p2align	8
	.type	_ZN2at4cuda12_GLOBAL__N_121kernelPointwiseApply2IZNS_6native9templates4cuda28bernoulli_tensor_cuda_kernelIsfEEvRKNS_10TensorBaseES9_NS_15PhiloxCudaStateEEUliRsSB_SB_SB_RKfSD_SD_SD_E_sSC_jLi2ELin1ELi4ELi512ELi2EEEvNS0_6detail10TensorInfoIT0_T2_EENSG_IT1_SI_EESI_T_,@function
_ZN2at4cuda12_GLOBAL__N_121kernelPointwiseApply2IZNS_6native9templates4cuda28bernoulli_tensor_cuda_kernelIsfEEvRKNS_10TensorBaseES9_NS_15PhiloxCudaStateEEUliRsSB_SB_SB_RKfSD_SD_SD_E_sSC_jLi2ELin1ELi4ELi512ELi2EEEvNS0_6detail10TensorInfoIT0_T2_EENSG_IT1_SI_EESI_T_: ; @_ZN2at4cuda12_GLOBAL__N_121kernelPointwiseApply2IZNS_6native9templates4cuda28bernoulli_tensor_cuda_kernelIsfEEvRKNS_10TensorBaseES9_NS_15PhiloxCudaStateEEUliRsSB_SB_SB_RKfSD_SD_SD_E_sSC_jLi2ELin1ELi4ELi512ELi2EEEvNS0_6detail10TensorInfoIT0_T2_EENSG_IT1_SI_EESI_T_
; %bb.0:
	s_load_dword s2, s[4:5], 0x1e4
	s_load_dword s33, s[4:5], 0x1b0
	s_add_u32 s0, s4, 0x1d8
	s_addc_u32 s1, s5, 0
	s_waitcnt lgkmcnt(0)
	s_and_b32 s2, s2, 0xffff
	s_mul_i32 s6, s6, s2
	v_add_u32_e32 v5, s6, v0
	v_lshlrev_b32_e32 v30, 2, v5
	v_cmp_gt_u32_e32 vcc, s33, v30
	s_and_saveexec_b64 s[6:7], vcc
	s_cbranch_execz .LBB60_73
; %bb.1:
	s_load_dword s3, s[0:1], 0x0
	s_load_dwordx2 s[6:7], s[4:5], 0x1c8
	s_load_dwordx4 s[8:11], s[4:5], 0x1b8
	s_load_dword s20, s[4:5], 0x1a8
	s_load_dwordx2 s[12:13], s[4:5], 0x0
	s_load_dword s54, s[4:5], 0xc
	s_waitcnt lgkmcnt(0)
	s_mul_i32 s21, s3, s2
	s_load_dword s2, s[4:5], 0x1d0
	s_load_dword s55, s[4:5], 0x144
	s_add_u32 s18, s4, 0xd8
	s_addc_u32 s19, s5, 0
	v_cvt_f32_u32_e32 v0, s54
	s_cmp_gt_i32 s20, 1
	s_mov_b32 s56, 0xcd9e8d57
	s_cselect_b64 s[0:1], -1, 0
	v_rcp_iflag_f32_e32 v2, v0
	s_waitcnt lgkmcnt(0)
	s_bitcmp1_b32 s2, 0
	v_mad_u64_u32 v[0:1], s[2:3], v5, s56, 0
	v_mul_f32_e32 v2, 0x4f7ffffe, v2
	v_cvt_u32_f32_e32 v2, v2
	s_load_dwordx2 s[14:15], s[4:5], 0x6c
	s_load_dwordx2 s[16:17], s[4:5], 0xd8
	s_cselect_b64 s[4:5], -1, 0
	s_sub_i32 s2, 0, s54
	s_mov_b32 s3, 0
	v_mov_b32_e32 v4, v1
	v_mul_lo_u32 v1, s2, v2
	s_add_i32 s2, s20, -1
	s_lshl_b32 s57, s21, 2
	s_add_i32 s58, s20, 1
	s_lshl_b64 s[2:3], s[2:3], 2
	s_add_u32 s2, s2, s18
	s_addc_u32 s3, s3, s19
	v_mul_hi_u32 v1, v2, v1
	s_add_u32 s20, s2, 8
	v_mov_b32_e32 v3, 0
	v_add_u32_e32 v1, v2, v1
	s_addc_u32 s21, s3, 0
	s_mov_b64 s[22:23], 0
	v_cndmask_b32_e64 v31, 0, 1, s[0:1]
	s_mov_b32 s59, 0xd2511f53
	s_mov_b32 s60, 0xf1bbcdc8
                                        ; implicit-def: $sgpr24_sgpr25
                                        ; implicit-def: $sgpr26_sgpr27
                                        ; implicit-def: $sgpr28_sgpr29
                                        ; implicit-def: $sgpr18_sgpr19
                                        ; implicit-def: $sgpr30_sgpr31
                                        ; implicit-def: $sgpr34_sgpr35
                                        ; implicit-def: $sgpr36_sgpr37
                                        ; implicit-def: $sgpr38_sgpr39
	s_branch .LBB60_3
.LBB60_2:                               ;   in Loop: Header=BB60_3 Depth=1
	s_or_b64 exec, exec, s[2:3]
	s_and_b64 s[0:1], exec, s[0:1]
	s_or_b64 s[22:23], s[0:1], s[22:23]
	s_andn2_b64 s[0:1], s[18:19], exec
	s_and_b64 s[2:3], s[38:39], exec
	s_or_b64 s[18:19], s[0:1], s[2:3]
	s_andn2_b64 s[0:1], s[28:29], exec
	s_and_b64 s[2:3], s[36:37], exec
	;; [unrolled: 3-line block ×4, first 2 shown]
	s_or_b64 s[24:25], s[0:1], s[2:3]
	s_andn2_b64 exec, exec, s[22:23]
	s_cbranch_execz .LBB60_69
.LBB60_3:                               ; =>This Loop Header: Depth=1
                                        ;     Child Loop BB60_8 Depth 2
                                        ;     Child Loop BB60_15 Depth 2
	;; [unrolled: 1-line block ×4, first 2 shown]
	v_sub_u32_e32 v32, s33, v30
	v_cmp_lt_i32_e32 vcc, 0, v32
	v_mov_b32_e32 v6, 0
	s_and_saveexec_b64 s[2:3], vcc
	s_cbranch_execz .LBB60_5
; %bb.4:                                ;   in Loop: Header=BB60_3 Depth=1
	s_waitcnt vmcnt(3)
	v_mul_hi_u32 v2, v30, v1
	v_mul_lo_u32 v6, v2, s54
	v_sub_u32_e32 v6, v30, v6
	s_waitcnt vmcnt(2)
	v_add_u32_e32 v7, 1, v2
	v_cmp_le_u32_e64 s[0:1], s54, v6
	v_cndmask_b32_e64 v2, v2, v7, s[0:1]
	v_subrev_u32_e32 v7, s54, v6
	v_cndmask_b32_e64 v6, v6, v7, s[0:1]
	v_add_u32_e32 v7, 1, v2
	v_cmp_le_u32_e64 s[0:1], s54, v6
	v_cndmask_b32_e64 v6, v2, v7, s[0:1]
	v_mul_lo_u32 v2, v6, s54
	v_sub_u32_e32 v2, v30, v2
	s_waitcnt lgkmcnt(0)
	v_mul_lo_u32 v2, v2, s15
	v_mad_u64_u32 v[6:7], s[0:1], v6, s14, v[2:3]
.LBB60_5:                               ;   in Loop: Header=BB60_3 Depth=1
	s_or_b64 exec, exec, s[2:3]
	s_waitcnt vmcnt(3)
	v_mov_b32_e32 v2, 0
	v_cmp_ne_u32_e64 s[0:1], 1, v31
	s_and_saveexec_b64 s[2:3], vcc
	s_cbranch_execz .LBB60_10
; %bb.6:                                ;   in Loop: Header=BB60_3 Depth=1
	s_and_b64 vcc, exec, s[0:1]
	v_mov_b32_e32 v8, 0
	v_mov_b32_e32 v2, v30
	s_cbranch_vccnz .LBB60_9
; %bb.7:                                ;   in Loop: Header=BB60_3 Depth=1
	v_mov_b32_e32 v8, 0
	s_mov_b64 s[40:41], s[20:21]
	s_mov_b32 s42, s58
	v_mov_b32_e32 v2, v30
.LBB60_8:                               ;   Parent Loop BB60_3 Depth=1
                                        ; =>  This Inner Loop Header: Depth=2
	s_load_dword s43, s[40:41], 0x0
	s_load_dword s44, s[40:41], 0x64
	s_waitcnt vmcnt(2)
	v_mov_b32_e32 v7, v2
	s_add_i32 s42, s42, -1
	s_waitcnt lgkmcnt(0)
	v_cvt_f32_u32_e32 v2, s43
	s_sub_i32 s45, 0, s43
	s_add_u32 s40, s40, -4
	s_addc_u32 s41, s41, -1
	v_rcp_iflag_f32_e32 v2, v2
	s_cmp_gt_u32 s42, 2
	v_mul_f32_e32 v2, 0x4f7ffffe, v2
	v_cvt_u32_f32_e32 v2, v2
	s_waitcnt vmcnt(1)
	v_mul_lo_u32 v9, s45, v2
	v_mul_hi_u32 v9, v2, v9
	v_add_u32_e32 v2, v2, v9
	v_mul_hi_u32 v2, v7, v2
	v_mul_lo_u32 v9, v2, s43
	v_sub_u32_e32 v9, v7, v9
	v_add_u32_e32 v10, 1, v2
	v_cmp_le_u32_e32 vcc, s43, v9
	v_cndmask_b32_e32 v2, v2, v10, vcc
	v_subrev_u32_e32 v10, s43, v9
	v_cndmask_b32_e32 v9, v9, v10, vcc
	v_add_u32_e32 v10, 1, v2
	v_cmp_le_u32_e32 vcc, s43, v9
	v_cndmask_b32_e32 v2, v2, v10, vcc
	v_mul_lo_u32 v9, v2, s43
	v_sub_u32_e32 v7, v7, v9
	v_mad_u64_u32 v[8:9], s[44:45], s44, v7, v[8:9]
	s_cbranch_scc1 .LBB60_8
.LBB60_9:                               ;   in Loop: Header=BB60_3 Depth=1
	s_waitcnt vmcnt(1)
	v_mad_u64_u32 v[8:9], s[40:41], s55, v2, v[8:9]
	v_mov_b32_e32 v2, v8
.LBB60_10:                              ;   in Loop: Header=BB60_3 Depth=1
	s_or_b64 exec, exec, s[2:3]
	s_waitcnt vmcnt(2)
	v_or_b32_e32 v7, 1, v30
	v_cmp_lt_i32_e32 vcc, 1, v32
	v_mov_b32_e32 v12, 0
	v_mov_b32_e32 v8, 0
	s_and_saveexec_b64 s[40:41], vcc
	s_cbranch_execz .LBB60_12
; %bb.11:                               ;   in Loop: Header=BB60_3 Depth=1
	v_mul_hi_u32 v8, v7, v1
	s_waitcnt vmcnt(1)
	v_mul_lo_u32 v9, v8, s54
	v_sub_u32_e32 v9, v7, v9
	v_add_u32_e32 v10, 1, v8
	v_cmp_le_u32_e64 s[2:3], s54, v9
	v_cndmask_b32_e64 v8, v8, v10, s[2:3]
	v_subrev_u32_e32 v10, s54, v9
	v_cndmask_b32_e64 v9, v9, v10, s[2:3]
	v_add_u32_e32 v10, 1, v8
	v_cmp_le_u32_e64 s[2:3], s54, v9
	v_cndmask_b32_e64 v9, v8, v10, s[2:3]
	v_mul_lo_u32 v8, v9, s54
	v_sub_u32_e32 v8, v7, v8
	s_waitcnt lgkmcnt(0)
	v_mul_lo_u32 v8, v8, s15
	v_mad_u64_u32 v[8:9], s[2:3], v9, s14, v[8:9]
.LBB60_12:                              ;   in Loop: Header=BB60_3 Depth=1
	s_or_b64 exec, exec, s[40:41]
	s_and_saveexec_b64 s[2:3], vcc
	s_cbranch_execz .LBB60_17
; %bb.13:                               ;   in Loop: Header=BB60_3 Depth=1
	s_and_b64 vcc, exec, s[0:1]
	v_mov_b32_e32 v10, 0
	s_cbranch_vccnz .LBB60_16
; %bb.14:                               ;   in Loop: Header=BB60_3 Depth=1
	v_mov_b32_e32 v10, 0
	s_mov_b64 s[40:41], s[20:21]
	s_mov_b32 s42, s58
.LBB60_15:                              ;   Parent Loop BB60_3 Depth=1
                                        ; =>  This Inner Loop Header: Depth=2
	s_load_dword s43, s[40:41], 0x0
	s_load_dword s44, s[40:41], 0x64
	s_waitcnt vmcnt(1)
	v_mov_b32_e32 v9, v7
	s_add_i32 s42, s42, -1
	s_waitcnt lgkmcnt(0)
	v_cvt_f32_u32_e32 v7, s43
	s_sub_i32 s45, 0, s43
	s_add_u32 s40, s40, -4
	s_addc_u32 s41, s41, -1
	v_rcp_iflag_f32_e32 v7, v7
	s_cmp_gt_u32 s42, 2
	v_mul_f32_e32 v7, 0x4f7ffffe, v7
	v_cvt_u32_f32_e32 v7, v7
	s_waitcnt vmcnt(0)
	v_mul_lo_u32 v11, s45, v7
	v_mul_hi_u32 v11, v7, v11
	v_add_u32_e32 v7, v7, v11
	v_mul_hi_u32 v7, v9, v7
	v_mul_lo_u32 v11, v7, s43
	v_sub_u32_e32 v11, v9, v11
	v_add_u32_e32 v12, 1, v7
	v_cmp_le_u32_e32 vcc, s43, v11
	v_cndmask_b32_e32 v7, v7, v12, vcc
	v_subrev_u32_e32 v12, s43, v11
	v_cndmask_b32_e32 v11, v11, v12, vcc
	v_add_u32_e32 v12, 1, v7
	v_cmp_le_u32_e32 vcc, s43, v11
	v_cndmask_b32_e32 v7, v7, v12, vcc
	v_mul_lo_u32 v11, v7, s43
	v_sub_u32_e32 v9, v9, v11
	v_mad_u64_u32 v[10:11], s[44:45], s44, v9, v[10:11]
	s_cbranch_scc1 .LBB60_15
.LBB60_16:                              ;   in Loop: Header=BB60_3 Depth=1
	s_waitcnt vmcnt(0)
	v_mad_u64_u32 v[12:13], s[40:41], s55, v7, v[10:11]
.LBB60_17:                              ;   in Loop: Header=BB60_3 Depth=1
	s_or_b64 exec, exec, s[2:3]
	v_or_b32_e32 v7, 2, v30
	v_cmp_lt_i32_e32 vcc, 2, v32
	v_mov_b32_e32 v10, 0
	s_and_saveexec_b64 s[40:41], vcc
	s_cbranch_execz .LBB60_19
; %bb.18:                               ;   in Loop: Header=BB60_3 Depth=1
	s_waitcnt vmcnt(1)
	v_mul_hi_u32 v9, v7, v1
	v_mul_lo_u32 v10, v9, s54
	v_sub_u32_e32 v10, v7, v10
	s_waitcnt vmcnt(0)
	v_add_u32_e32 v11, 1, v9
	v_cmp_le_u32_e64 s[2:3], s54, v10
	v_cndmask_b32_e64 v9, v9, v11, s[2:3]
	v_subrev_u32_e32 v11, s54, v10
	v_cndmask_b32_e64 v10, v10, v11, s[2:3]
	v_add_u32_e32 v11, 1, v9
	v_cmp_le_u32_e64 s[2:3], s54, v10
	v_cndmask_b32_e64 v9, v9, v11, s[2:3]
	v_mul_lo_u32 v10, v9, s54
	v_sub_u32_e32 v10, v7, v10
	s_waitcnt lgkmcnt(0)
	v_mul_lo_u32 v10, v10, s15
	v_mad_u64_u32 v[10:11], s[2:3], v9, s14, v[10:11]
.LBB60_19:                              ;   in Loop: Header=BB60_3 Depth=1
	s_or_b64 exec, exec, s[40:41]
	v_pk_mov_b32 v[16:17], 0, 0
	s_and_saveexec_b64 s[2:3], vcc
	s_cbranch_execz .LBB60_24
; %bb.20:                               ;   in Loop: Header=BB60_3 Depth=1
	s_and_b64 vcc, exec, s[0:1]
	v_mov_b32_e32 v14, 0
	s_cbranch_vccnz .LBB60_23
; %bb.21:                               ;   in Loop: Header=BB60_3 Depth=1
	v_mov_b32_e32 v14, 0
	s_mov_b64 s[40:41], s[20:21]
	s_mov_b32 s42, s58
.LBB60_22:                              ;   Parent Loop BB60_3 Depth=1
                                        ; =>  This Inner Loop Header: Depth=2
	s_load_dword s43, s[40:41], 0x0
	s_load_dword s44, s[40:41], 0x64
	s_waitcnt vmcnt(1)
	v_mov_b32_e32 v9, v7
	s_add_i32 s42, s42, -1
	s_waitcnt lgkmcnt(0)
	v_cvt_f32_u32_e32 v7, s43
	s_sub_i32 s45, 0, s43
	s_add_u32 s40, s40, -4
	s_addc_u32 s41, s41, -1
	v_rcp_iflag_f32_e32 v7, v7
	s_cmp_gt_u32 s42, 2
	v_mul_f32_e32 v7, 0x4f7ffffe, v7
	v_cvt_u32_f32_e32 v7, v7
	s_waitcnt vmcnt(0)
	v_mul_lo_u32 v11, s45, v7
	v_mul_hi_u32 v11, v7, v11
	v_add_u32_e32 v7, v7, v11
	v_mul_hi_u32 v7, v9, v7
	v_mul_lo_u32 v11, v7, s43
	v_sub_u32_e32 v11, v9, v11
	v_add_u32_e32 v13, 1, v7
	v_cmp_le_u32_e32 vcc, s43, v11
	v_cndmask_b32_e32 v7, v7, v13, vcc
	v_subrev_u32_e32 v13, s43, v11
	v_cndmask_b32_e32 v11, v11, v13, vcc
	v_add_u32_e32 v13, 1, v7
	v_cmp_le_u32_e32 vcc, s43, v11
	v_cndmask_b32_e32 v7, v7, v13, vcc
	v_mul_lo_u32 v11, v7, s43
	v_sub_u32_e32 v9, v9, v11
	v_mad_u64_u32 v[14:15], s[44:45], s44, v9, v[14:15]
	s_cbranch_scc1 .LBB60_22
.LBB60_23:                              ;   in Loop: Header=BB60_3 Depth=1
	v_mad_u64_u32 v[16:17], s[40:41], s55, v7, v[14:15]
	v_mov_b32_e32 v17, v3
.LBB60_24:                              ;   in Loop: Header=BB60_3 Depth=1
	s_or_b64 exec, exec, s[2:3]
	v_pk_mov_b32 v[18:19], 0, 0
	v_or_b32_e32 v7, 3, v30
	v_cmp_lt_i32_e32 vcc, 3, v32
	v_pk_mov_b32 v[14:15], v[18:19], v[18:19] op_sel:[0,1]
	s_and_saveexec_b64 s[40:41], vcc
	s_cbranch_execz .LBB60_26
; %bb.25:                               ;   in Loop: Header=BB60_3 Depth=1
	s_waitcnt vmcnt(1)
	v_mul_hi_u32 v9, v7, v1
	s_waitcnt vmcnt(0)
	v_mul_lo_u32 v11, v9, s54
	v_sub_u32_e32 v11, v7, v11
	v_add_u32_e32 v13, 1, v9
	v_cmp_le_u32_e64 s[2:3], s54, v11
	v_cndmask_b32_e64 v9, v9, v13, s[2:3]
	v_subrev_u32_e32 v13, s54, v11
	v_cndmask_b32_e64 v11, v11, v13, s[2:3]
	v_add_u32_e32 v13, 1, v9
	v_cmp_le_u32_e64 s[2:3], s54, v11
	v_cndmask_b32_e64 v9, v9, v13, s[2:3]
	v_mul_lo_u32 v11, v9, s54
	v_sub_u32_e32 v11, v7, v11
	s_waitcnt lgkmcnt(0)
	v_mul_lo_u32 v14, v11, s15
	v_mad_u64_u32 v[14:15], s[2:3], v9, s14, v[14:15]
	v_mov_b32_e32 v15, v3
.LBB60_26:                              ;   in Loop: Header=BB60_3 Depth=1
	s_or_b64 exec, exec, s[40:41]
	s_and_saveexec_b64 s[2:3], vcc
	s_cbranch_execz .LBB60_31
; %bb.27:                               ;   in Loop: Header=BB60_3 Depth=1
	s_and_b64 vcc, exec, s[0:1]
	v_mov_b32_e32 v18, 0
	s_cbranch_vccnz .LBB60_30
; %bb.28:                               ;   in Loop: Header=BB60_3 Depth=1
	v_mov_b32_e32 v18, 0
	s_mov_b64 s[0:1], s[20:21]
	s_mov_b32 s40, s58
.LBB60_29:                              ;   Parent Loop BB60_3 Depth=1
                                        ; =>  This Inner Loop Header: Depth=2
	s_load_dword s41, s[0:1], 0x0
	s_load_dword s42, s[0:1], 0x64
	s_waitcnt vmcnt(1)
	v_mov_b32_e32 v9, v7
	s_add_i32 s40, s40, -1
	s_waitcnt lgkmcnt(0)
	v_cvt_f32_u32_e32 v7, s41
	s_sub_i32 s43, 0, s41
	s_add_u32 s0, s0, -4
	s_addc_u32 s1, s1, -1
	v_rcp_iflag_f32_e32 v7, v7
	s_cmp_gt_u32 s40, 2
	v_mul_f32_e32 v7, 0x4f7ffffe, v7
	v_cvt_u32_f32_e32 v7, v7
	s_waitcnt vmcnt(0)
	v_mul_lo_u32 v11, s43, v7
	v_mul_hi_u32 v11, v7, v11
	v_add_u32_e32 v7, v7, v11
	v_mul_hi_u32 v7, v9, v7
	v_mul_lo_u32 v11, v7, s41
	v_sub_u32_e32 v11, v9, v11
	v_add_u32_e32 v13, 1, v7
	v_cmp_le_u32_e32 vcc, s41, v11
	v_cndmask_b32_e32 v7, v7, v13, vcc
	v_subrev_u32_e32 v13, s41, v11
	v_cndmask_b32_e32 v11, v11, v13, vcc
	v_add_u32_e32 v13, 1, v7
	v_cmp_le_u32_e32 vcc, s41, v11
	v_cndmask_b32_e32 v7, v7, v13, vcc
	v_mul_lo_u32 v11, v7, s41
	v_sub_u32_e32 v9, v9, v11
	v_mad_u64_u32 v[18:19], s[42:43], s42, v9, v[18:19]
	s_cbranch_scc1 .LBB60_29
.LBB60_30:                              ;   in Loop: Header=BB60_3 Depth=1
	v_mad_u64_u32 v[18:19], s[0:1], s55, v7, v[18:19]
	v_mov_b32_e32 v19, v3
.LBB60_31:                              ;   in Loop: Header=BB60_3 Depth=1
	s_or_b64 exec, exec, s[2:3]
	v_lshlrev_b64 v[20:21], 2, v[2:3]
	s_waitcnt lgkmcnt(0)
	v_mov_b32_e32 v2, s17
	v_add_co_u32_e32 v20, vcc, s16, v20
	v_mov_b32_e32 v13, v3
	v_addc_co_u32_e32 v21, vcc, v2, v21, vcc
	v_lshlrev_b64 v[12:13], 2, v[12:13]
	v_add_co_u32_e32 v12, vcc, s16, v12
	v_addc_co_u32_e32 v13, vcc, v2, v13, vcc
	v_lshlrev_b64 v[16:17], 2, v[16:17]
	v_add_co_u32_e32 v16, vcc, s16, v16
	;; [unrolled: 3-line block ×3, first 2 shown]
	v_addc_co_u32_e32 v19, vcc, v2, v19, vcc
	global_load_dword v2, v[20:21], off
	global_load_dword v7, v[12:13], off
	;; [unrolled: 1-line block ×4, first 2 shown]
	s_andn2_b64 vcc, exec, s[4:5]
	v_pk_mov_b32 v[12:13], s[10:11], s[10:11] op_sel:[0,1]
	v_pk_mov_b32 v[16:17], s[8:9], s[8:9] op_sel:[0,1]
	s_cbranch_vccnz .LBB60_33
; %bb.32:                               ;   in Loop: Header=BB60_3 Depth=1
	v_pk_mov_b32 v[12:13], s[10:11], s[10:11] op_sel:[0,1]
	flat_load_dwordx2 v[12:13], v[12:13]
	v_pk_mov_b32 v[16:17], s[8:9], s[8:9] op_sel:[0,1]
	flat_load_dwordx2 v[16:17], v[16:17]
	v_mov_b32_e32 v18, s7
	s_waitcnt vmcnt(0) lgkmcnt(0)
	v_add_co_u32_e32 v12, vcc, s6, v12
	v_addc_co_u32_e32 v13, vcc, v13, v18, vcc
.LBB60_33:                              ;   in Loop: Header=BB60_3 Depth=1
	v_alignbit_b32 v26, v13, v12, 2
	v_lshrrev_b32_e32 v27, 2, v13
	v_xor_b32_e32 v18, v4, v16
	v_and_b32_e32 v33, 3, v12
	v_mad_u64_u32 v[12:13], s[0:1], v26, s59, 0
	v_xor_b32_e32 v18, v18, v27
	v_xor_b32_e32 v13, v13, v17
	v_add_u32_e32 v38, 0xbb67ae85, v17
	v_mad_u64_u32 v[18:19], s[0:1], v18, s59, 0
	v_mad_u64_u32 v[20:21], s[0:1], v13, s56, 0
	v_xor_b32_e32 v19, v38, v19
	v_add_u32_e32 v37, 0x9e3779b9, v16
	v_xor_b32_e32 v13, v0, v21
	v_xor_b32_e32 v19, v19, v12
	v_xor_b32_e32 v13, v13, v37
	v_add_u32_e32 v39, 0x3c6ef372, v16
	v_mad_u64_u32 v[22:23], s[0:1], v19, s56, 0
	v_add_u32_e32 v40, 0x76cf5d0a, v17
	v_mad_u64_u32 v[12:13], s[0:1], v13, s59, 0
	v_xor_b32_e32 v19, v39, v23
	v_xor_b32_e32 v19, v19, v20
	v_xor_b32_e32 v13, v40, v13
	v_xor_b32_e32 v13, v13, v18
	v_add_u32_e32 v42, 0x32370b8f, v17
	v_mad_u64_u32 v[18:19], s[0:1], v19, s59, 0
	v_add_u32_e32 v41, 0xdaa66d2b, v16
	v_mad_u64_u32 v[20:21], s[0:1], v13, s56, 0
	v_xor_b32_e32 v19, v42, v19
	;; [unrolled: 8-line block ×5, first 2 shown]
	v_xor_b32_e32 v19, v19, v20
	v_xor_b32_e32 v13, v48, v13
	;; [unrolled: 1-line block ×3, first 2 shown]
	v_add_u32_e32 v50, 0x1fd5c5a3, v17
	v_mad_u64_u32 v[18:19], s[0:1], v19, s59, 0
	v_xor_b32_e32 v19, v50, v19
	v_xor_b32_e32 v12, v19, v12
	v_add_u32_e32 v49, 0x5384540f, v16
	v_mad_u64_u32 v[24:25], s[0:1], v13, s56, 0
	v_add_co_u32_e32 v35, vcc, s60, v16
	v_mad_u64_u32 v[20:21], s[0:1], v12, s56, 0
	v_xor_b32_e32 v13, v49, v25
	v_xor_b32_e32 v12, v35, v21
	;; [unrolled: 1-line block ×4, first 2 shown]
	v_mad_u64_u32 v[22:23], s[0:1], v13, s59, 0
	v_mad_u64_u32 v[12:13], s[0:1], v12, s59, 0
	v_add_u32_e32 v36, 0x96a522ad, v17
	v_xor_b32_e32 v13, v13, v22
	v_xor_b32_e32 v34, v36, v13
	v_add_co_u32_e32 v13, vcc, 1, v26
	v_cndmask_b32_e64 v22, 0, 1, vcc
	v_addc_co_u32_e32 v28, vcc, 0, v27, vcc
	v_cmp_eq_u32_e32 vcc, 0, v28
	v_cndmask_b32_e32 v22, 0, v22, vcc
	v_add_u32_e32 v26, v22, v5
	v_cmp_eq_u32_e32 vcc, 0, v26
	v_mad_u64_u32 v[24:25], s[0:1], v13, s59, 0
	v_mad_u64_u32 v[26:27], s[0:1], v26, s56, 0
	v_add_u32_e32 v21, 0x8ff34781, v16
	v_cndmask_b32_e32 v22, 0, v22, vcc
	v_xor_b32_e32 v13, v27, v16
	v_xor_b32_e32 v16, v25, v17
	;; [unrolled: 1-line block ×4, first 2 shown]
	v_mad_u64_u32 v[28:29], s[0:1], v22, s56, 0
	v_add_u32_e32 v19, 0xdb3d7428, v17
	v_mad_u64_u32 v[16:17], s[0:1], v13, s59, 0
	v_xor_b32_e32 v13, v37, v29
	v_xor_b32_e32 v13, v13, v26
	v_xor_b32_e32 v17, v38, v17
	v_xor_b32_e32 v17, v17, v24
	v_mad_u64_u32 v[24:25], s[0:1], v13, s59, 0
	v_mad_u64_u32 v[26:27], s[0:1], v17, s56, 0
	v_xor_b32_e32 v17, v40, v25
	v_xor_b32_e32 v13, v39, v27
	v_xor_b32_e32 v22, v17, v16
	v_xor_b32_e32 v13, v13, v28
	v_mad_u64_u32 v[28:29], s[0:1], v22, s56, 0
	;; [unrolled: 6-line block ×7, first 2 shown]
	v_xor_b32_e32 v13, v19, v27
	v_xor_b32_e32 v13, v13, v16
	v_mad_u64_u32 v[28:29], s[0:1], v17, s56, 0
	v_mad_u64_u32 v[16:17], s[0:1], v13, s56, 0
	v_xor_b32_e32 v13, v17, v28
	v_xor_b32_e32 v13, v21, v13
	v_cmp_lt_i32_e32 vcc, 1, v33
                                        ; implicit-def: $vgpr25
	s_and_saveexec_b64 s[0:1], vcc
	s_xor_b64 s[0:1], exec, s[0:1]
	s_cbranch_execz .LBB60_39
; %bb.34:                               ;   in Loop: Header=BB60_3 Depth=1
	v_cmp_lt_i32_e32 vcc, 2, v33
                                        ; implicit-def: $vgpr25
	s_and_saveexec_b64 s[2:3], vcc
	s_xor_b64 s[2:3], exec, s[2:3]
; %bb.35:                               ;   in Loop: Header=BB60_3 Depth=1
	v_xor_b32_e32 v17, v35, v29
	v_xor_b32_e32 v17, v17, v24
	v_mul_hi_u32 v17, v17, s59
	v_xor_b32_e32 v17, v17, v26
	v_xor_b32_e32 v25, v36, v17
                                        ; implicit-def: $vgpr34
; %bb.36:                               ;   in Loop: Header=BB60_3 Depth=1
	s_andn2_saveexec_b64 s[2:3], s[2:3]
; %bb.37:                               ;   in Loop: Header=BB60_3 Depth=1
	v_mov_b32_e32 v25, v16
	v_mov_b32_e32 v16, v13
	;; [unrolled: 1-line block ×4, first 2 shown]
; %bb.38:                               ;   in Loop: Header=BB60_3 Depth=1
	s_or_b64 exec, exec, s[2:3]
                                        ; implicit-def: $vgpr18_vgpr19
                                        ; implicit-def: $vgpr20_vgpr21
                                        ; implicit-def: $vgpr33
                                        ; implicit-def: $vgpr34
                                        ; implicit-def: $vgpr22_vgpr23
                                        ; implicit-def: $vgpr19
                                        ; implicit-def: $vgpr21
.LBB60_39:                              ;   in Loop: Header=BB60_3 Depth=1
	s_andn2_saveexec_b64 s[0:1], s[0:1]
	s_cbranch_execz .LBB60_43
; %bb.40:                               ;   in Loop: Header=BB60_3 Depth=1
	v_xor_b32_e32 v16, v19, v23
	v_xor_b32_e32 v16, v16, v18
	v_mad_u64_u32 v[18:19], s[2:3], v16, s56, 0
	v_xor_b32_e32 v16, v19, v20
	v_xor_b32_e32 v17, v21, v16
	v_cmp_eq_u32_e32 vcc, 1, v33
	v_mov_b32_e32 v25, v12
	v_mov_b32_e32 v16, v34
	;; [unrolled: 1-line block ×3, first 2 shown]
	s_and_saveexec_b64 s[2:3], vcc
; %bb.41:                               ;   in Loop: Header=BB60_3 Depth=1
	v_mov_b32_e32 v25, v13
	v_mov_b32_e32 v16, v12
	;; [unrolled: 1-line block ×4, first 2 shown]
; %bb.42:                               ;   in Loop: Header=BB60_3 Depth=1
	s_or_b64 exec, exec, s[2:3]
	v_mov_b32_e32 v12, v17
	v_mov_b32_e32 v13, v19
.LBB60_43:                              ;   in Loop: Header=BB60_3 Depth=1
	s_or_b64 exec, exec, s[0:1]
	v_min_i32_e32 v17, 4, v32
	v_cmp_lt_i32_e32 vcc, 2, v17
	s_mov_b64 s[2:3], 0
	s_mov_b64 s[50:51], 0
	;; [unrolled: 1-line block ×3, first 2 shown]
                                        ; implicit-def: $sgpr42_sgpr43
                                        ; implicit-def: $sgpr44_sgpr45
                                        ; implicit-def: $sgpr46_sgpr47
	s_and_saveexec_b64 s[0:1], vcc
	s_xor_b64 s[48:49], exec, s[0:1]
	s_cbranch_execz .LBB60_55
; %bb.44:                               ;   in Loop: Header=BB60_3 Depth=1
	v_cmp_lt_i32_e32 vcc, 3, v17
	s_mov_b64 s[0:1], -1
	s_mov_b64 s[52:53], 0
                                        ; implicit-def: $sgpr40_sgpr41
                                        ; implicit-def: $sgpr42_sgpr43
	s_and_saveexec_b64 s[44:45], vcc
	s_cbranch_execz .LBB60_50
; %bb.45:                               ;   in Loop: Header=BB60_3 Depth=1
	v_cmp_eq_u32_e32 vcc, 4, v17
	s_mov_b64 s[0:1], 0
	s_mov_b64 s[52:53], -1
                                        ; implicit-def: $sgpr40_sgpr41
                                        ; implicit-def: $sgpr42_sgpr43
	s_and_saveexec_b64 s[46:47], vcc
	s_cbranch_execz .LBB60_49
; %bb.46:                               ;   in Loop: Header=BB60_3 Depth=1
	s_waitcnt vmcnt(0)
	v_cmp_le_f32_e32 vcc, 0, v11
	v_cmp_ge_f32_e64 s[0:1], 1.0, v11
	s_and_b64 s[52:53], vcc, s[0:1]
	s_mov_b64 s[40:41], 0
	s_mov_b64 s[0:1], 0
	s_and_saveexec_b64 s[42:43], s[52:53]
	s_cbranch_execz .LBB60_48
; %bb.47:                               ;   in Loop: Header=BB60_3 Depth=1
	v_cvt_f32_u32_e32 v18, v25
	v_mov_b32_e32 v19, 0x2f800000
	v_lshlrev_b64 v[14:15], 1, v[14:15]
	v_add_co_u32_e32 v14, vcc, s12, v14
	v_fmac_f32_e32 v19, 0x2f800000, v18
	v_mov_b32_e32 v18, s13
	v_addc_co_u32_e32 v15, vcc, v18, v15, vcc
	v_cmp_le_f32_e32 vcc, v19, v11
	s_mov_b64 s[0:1], exec
	v_cndmask_b32_e64 v11, 0, 1, vcc
	global_store_short v[14:15], v11, off
.LBB60_48:                              ;   in Loop: Header=BB60_3 Depth=1
	s_or_b64 exec, exec, s[42:43]
	s_mov_b64 s[42:43], -1
	s_xor_b64 s[52:53], exec, -1
	s_and_b64 s[0:1], s[0:1], exec
.LBB60_49:                              ;   in Loop: Header=BB60_3 Depth=1
	s_or_b64 exec, exec, s[46:47]
	s_and_b64 s[52:53], s[52:53], exec
	s_orn2_b64 s[0:1], s[0:1], exec
.LBB60_50:                              ;   in Loop: Header=BB60_3 Depth=1
	s_or_b64 exec, exec, s[44:45]
	s_mov_b64 s[46:47], s[40:41]
	s_and_saveexec_b64 s[44:45], s[0:1]
	s_cbranch_execz .LBB60_54
; %bb.51:                               ;   in Loop: Header=BB60_3 Depth=1
	s_waitcnt vmcnt(1)
	v_cmp_le_f32_e32 vcc, 0, v9
	v_cmp_ge_f32_e64 s[0:1], 1.0, v9
	s_and_b64 s[46:47], vcc, s[0:1]
	s_mov_b64 s[0:1], 0
	s_and_saveexec_b64 s[50:51], s[46:47]
	s_xor_b64 s[46:47], exec, s[50:51]
	s_cbranch_execz .LBB60_53
; %bb.52:                               ;   in Loop: Header=BB60_3 Depth=1
	v_cvt_f32_u32_e32 v14, v16
	s_waitcnt vmcnt(0)
	v_mov_b32_e32 v11, v3
	v_mov_b32_e32 v15, 0x2f800000
	v_lshlrev_b64 v[10:11], 1, v[10:11]
	v_fmac_f32_e32 v15, 0x2f800000, v14
	v_mov_b32_e32 v14, s13
	v_add_co_u32_e32 v10, vcc, s12, v10
	v_addc_co_u32_e32 v11, vcc, v14, v11, vcc
	v_cmp_le_f32_e32 vcc, v15, v9
	v_cndmask_b32_e64 v9, 0, 1, vcc
	s_mov_b64 s[0:1], exec
	global_store_short v[10:11], v9, off
.LBB60_53:                              ;   in Loop: Header=BB60_3 Depth=1
	s_or_b64 exec, exec, s[46:47]
	s_andn2_b64 s[46:47], s[40:41], exec
	s_or_b64 s[40:41], s[40:41], exec
	s_andn2_b64 s[42:43], s[42:43], exec
	s_and_b64 s[50:51], s[0:1], exec
.LBB60_54:                              ;   in Loop: Header=BB60_3 Depth=1
	s_or_b64 exec, exec, s[44:45]
	s_and_b64 s[46:47], s[46:47], exec
	s_and_b64 s[44:45], s[40:41], exec
	;; [unrolled: 1-line block ×5, first 2 shown]
.LBB60_55:                              ;   in Loop: Header=BB60_3 Depth=1
	s_andn2_saveexec_b64 s[0:1], s[48:49]
; %bb.56:                               ;   in Loop: Header=BB60_3 Depth=1
	v_cmp_lt_i32_e32 vcc, 1, v17
	s_andn2_b64 s[48:49], s[50:51], exec
	s_and_b64 s[50:51], vcc, exec
	s_mov_b64 s[2:3], exec
	s_andn2_b64 s[46:47], s[46:47], exec
	s_andn2_b64 s[44:45], s[44:45], exec
	;; [unrolled: 1-line block ×3, first 2 shown]
	s_or_b64 s[50:51], s[48:49], s[50:51]
; %bb.57:                               ;   in Loop: Header=BB60_3 Depth=1
	s_or_b64 exec, exec, s[0:1]
	s_mov_b64 s[0:1], 0
	s_mov_b64 s[48:49], s[46:47]
	s_and_saveexec_b64 s[52:53], s[50:51]
	s_cbranch_execnz .LBB60_60
; %bb.58:                               ;   in Loop: Header=BB60_3 Depth=1
	s_or_b64 exec, exec, s[52:53]
	s_and_saveexec_b64 s[50:51], s[2:3]
	s_cbranch_execnz .LBB60_63
.LBB60_59:                              ;   in Loop: Header=BB60_3 Depth=1
	s_or_b64 exec, exec, s[50:51]
	s_and_saveexec_b64 s[2:3], s[0:1]
	s_cbranch_execnz .LBB60_64
	s_branch .LBB60_67
.LBB60_60:                              ;   in Loop: Header=BB60_3 Depth=1
	s_waitcnt vmcnt(2)
	v_cmp_le_f32_e32 vcc, 0, v7
	v_cmp_ge_f32_e64 s[0:1], 1.0, v7
	s_and_b64 s[48:49], vcc, s[0:1]
	s_mov_b64 s[0:1], 0
	s_and_saveexec_b64 s[50:51], s[48:49]
	s_xor_b64 s[48:49], exec, s[50:51]
	s_cbranch_execz .LBB60_62
; %bb.61:                               ;   in Loop: Header=BB60_3 Depth=1
	v_cvt_f32_u32_e32 v10, v13
	s_waitcnt vmcnt(1)
	v_mov_b32_e32 v9, v3
	s_waitcnt vmcnt(0)
	v_mov_b32_e32 v11, 0x2f800000
	v_lshlrev_b64 v[8:9], 1, v[8:9]
	v_fmac_f32_e32 v11, 0x2f800000, v10
	v_mov_b32_e32 v10, s13
	v_add_co_u32_e32 v8, vcc, s12, v8
	v_addc_co_u32_e32 v9, vcc, v10, v9, vcc
	v_cmp_le_f32_e32 vcc, v11, v7
	v_cndmask_b32_e64 v7, 0, 1, vcc
	s_mov_b64 s[0:1], exec
	global_store_short v[8:9], v7, off
.LBB60_62:                              ;   in Loop: Header=BB60_3 Depth=1
	s_or_b64 exec, exec, s[48:49]
	s_andn2_b64 s[48:49], s[46:47], exec
	s_or_b64 s[46:47], s[46:47], exec
	s_andn2_b64 s[44:45], s[44:45], exec
	s_andn2_b64 s[42:43], s[42:43], exec
	s_and_b64 s[0:1], s[0:1], exec
	s_andn2_b64 s[2:3], s[2:3], exec
	s_or_b64 exec, exec, s[52:53]
	s_and_saveexec_b64 s[50:51], s[2:3]
	s_cbranch_execz .LBB60_59
.LBB60_63:                              ;   in Loop: Header=BB60_3 Depth=1
	v_cmp_eq_u32_e32 vcc, 1, v17
	s_andn2_b64 s[0:1], s[0:1], exec
	s_and_b64 s[2:3], vcc, exec
	s_andn2_b64 s[48:49], s[48:49], exec
	s_andn2_b64 s[46:47], s[46:47], exec
	;; [unrolled: 1-line block ×4, first 2 shown]
	s_or_b64 s[40:41], s[40:41], exec
	s_or_b64 s[0:1], s[0:1], s[2:3]
	s_or_b64 exec, exec, s[50:51]
	s_and_saveexec_b64 s[2:3], s[0:1]
	s_cbranch_execz .LBB60_67
.LBB60_64:                              ;   in Loop: Header=BB60_3 Depth=1
	s_waitcnt vmcnt(3)
	v_cmp_le_f32_e32 vcc, 0, v2
	v_cmp_ge_f32_e64 s[0:1], 1.0, v2
	s_and_b64 s[52:53], vcc, s[0:1]
	s_mov_b64 s[0:1], 0
	s_and_saveexec_b64 s[50:51], s[52:53]
	s_cbranch_execz .LBB60_66
; %bb.65:                               ;   in Loop: Header=BB60_3 Depth=1
	v_cvt_f32_u32_e32 v8, v12
	s_waitcnt vmcnt(2)
	v_mov_b32_e32 v7, v3
	s_waitcnt vmcnt(1)
	v_mov_b32_e32 v9, 0x2f800000
	v_lshlrev_b64 v[6:7], 1, v[6:7]
	v_fmac_f32_e32 v9, 0x2f800000, v8
	v_mov_b32_e32 v8, s13
	v_add_co_u32_e32 v6, vcc, s12, v6
	v_addc_co_u32_e32 v7, vcc, v8, v7, vcc
	v_cmp_le_f32_e32 vcc, v9, v2
	s_mov_b64 s[0:1], exec
	v_cndmask_b32_e64 v2, 0, 1, vcc
	global_store_short v[6:7], v2, off
.LBB60_66:                              ;   in Loop: Header=BB60_3 Depth=1
	s_or_b64 exec, exec, s[50:51]
	s_andn2_b64 s[40:41], s[40:41], exec
	s_and_b64 s[0:1], s[0:1], exec
	s_or_b64 s[48:49], s[48:49], exec
	s_andn2_b64 s[46:47], s[46:47], exec
	s_andn2_b64 s[44:45], s[44:45], exec
	;; [unrolled: 1-line block ×3, first 2 shown]
	s_or_b64 s[40:41], s[40:41], s[0:1]
.LBB60_67:                              ;   in Loop: Header=BB60_3 Depth=1
	s_or_b64 exec, exec, s[2:3]
	s_andn2_b64 s[2:3], s[38:39], exec
	s_and_b64 s[38:39], s[48:49], exec
	s_or_b64 s[38:39], s[2:3], s[38:39]
	s_andn2_b64 s[2:3], s[36:37], exec
	s_and_b64 s[36:37], s[46:47], exec
	s_or_b64 s[36:37], s[2:3], s[36:37]
	;; [unrolled: 3-line block ×3, first 2 shown]
	s_andn2_b64 s[2:3], s[30:31], exec
	s_and_b64 s[30:31], s[42:43], exec
	s_mov_b64 s[0:1], -1
	s_or_b64 s[30:31], s[2:3], s[30:31]
	s_and_saveexec_b64 s[2:3], s[40:41]
	s_cbranch_execz .LBB60_2
; %bb.68:                               ;   in Loop: Header=BB60_3 Depth=1
	v_add_u32_e32 v30, s57, v30
	v_cmp_le_u32_e32 vcc, s33, v30
	s_andn2_b64 s[38:39], s[38:39], exec
	s_andn2_b64 s[36:37], s[36:37], exec
	;; [unrolled: 1-line block ×4, first 2 shown]
	s_orn2_b64 s[0:1], vcc, exec
	s_branch .LBB60_2
.LBB60_69:
	s_or_b64 exec, exec, s[22:23]
	s_xor_b64 s[6:7], s[28:29], -1
	s_xor_b64 s[8:9], s[26:27], -1
	;; [unrolled: 1-line block ×3, first 2 shown]
	s_mov_b64 s[2:3], 0
	s_and_saveexec_b64 s[4:5], s[0:1]
	s_xor_b64 s[0:1], exec, s[4:5]
	s_cbranch_execnz .LBB60_74
; %bb.70:
	s_andn2_saveexec_b64 s[0:1], s[0:1]
	s_cbranch_execnz .LBB60_82
.LBB60_71:
	s_or_b64 exec, exec, s[0:1]
	s_and_b64 exec, exec, s[2:3]
.LBB60_72:
	; divergent unreachable
.LBB60_73:
	s_endpgm
.LBB60_74:
	s_mov_b64 s[4:5], 0
	s_and_saveexec_b64 s[2:3], s[8:9]
	s_xor_b64 s[2:3], exec, s[2:3]
	s_cbranch_execz .LBB60_80
; %bb.75:
	s_and_saveexec_b64 s[8:9], s[6:7]
	s_xor_b64 s[6:7], exec, s[8:9]
	s_cbranch_execz .LBB60_78
; %bb.76:
	s_and_saveexec_b64 s[8:9], s[18:19]
	s_xor_b64 s[8:9], exec, s[8:9]
	s_cbranch_execnz .LBB60_85
.LBB60_77:
	s_or_b64 exec, exec, s[8:9]
	s_and_b64 s[4:5], s[4:5], exec
.LBB60_78:
	s_andn2_saveexec_b64 s[6:7], s[6:7]
	s_cbranch_execnz .LBB60_84
.LBB60_79:
	s_or_b64 exec, exec, s[6:7]
	s_and_b64 s[4:5], s[4:5], exec
.LBB60_80:
	s_andn2_saveexec_b64 s[2:3], s[2:3]
	s_cbranch_execnz .LBB60_83
.LBB60_81:
	s_or_b64 exec, exec, s[2:3]
	s_and_b64 s[2:3], s[4:5], exec
	s_andn2_saveexec_b64 s[0:1], s[0:1]
	s_cbranch_execz .LBB60_71
.LBB60_82:
	s_or_b64 s[2:3], s[2:3], exec
	s_trap 2
	s_or_b64 exec, exec, s[0:1]
	s_and_b64 exec, exec, s[2:3]
	s_cbranch_execnz .LBB60_72
	s_branch .LBB60_73
.LBB60_83:
	s_or_b64 s[4:5], s[4:5], exec
	s_trap 2
	s_branch .LBB60_81
.LBB60_84:
	s_trap 2
	s_or_b64 s[4:5], s[4:5], exec
	s_branch .LBB60_79
.LBB60_85:
	s_mov_b64 s[4:5], exec
	s_trap 2
	s_branch .LBB60_77
	.section	.rodata,"a",@progbits
	.p2align	6, 0x0
	.amdhsa_kernel _ZN2at4cuda12_GLOBAL__N_121kernelPointwiseApply2IZNS_6native9templates4cuda28bernoulli_tensor_cuda_kernelIsfEEvRKNS_10TensorBaseES9_NS_15PhiloxCudaStateEEUliRsSB_SB_SB_RKfSD_SD_SD_E_sSC_jLi2ELin1ELi4ELi512ELi2EEEvNS0_6detail10TensorInfoIT0_T2_EENSG_IT1_SI_EESI_T_
		.amdhsa_group_segment_fixed_size 0
		.amdhsa_private_segment_fixed_size 0
		.amdhsa_kernarg_size 728
		.amdhsa_user_sgpr_count 6
		.amdhsa_user_sgpr_private_segment_buffer 1
		.amdhsa_user_sgpr_dispatch_ptr 0
		.amdhsa_user_sgpr_queue_ptr 0
		.amdhsa_user_sgpr_kernarg_segment_ptr 1
		.amdhsa_user_sgpr_dispatch_id 0
		.amdhsa_user_sgpr_flat_scratch_init 0
		.amdhsa_user_sgpr_kernarg_preload_length 0
		.amdhsa_user_sgpr_kernarg_preload_offset 0
		.amdhsa_user_sgpr_private_segment_size 0
		.amdhsa_uses_dynamic_stack 0
		.amdhsa_system_sgpr_private_segment_wavefront_offset 0
		.amdhsa_system_sgpr_workgroup_id_x 1
		.amdhsa_system_sgpr_workgroup_id_y 0
		.amdhsa_system_sgpr_workgroup_id_z 0
		.amdhsa_system_sgpr_workgroup_info 0
		.amdhsa_system_vgpr_workitem_id 0
		.amdhsa_next_free_vgpr 51
		.amdhsa_next_free_sgpr 61
		.amdhsa_accum_offset 52
		.amdhsa_reserve_vcc 1
		.amdhsa_reserve_flat_scratch 0
		.amdhsa_float_round_mode_32 0
		.amdhsa_float_round_mode_16_64 0
		.amdhsa_float_denorm_mode_32 3
		.amdhsa_float_denorm_mode_16_64 3
		.amdhsa_dx10_clamp 1
		.amdhsa_ieee_mode 1
		.amdhsa_fp16_overflow 0
		.amdhsa_tg_split 0
		.amdhsa_exception_fp_ieee_invalid_op 0
		.amdhsa_exception_fp_denorm_src 0
		.amdhsa_exception_fp_ieee_div_zero 0
		.amdhsa_exception_fp_ieee_overflow 0
		.amdhsa_exception_fp_ieee_underflow 0
		.amdhsa_exception_fp_ieee_inexact 0
		.amdhsa_exception_int_div_zero 0
	.end_amdhsa_kernel
	.section	.text._ZN2at4cuda12_GLOBAL__N_121kernelPointwiseApply2IZNS_6native9templates4cuda28bernoulli_tensor_cuda_kernelIsfEEvRKNS_10TensorBaseES9_NS_15PhiloxCudaStateEEUliRsSB_SB_SB_RKfSD_SD_SD_E_sSC_jLi2ELin1ELi4ELi512ELi2EEEvNS0_6detail10TensorInfoIT0_T2_EENSG_IT1_SI_EESI_T_,"axG",@progbits,_ZN2at4cuda12_GLOBAL__N_121kernelPointwiseApply2IZNS_6native9templates4cuda28bernoulli_tensor_cuda_kernelIsfEEvRKNS_10TensorBaseES9_NS_15PhiloxCudaStateEEUliRsSB_SB_SB_RKfSD_SD_SD_E_sSC_jLi2ELin1ELi4ELi512ELi2EEEvNS0_6detail10TensorInfoIT0_T2_EENSG_IT1_SI_EESI_T_,comdat
.Lfunc_end60:
	.size	_ZN2at4cuda12_GLOBAL__N_121kernelPointwiseApply2IZNS_6native9templates4cuda28bernoulli_tensor_cuda_kernelIsfEEvRKNS_10TensorBaseES9_NS_15PhiloxCudaStateEEUliRsSB_SB_SB_RKfSD_SD_SD_E_sSC_jLi2ELin1ELi4ELi512ELi2EEEvNS0_6detail10TensorInfoIT0_T2_EENSG_IT1_SI_EESI_T_, .Lfunc_end60-_ZN2at4cuda12_GLOBAL__N_121kernelPointwiseApply2IZNS_6native9templates4cuda28bernoulli_tensor_cuda_kernelIsfEEvRKNS_10TensorBaseES9_NS_15PhiloxCudaStateEEUliRsSB_SB_SB_RKfSD_SD_SD_E_sSC_jLi2ELin1ELi4ELi512ELi2EEEvNS0_6detail10TensorInfoIT0_T2_EENSG_IT1_SI_EESI_T_
                                        ; -- End function
	.section	.AMDGPU.csdata,"",@progbits
; Kernel info:
; codeLenInByte = 4052
; NumSgprs: 65
; NumVgprs: 51
; NumAgprs: 0
; TotalNumVgprs: 51
; ScratchSize: 0
; MemoryBound: 0
; FloatMode: 240
; IeeeMode: 1
; LDSByteSize: 0 bytes/workgroup (compile time only)
; SGPRBlocks: 8
; VGPRBlocks: 6
; NumSGPRsForWavesPerEU: 65
; NumVGPRsForWavesPerEU: 51
; AccumOffset: 52
; Occupancy: 8
; WaveLimiterHint : 1
; COMPUTE_PGM_RSRC2:SCRATCH_EN: 0
; COMPUTE_PGM_RSRC2:USER_SGPR: 6
; COMPUTE_PGM_RSRC2:TRAP_HANDLER: 0
; COMPUTE_PGM_RSRC2:TGID_X_EN: 1
; COMPUTE_PGM_RSRC2:TGID_Y_EN: 0
; COMPUTE_PGM_RSRC2:TGID_Z_EN: 0
; COMPUTE_PGM_RSRC2:TIDIG_COMP_CNT: 0
; COMPUTE_PGM_RSRC3_GFX90A:ACCUM_OFFSET: 12
; COMPUTE_PGM_RSRC3_GFX90A:TG_SPLIT: 0
	.section	.text._ZN2at4cuda12_GLOBAL__N_121kernelPointwiseApply2IZNS_6native9templates4cuda28bernoulli_tensor_cuda_kernelIsfEEvRKNS_10TensorBaseES9_NS_15PhiloxCudaStateEEUliRsSB_SB_SB_RKfSD_SD_SD_E_sSC_jLin1ELi1ELi4ELi512ELi2EEEvNS0_6detail10TensorInfoIT0_T2_EENSG_IT1_SI_EESI_T_,"axG",@progbits,_ZN2at4cuda12_GLOBAL__N_121kernelPointwiseApply2IZNS_6native9templates4cuda28bernoulli_tensor_cuda_kernelIsfEEvRKNS_10TensorBaseES9_NS_15PhiloxCudaStateEEUliRsSB_SB_SB_RKfSD_SD_SD_E_sSC_jLin1ELi1ELi4ELi512ELi2EEEvNS0_6detail10TensorInfoIT0_T2_EENSG_IT1_SI_EESI_T_,comdat
	.globl	_ZN2at4cuda12_GLOBAL__N_121kernelPointwiseApply2IZNS_6native9templates4cuda28bernoulli_tensor_cuda_kernelIsfEEvRKNS_10TensorBaseES9_NS_15PhiloxCudaStateEEUliRsSB_SB_SB_RKfSD_SD_SD_E_sSC_jLin1ELi1ELi4ELi512ELi2EEEvNS0_6detail10TensorInfoIT0_T2_EENSG_IT1_SI_EESI_T_ ; -- Begin function _ZN2at4cuda12_GLOBAL__N_121kernelPointwiseApply2IZNS_6native9templates4cuda28bernoulli_tensor_cuda_kernelIsfEEvRKNS_10TensorBaseES9_NS_15PhiloxCudaStateEEUliRsSB_SB_SB_RKfSD_SD_SD_E_sSC_jLin1ELi1ELi4ELi512ELi2EEEvNS0_6detail10TensorInfoIT0_T2_EENSG_IT1_SI_EESI_T_
	.p2align	8
	.type	_ZN2at4cuda12_GLOBAL__N_121kernelPointwiseApply2IZNS_6native9templates4cuda28bernoulli_tensor_cuda_kernelIsfEEvRKNS_10TensorBaseES9_NS_15PhiloxCudaStateEEUliRsSB_SB_SB_RKfSD_SD_SD_E_sSC_jLin1ELi1ELi4ELi512ELi2EEEvNS0_6detail10TensorInfoIT0_T2_EENSG_IT1_SI_EESI_T_,@function
_ZN2at4cuda12_GLOBAL__N_121kernelPointwiseApply2IZNS_6native9templates4cuda28bernoulli_tensor_cuda_kernelIsfEEvRKNS_10TensorBaseES9_NS_15PhiloxCudaStateEEUliRsSB_SB_SB_RKfSD_SD_SD_E_sSC_jLin1ELi1ELi4ELi512ELi2EEEvNS0_6detail10TensorInfoIT0_T2_EENSG_IT1_SI_EESI_T_: ; @_ZN2at4cuda12_GLOBAL__N_121kernelPointwiseApply2IZNS_6native9templates4cuda28bernoulli_tensor_cuda_kernelIsfEEvRKNS_10TensorBaseES9_NS_15PhiloxCudaStateEEUliRsSB_SB_SB_RKfSD_SD_SD_E_sSC_jLin1ELi1ELi4ELi512ELi2EEEvNS0_6detail10TensorInfoIT0_T2_EENSG_IT1_SI_EESI_T_
; %bb.0:
	s_load_dword s2, s[4:5], 0x1e4
	s_load_dword s33, s[4:5], 0x1b0
	s_add_u32 s0, s4, 0x1d8
	s_addc_u32 s1, s5, 0
	s_waitcnt lgkmcnt(0)
	s_and_b32 s2, s2, 0xffff
	s_mul_i32 s6, s6, s2
	v_add_u32_e32 v5, s6, v0
	v_lshlrev_b32_e32 v30, 2, v5
	v_cmp_gt_u32_e32 vcc, s33, v30
	s_and_saveexec_b64 s[6:7], vcc
	s_cbranch_execz .LBB61_65
; %bb.1:
	s_load_dword s3, s[0:1], 0x0
	s_load_dword s54, s[4:5], 0x144
	s_load_dwordx4 s[12:15], s[4:5], 0x1b8
	s_load_dwordx2 s[10:11], s[4:5], 0xd8
	s_load_dword s6, s[4:5], 0xd0
	s_waitcnt lgkmcnt(0)
	s_mul_i32 s7, s3, s2
	s_load_dwordx2 s[16:17], s[4:5], 0x1c8
	s_load_dword s2, s[4:5], 0x1d0
	s_load_dword s55, s[4:5], 0x6c
	s_mov_b32 s56, 0xcd9e8d57
	s_load_dwordx2 s[20:21], s[4:5], 0x0
	s_cmp_gt_i32 s6, 1
	s_cselect_b64 s[0:1], -1, 0
	s_waitcnt lgkmcnt(0)
	s_bitcmp1_b32 s2, 0
	v_mad_u64_u32 v[0:1], s[2:3], v5, s56, 0
	s_cselect_b64 s[22:23], -1, 0
	s_add_i32 s2, s6, -1
	s_mov_b32 s3, 0
	s_lshl_b32 s57, s7, 2
	s_add_i32 s58, s6, 1
	s_lshl_b64 s[2:3], s[2:3], 2
	s_add_u32 s2, s2, s4
	s_addc_u32 s3, s3, s5
	v_mov_b32_e32 v4, v1
	s_add_u32 s24, s2, 8
	v_cndmask_b32_e64 v1, 0, 1, s[0:1]
	v_mov_b32_e32 v3, 0
	s_addc_u32 s25, s3, 0
	s_mov_b64 s[26:27], 0
	s_mov_b32 s59, 0xd2511f53
	v_cmp_ne_u32_e64 s[0:1], 1, v1
	s_mov_b32 s60, 0xf1bbcdc8
                                        ; implicit-def: $sgpr28_sgpr29
                                        ; implicit-def: $sgpr30_sgpr31
                                        ; implicit-def: $sgpr34_sgpr35
                                        ; implicit-def: $sgpr18_sgpr19
                                        ; implicit-def: $sgpr36_sgpr37
                                        ; implicit-def: $sgpr38_sgpr39
                                        ; implicit-def: $sgpr40_sgpr41
                                        ; implicit-def: $sgpr42_sgpr43
	s_branch .LBB61_3
.LBB61_2:                               ;   in Loop: Header=BB61_3 Depth=1
	s_or_b64 exec, exec, s[4:5]
	s_and_b64 s[2:3], exec, s[2:3]
	s_or_b64 s[26:27], s[2:3], s[26:27]
	s_andn2_b64 s[2:3], s[18:19], exec
	s_and_b64 s[4:5], s[42:43], exec
	s_or_b64 s[18:19], s[2:3], s[4:5]
	s_andn2_b64 s[2:3], s[34:35], exec
	s_and_b64 s[4:5], s[40:41], exec
	;; [unrolled: 3-line block ×4, first 2 shown]
	s_or_b64 s[28:29], s[2:3], s[4:5]
	s_andn2_b64 exec, exec, s[26:27]
	s_cbranch_execz .LBB61_61
.LBB61_3:                               ; =>This Loop Header: Depth=1
                                        ;     Child Loop BB61_6 Depth 2
                                        ;     Child Loop BB61_11 Depth 2
	;; [unrolled: 1-line block ×4, first 2 shown]
	v_sub_u32_e32 v1, s33, v30
	v_cmp_lt_i32_e64 s[2:3], 0, v1
	v_mov_b32_e32 v6, 0
	s_and_saveexec_b64 s[4:5], s[2:3]
	s_cbranch_execz .LBB61_8
; %bb.4:                                ;   in Loop: Header=BB61_3 Depth=1
	s_and_b64 vcc, exec, s[0:1]
	v_mov_b32_e32 v6, 0
	s_waitcnt vmcnt(3)
	v_mov_b32_e32 v2, v30
	s_cbranch_vccnz .LBB61_7
; %bb.5:                                ;   in Loop: Header=BB61_3 Depth=1
	v_mov_b32_e32 v6, 0
	s_mov_b64 s[6:7], s[24:25]
	s_mov_b32 s8, s58
	v_mov_b32_e32 v2, v30
.LBB61_6:                               ;   Parent Loop BB61_3 Depth=1
                                        ; =>  This Inner Loop Header: Depth=2
	s_load_dword s9, s[6:7], 0x0
	s_load_dword s44, s[6:7], 0x64
	s_waitcnt vmcnt(2)
	v_mov_b32_e32 v7, v2
	s_add_i32 s8, s8, -1
	s_waitcnt lgkmcnt(0)
	v_cvt_f32_u32_e32 v2, s9
	s_sub_i32 s45, 0, s9
	s_add_u32 s6, s6, -4
	s_addc_u32 s7, s7, -1
	v_rcp_iflag_f32_e32 v2, v2
	s_cmp_gt_u32 s8, 2
	v_mul_f32_e32 v2, 0x4f7ffffe, v2
	v_cvt_u32_f32_e32 v2, v2
	v_mul_lo_u32 v8, s45, v2
	v_mul_hi_u32 v8, v2, v8
	v_add_u32_e32 v2, v2, v8
	v_mul_hi_u32 v2, v7, v2
	v_mul_lo_u32 v8, v2, s9
	v_sub_u32_e32 v8, v7, v8
	v_add_u32_e32 v9, 1, v2
	v_cmp_le_u32_e32 vcc, s9, v8
	v_cndmask_b32_e32 v2, v2, v9, vcc
	v_subrev_u32_e32 v9, s9, v8
	v_cndmask_b32_e32 v8, v8, v9, vcc
	v_add_u32_e32 v9, 1, v2
	v_cmp_le_u32_e32 vcc, s9, v8
	v_cndmask_b32_e32 v2, v2, v9, vcc
	v_mul_lo_u32 v8, v2, s9
	v_sub_u32_e32 v7, v7, v8
	v_mad_u64_u32 v[6:7], s[44:45], s44, v7, v[6:7]
	s_cbranch_scc1 .LBB61_6
.LBB61_7:                               ;   in Loop: Header=BB61_3 Depth=1
	s_waitcnt vmcnt(2)
	v_mad_u64_u32 v[6:7], s[6:7], s55, v2, v[6:7]
.LBB61_8:                               ;   in Loop: Header=BB61_3 Depth=1
	s_or_b64 exec, exec, s[4:5]
	v_cmp_lt_i32_e64 s[4:5], 1, v1
	v_pk_mov_b32 v[8:9], 0, 0
	s_and_saveexec_b64 s[6:7], s[4:5]
	s_cbranch_execz .LBB61_13
; %bb.9:                                ;   in Loop: Header=BB61_3 Depth=1
	s_waitcnt vmcnt(3)
	v_or_b32_e32 v2, 1, v30
	s_and_b64 vcc, exec, s[0:1]
	v_mov_b32_e32 v8, 0
	s_cbranch_vccnz .LBB61_12
; %bb.10:                               ;   in Loop: Header=BB61_3 Depth=1
	v_mov_b32_e32 v8, 0
	s_mov_b64 s[8:9], s[24:25]
	s_mov_b32 s44, s58
.LBB61_11:                              ;   Parent Loop BB61_3 Depth=1
                                        ; =>  This Inner Loop Header: Depth=2
	s_load_dword s45, s[8:9], 0x0
	s_load_dword s46, s[8:9], 0x64
	s_waitcnt vmcnt(2)
	v_mov_b32_e32 v7, v2
	s_add_i32 s44, s44, -1
	s_waitcnt lgkmcnt(0)
	v_cvt_f32_u32_e32 v2, s45
	s_sub_i32 s47, 0, s45
	s_add_u32 s8, s8, -4
	s_addc_u32 s9, s9, -1
	v_rcp_iflag_f32_e32 v2, v2
	s_cmp_gt_u32 s44, 2
	v_mul_f32_e32 v2, 0x4f7ffffe, v2
	v_cvt_u32_f32_e32 v2, v2
	v_mul_lo_u32 v9, s47, v2
	v_mul_hi_u32 v9, v2, v9
	v_add_u32_e32 v2, v2, v9
	v_mul_hi_u32 v2, v7, v2
	v_mul_lo_u32 v9, v2, s45
	v_sub_u32_e32 v9, v7, v9
	v_add_u32_e32 v10, 1, v2
	v_cmp_le_u32_e32 vcc, s45, v9
	v_cndmask_b32_e32 v2, v2, v10, vcc
	v_subrev_u32_e32 v10, s45, v9
	v_cndmask_b32_e32 v9, v9, v10, vcc
	v_add_u32_e32 v10, 1, v2
	v_cmp_le_u32_e32 vcc, s45, v9
	v_cndmask_b32_e32 v2, v2, v10, vcc
	v_mul_lo_u32 v9, v2, s45
	v_sub_u32_e32 v7, v7, v9
	v_mad_u64_u32 v[8:9], s[46:47], s46, v7, v[8:9]
	s_cbranch_scc1 .LBB61_11
.LBB61_12:                              ;   in Loop: Header=BB61_3 Depth=1
	v_mad_u64_u32 v[8:9], s[8:9], s55, v2, v[8:9]
	v_mov_b32_e32 v9, v3
.LBB61_13:                              ;   in Loop: Header=BB61_3 Depth=1
	s_or_b64 exec, exec, s[6:7]
	v_cmp_lt_i32_e64 s[6:7], 2, v1
	v_pk_mov_b32 v[10:11], 0, 0
	s_and_saveexec_b64 s[8:9], s[6:7]
	s_cbranch_execz .LBB61_18
; %bb.14:                               ;   in Loop: Header=BB61_3 Depth=1
	s_waitcnt vmcnt(3)
	v_or_b32_e32 v2, 2, v30
	s_and_b64 vcc, exec, s[0:1]
	v_mov_b32_e32 v10, 0
	s_cbranch_vccnz .LBB61_17
; %bb.15:                               ;   in Loop: Header=BB61_3 Depth=1
	v_mov_b32_e32 v10, 0
	s_mov_b64 s[44:45], s[24:25]
	s_mov_b32 s46, s58
.LBB61_16:                              ;   Parent Loop BB61_3 Depth=1
                                        ; =>  This Inner Loop Header: Depth=2
	s_load_dword s47, s[44:45], 0x0
	s_load_dword s48, s[44:45], 0x64
	s_waitcnt vmcnt(2)
	v_mov_b32_e32 v7, v2
	s_add_i32 s46, s46, -1
	s_waitcnt lgkmcnt(0)
	v_cvt_f32_u32_e32 v2, s47
	s_sub_i32 s49, 0, s47
	s_add_u32 s44, s44, -4
	s_addc_u32 s45, s45, -1
	v_rcp_iflag_f32_e32 v2, v2
	s_cmp_gt_u32 s46, 2
	v_mul_f32_e32 v2, 0x4f7ffffe, v2
	v_cvt_u32_f32_e32 v2, v2
	v_mul_lo_u32 v11, s49, v2
	v_mul_hi_u32 v11, v2, v11
	v_add_u32_e32 v2, v2, v11
	v_mul_hi_u32 v2, v7, v2
	v_mul_lo_u32 v11, v2, s47
	v_sub_u32_e32 v11, v7, v11
	v_add_u32_e32 v12, 1, v2
	v_cmp_le_u32_e32 vcc, s47, v11
	v_cndmask_b32_e32 v2, v2, v12, vcc
	v_subrev_u32_e32 v12, s47, v11
	v_cndmask_b32_e32 v11, v11, v12, vcc
	v_add_u32_e32 v12, 1, v2
	v_cmp_le_u32_e32 vcc, s47, v11
	v_cndmask_b32_e32 v2, v2, v12, vcc
	v_mul_lo_u32 v11, v2, s47
	v_sub_u32_e32 v7, v7, v11
	v_mad_u64_u32 v[10:11], s[48:49], s48, v7, v[10:11]
	s_cbranch_scc1 .LBB61_16
.LBB61_17:                              ;   in Loop: Header=BB61_3 Depth=1
	v_mad_u64_u32 v[10:11], s[44:45], s55, v2, v[10:11]
	v_mov_b32_e32 v11, v3
.LBB61_18:                              ;   in Loop: Header=BB61_3 Depth=1
	s_or_b64 exec, exec, s[8:9]
	v_cmp_lt_i32_e64 s[8:9], 3, v1
	v_pk_mov_b32 v[14:15], 0, 0
	s_and_saveexec_b64 s[44:45], s[8:9]
	s_cbranch_execz .LBB61_23
; %bb.19:                               ;   in Loop: Header=BB61_3 Depth=1
	s_waitcnt vmcnt(3)
	v_or_b32_e32 v2, 3, v30
	s_and_b64 vcc, exec, s[0:1]
	v_mov_b32_e32 v12, 0
	s_cbranch_vccnz .LBB61_22
; %bb.20:                               ;   in Loop: Header=BB61_3 Depth=1
	v_mov_b32_e32 v12, 0
	s_mov_b64 s[46:47], s[24:25]
	s_mov_b32 s48, s58
.LBB61_21:                              ;   Parent Loop BB61_3 Depth=1
                                        ; =>  This Inner Loop Header: Depth=2
	s_load_dword s49, s[46:47], 0x0
	s_load_dword s50, s[46:47], 0x64
	s_waitcnt vmcnt(2)
	v_mov_b32_e32 v7, v2
	s_add_i32 s48, s48, -1
	s_waitcnt lgkmcnt(0)
	v_cvt_f32_u32_e32 v2, s49
	s_sub_i32 s51, 0, s49
	s_add_u32 s46, s46, -4
	s_addc_u32 s47, s47, -1
	v_rcp_iflag_f32_e32 v2, v2
	s_cmp_gt_u32 s48, 2
	v_mul_f32_e32 v2, 0x4f7ffffe, v2
	v_cvt_u32_f32_e32 v2, v2
	v_mul_lo_u32 v13, s51, v2
	v_mul_hi_u32 v13, v2, v13
	v_add_u32_e32 v2, v2, v13
	v_mul_hi_u32 v2, v7, v2
	v_mul_lo_u32 v13, v2, s49
	v_sub_u32_e32 v13, v7, v13
	v_add_u32_e32 v14, 1, v2
	v_cmp_le_u32_e32 vcc, s49, v13
	v_cndmask_b32_e32 v2, v2, v14, vcc
	v_subrev_u32_e32 v14, s49, v13
	v_cndmask_b32_e32 v13, v13, v14, vcc
	v_add_u32_e32 v14, 1, v2
	v_cmp_le_u32_e32 vcc, s49, v13
	v_cndmask_b32_e32 v2, v2, v14, vcc
	v_mul_lo_u32 v13, v2, s49
	v_sub_u32_e32 v7, v7, v13
	v_mad_u64_u32 v[12:13], s[50:51], s50, v7, v[12:13]
	s_cbranch_scc1 .LBB61_21
.LBB61_22:                              ;   in Loop: Header=BB61_3 Depth=1
	v_mad_u64_u32 v[14:15], s[46:47], s55, v2, v[12:13]
	v_mov_b32_e32 v15, v3
.LBB61_23:                              ;   in Loop: Header=BB61_3 Depth=1
	s_or_b64 exec, exec, s[44:45]
	s_waitcnt vmcnt(3)
	v_mul_lo_u32 v2, v30, s54
	s_waitcnt vmcnt(2)
	v_add_u32_e32 v7, s54, v2
	v_cndmask_b32_e64 v2, 0, v2, s[2:3]
	v_lshlrev_b64 v[12:13], 2, v[2:3]
	v_mov_b32_e32 v22, s11
	v_add_co_u32_e32 v12, vcc, s10, v12
	v_cndmask_b32_e64 v2, 0, v7, s[4:5]
	v_add_u32_e32 v18, s54, v7
	v_addc_co_u32_e32 v13, vcc, v22, v13, vcc
	v_lshlrev_b64 v[16:17], 2, v[2:3]
	v_add_co_u32_e32 v16, vcc, s10, v16
	v_cndmask_b32_e64 v2, 0, v18, s[6:7]
	v_add_u32_e32 v20, s54, v18
	v_addc_co_u32_e32 v17, vcc, v22, v17, vcc
	v_lshlrev_b64 v[18:19], 2, v[2:3]
	v_add_co_u32_e32 v18, vcc, s10, v18
	v_cndmask_b32_e64 v2, 0, v20, s[8:9]
	v_addc_co_u32_e32 v19, vcc, v22, v19, vcc
	v_lshlrev_b64 v[20:21], 2, v[2:3]
	v_add_co_u32_e32 v20, vcc, s10, v20
	v_addc_co_u32_e32 v21, vcc, v22, v21, vcc
	global_load_dword v2, v[12:13], off
	global_load_dword v7, v[16:17], off
	global_load_dword v31, v[18:19], off
	global_load_dword v32, v[20:21], off
	s_andn2_b64 vcc, exec, s[22:23]
	v_pk_mov_b32 v[12:13], s[14:15], s[14:15] op_sel:[0,1]
	v_pk_mov_b32 v[16:17], s[12:13], s[12:13] op_sel:[0,1]
	s_cbranch_vccnz .LBB61_25
; %bb.24:                               ;   in Loop: Header=BB61_3 Depth=1
	v_pk_mov_b32 v[12:13], s[14:15], s[14:15] op_sel:[0,1]
	flat_load_dwordx2 v[12:13], v[12:13]
	v_pk_mov_b32 v[16:17], s[12:13], s[12:13] op_sel:[0,1]
	flat_load_dwordx2 v[16:17], v[16:17]
	v_mov_b32_e32 v18, s17
	s_waitcnt vmcnt(0) lgkmcnt(0)
	v_add_co_u32_e32 v12, vcc, s16, v12
	v_addc_co_u32_e32 v13, vcc, v13, v18, vcc
.LBB61_25:                              ;   in Loop: Header=BB61_3 Depth=1
	v_alignbit_b32 v26, v13, v12, 2
	v_lshrrev_b32_e32 v27, 2, v13
	v_xor_b32_e32 v18, v4, v16
	v_and_b32_e32 v33, 3, v12
	v_mad_u64_u32 v[12:13], s[2:3], v26, s59, 0
	v_xor_b32_e32 v18, v18, v27
	v_xor_b32_e32 v13, v13, v17
	v_add_u32_e32 v38, 0xbb67ae85, v17
	v_mad_u64_u32 v[18:19], s[2:3], v18, s59, 0
	v_mad_u64_u32 v[20:21], s[2:3], v13, s56, 0
	v_xor_b32_e32 v19, v38, v19
	v_add_u32_e32 v37, 0x9e3779b9, v16
	v_xor_b32_e32 v13, v0, v21
	v_xor_b32_e32 v19, v19, v12
	v_xor_b32_e32 v13, v13, v37
	v_add_u32_e32 v39, 0x3c6ef372, v16
	v_mad_u64_u32 v[22:23], s[2:3], v19, s56, 0
	v_add_u32_e32 v40, 0x76cf5d0a, v17
	v_mad_u64_u32 v[12:13], s[2:3], v13, s59, 0
	v_xor_b32_e32 v19, v39, v23
	v_xor_b32_e32 v19, v19, v20
	v_xor_b32_e32 v13, v40, v13
	v_xor_b32_e32 v13, v13, v18
	v_add_u32_e32 v42, 0x32370b8f, v17
	v_mad_u64_u32 v[18:19], s[2:3], v19, s59, 0
	v_add_u32_e32 v41, 0xdaa66d2b, v16
	v_mad_u64_u32 v[20:21], s[2:3], v13, s56, 0
	v_xor_b32_e32 v19, v42, v19
	;; [unrolled: 8-line block ×5, first 2 shown]
	v_xor_b32_e32 v19, v19, v20
	v_xor_b32_e32 v13, v48, v13
	;; [unrolled: 1-line block ×3, first 2 shown]
	v_add_u32_e32 v50, 0x1fd5c5a3, v17
	v_mad_u64_u32 v[18:19], s[2:3], v19, s59, 0
	v_xor_b32_e32 v19, v50, v19
	v_xor_b32_e32 v12, v19, v12
	v_add_u32_e32 v49, 0x5384540f, v16
	v_mad_u64_u32 v[24:25], s[2:3], v13, s56, 0
	v_add_co_u32_e32 v35, vcc, s60, v16
	v_mad_u64_u32 v[20:21], s[2:3], v12, s56, 0
	v_xor_b32_e32 v13, v49, v25
	v_xor_b32_e32 v12, v35, v21
	;; [unrolled: 1-line block ×4, first 2 shown]
	v_mad_u64_u32 v[22:23], s[2:3], v13, s59, 0
	v_mad_u64_u32 v[12:13], s[2:3], v12, s59, 0
	v_add_u32_e32 v36, 0x96a522ad, v17
	v_xor_b32_e32 v13, v13, v22
	v_xor_b32_e32 v34, v36, v13
	v_add_co_u32_e32 v13, vcc, 1, v26
	v_cndmask_b32_e64 v22, 0, 1, vcc
	v_addc_co_u32_e32 v28, vcc, 0, v27, vcc
	v_cmp_eq_u32_e32 vcc, 0, v28
	v_cndmask_b32_e32 v22, 0, v22, vcc
	v_add_u32_e32 v26, v22, v5
	v_cmp_eq_u32_e32 vcc, 0, v26
	v_mad_u64_u32 v[24:25], s[2:3], v13, s59, 0
	v_mad_u64_u32 v[26:27], s[2:3], v26, s56, 0
	v_add_u32_e32 v21, 0x8ff34781, v16
	v_cndmask_b32_e32 v22, 0, v22, vcc
	v_xor_b32_e32 v13, v27, v16
	v_xor_b32_e32 v16, v25, v17
	;; [unrolled: 1-line block ×4, first 2 shown]
	v_mad_u64_u32 v[28:29], s[2:3], v22, s56, 0
	v_add_u32_e32 v19, 0xdb3d7428, v17
	v_mad_u64_u32 v[16:17], s[2:3], v13, s59, 0
	v_xor_b32_e32 v13, v37, v29
	v_xor_b32_e32 v13, v13, v26
	v_xor_b32_e32 v17, v38, v17
	v_xor_b32_e32 v17, v17, v24
	v_mad_u64_u32 v[24:25], s[2:3], v13, s59, 0
	v_mad_u64_u32 v[26:27], s[2:3], v17, s56, 0
	v_xor_b32_e32 v17, v40, v25
	v_xor_b32_e32 v13, v39, v27
	v_xor_b32_e32 v22, v17, v16
	v_xor_b32_e32 v13, v13, v28
	v_mad_u64_u32 v[28:29], s[2:3], v22, s56, 0
	;; [unrolled: 6-line block ×7, first 2 shown]
	v_xor_b32_e32 v13, v19, v27
	v_xor_b32_e32 v13, v13, v16
	v_mad_u64_u32 v[28:29], s[2:3], v17, s56, 0
	v_mad_u64_u32 v[16:17], s[2:3], v13, s56, 0
	v_xor_b32_e32 v13, v17, v28
	v_xor_b32_e32 v13, v21, v13
	v_cmp_lt_i32_e32 vcc, 1, v33
                                        ; implicit-def: $vgpr17
	s_and_saveexec_b64 s[2:3], vcc
	s_xor_b64 s[2:3], exec, s[2:3]
	s_cbranch_execz .LBB61_31
; %bb.26:                               ;   in Loop: Header=BB61_3 Depth=1
	v_cmp_lt_i32_e32 vcc, 2, v33
                                        ; implicit-def: $vgpr17
	s_and_saveexec_b64 s[4:5], vcc
	s_xor_b64 s[4:5], exec, s[4:5]
; %bb.27:                               ;   in Loop: Header=BB61_3 Depth=1
	v_xor_b32_e32 v17, v35, v29
	v_xor_b32_e32 v17, v17, v24
	v_mul_hi_u32 v17, v17, s59
	v_xor_b32_e32 v17, v17, v26
	v_xor_b32_e32 v17, v36, v17
                                        ; implicit-def: $vgpr34
; %bb.28:                               ;   in Loop: Header=BB61_3 Depth=1
	s_andn2_saveexec_b64 s[4:5], s[4:5]
; %bb.29:                               ;   in Loop: Header=BB61_3 Depth=1
	v_mov_b32_e32 v17, v16
	v_mov_b32_e32 v16, v13
	;; [unrolled: 1-line block ×4, first 2 shown]
; %bb.30:                               ;   in Loop: Header=BB61_3 Depth=1
	s_or_b64 exec, exec, s[4:5]
                                        ; implicit-def: $vgpr18_vgpr19
                                        ; implicit-def: $vgpr20_vgpr21
                                        ; implicit-def: $vgpr33
                                        ; implicit-def: $vgpr34
                                        ; implicit-def: $vgpr22_vgpr23
                                        ; implicit-def: $vgpr19
                                        ; implicit-def: $vgpr21
.LBB61_31:                              ;   in Loop: Header=BB61_3 Depth=1
	s_andn2_saveexec_b64 s[2:3], s[2:3]
	s_cbranch_execz .LBB61_35
; %bb.32:                               ;   in Loop: Header=BB61_3 Depth=1
	v_xor_b32_e32 v16, v19, v23
	v_xor_b32_e32 v16, v16, v18
	v_mad_u64_u32 v[18:19], s[4:5], v16, s56, 0
	v_xor_b32_e32 v16, v19, v20
	v_xor_b32_e32 v19, v21, v16
	v_cmp_eq_u32_e32 vcc, 1, v33
	v_mov_b32_e32 v17, v12
	v_mov_b32_e32 v16, v34
	;; [unrolled: 1-line block ×3, first 2 shown]
	s_and_saveexec_b64 s[4:5], vcc
; %bb.33:                               ;   in Loop: Header=BB61_3 Depth=1
	v_mov_b32_e32 v17, v13
	v_mov_b32_e32 v16, v12
	;; [unrolled: 1-line block ×4, first 2 shown]
; %bb.34:                               ;   in Loop: Header=BB61_3 Depth=1
	s_or_b64 exec, exec, s[4:5]
	v_mov_b32_e32 v12, v19
	v_mov_b32_e32 v13, v20
.LBB61_35:                              ;   in Loop: Header=BB61_3 Depth=1
	s_or_b64 exec, exec, s[2:3]
	v_min_i32_e32 v1, 4, v1
	v_cmp_lt_i32_e32 vcc, 2, v1
	s_mov_b64 s[4:5], 0
	s_mov_b64 s[50:51], 0
	;; [unrolled: 1-line block ×3, first 2 shown]
                                        ; implicit-def: $sgpr8_sgpr9
                                        ; implicit-def: $sgpr44_sgpr45
                                        ; implicit-def: $sgpr46_sgpr47
	s_and_saveexec_b64 s[2:3], vcc
	s_xor_b64 s[48:49], exec, s[2:3]
	s_cbranch_execz .LBB61_47
; %bb.36:                               ;   in Loop: Header=BB61_3 Depth=1
	v_cmp_lt_i32_e32 vcc, 3, v1
	s_mov_b64 s[2:3], -1
	s_mov_b64 s[52:53], 0
                                        ; implicit-def: $sgpr6_sgpr7
                                        ; implicit-def: $sgpr8_sgpr9
	s_and_saveexec_b64 s[44:45], vcc
	s_cbranch_execz .LBB61_42
; %bb.37:                               ;   in Loop: Header=BB61_3 Depth=1
	v_cmp_eq_u32_e32 vcc, 4, v1
	s_mov_b64 s[2:3], 0
	s_mov_b64 s[52:53], -1
                                        ; implicit-def: $sgpr6_sgpr7
                                        ; implicit-def: $sgpr8_sgpr9
	s_and_saveexec_b64 s[46:47], vcc
	s_cbranch_execz .LBB61_41
; %bb.38:                               ;   in Loop: Header=BB61_3 Depth=1
	s_waitcnt vmcnt(0)
	v_cmp_le_f32_e32 vcc, 0, v32
	v_cmp_ge_f32_e64 s[2:3], 1.0, v32
	s_and_b64 s[52:53], vcc, s[2:3]
	s_mov_b64 s[6:7], 0
	s_mov_b64 s[2:3], 0
	s_and_saveexec_b64 s[8:9], s[52:53]
	s_cbranch_execz .LBB61_40
; %bb.39:                               ;   in Loop: Header=BB61_3 Depth=1
	v_cvt_f32_u32_e32 v17, v17
	v_mov_b32_e32 v18, 0x2f800000
	v_lshlrev_b64 v[14:15], 1, v[14:15]
	v_add_co_u32_e32 v14, vcc, s20, v14
	v_fmac_f32_e32 v18, 0x2f800000, v17
	v_mov_b32_e32 v17, s21
	v_addc_co_u32_e32 v15, vcc, v17, v15, vcc
	v_cmp_le_f32_e32 vcc, v18, v32
	s_mov_b64 s[2:3], exec
	v_cndmask_b32_e64 v17, 0, 1, vcc
	global_store_short v[14:15], v17, off
.LBB61_40:                              ;   in Loop: Header=BB61_3 Depth=1
	s_or_b64 exec, exec, s[8:9]
	s_mov_b64 s[8:9], -1
	s_xor_b64 s[52:53], exec, -1
	s_and_b64 s[2:3], s[2:3], exec
.LBB61_41:                              ;   in Loop: Header=BB61_3 Depth=1
	s_or_b64 exec, exec, s[46:47]
	s_and_b64 s[52:53], s[52:53], exec
	s_orn2_b64 s[2:3], s[2:3], exec
.LBB61_42:                              ;   in Loop: Header=BB61_3 Depth=1
	s_or_b64 exec, exec, s[44:45]
	s_mov_b64 s[46:47], s[6:7]
	s_and_saveexec_b64 s[44:45], s[2:3]
	s_cbranch_execz .LBB61_46
; %bb.43:                               ;   in Loop: Header=BB61_3 Depth=1
	s_waitcnt vmcnt(1)
	v_cmp_le_f32_e32 vcc, 0, v31
	v_cmp_ge_f32_e64 s[2:3], 1.0, v31
	s_and_b64 s[46:47], vcc, s[2:3]
	s_mov_b64 s[2:3], 0
	s_and_saveexec_b64 s[50:51], s[46:47]
	s_xor_b64 s[46:47], exec, s[50:51]
	s_cbranch_execz .LBB61_45
; %bb.44:                               ;   in Loop: Header=BB61_3 Depth=1
	v_cvt_f32_u32_e32 v14, v16
	v_mov_b32_e32 v15, 0x2f800000
	v_lshlrev_b64 v[10:11], 1, v[10:11]
	v_add_co_u32_e32 v10, vcc, s20, v10
	v_fmac_f32_e32 v15, 0x2f800000, v14
	v_mov_b32_e32 v14, s21
	v_addc_co_u32_e32 v11, vcc, v14, v11, vcc
	v_cmp_le_f32_e32 vcc, v15, v31
	v_cndmask_b32_e64 v14, 0, 1, vcc
	s_mov_b64 s[2:3], exec
	global_store_short v[10:11], v14, off
.LBB61_45:                              ;   in Loop: Header=BB61_3 Depth=1
	s_or_b64 exec, exec, s[46:47]
	s_andn2_b64 s[46:47], s[6:7], exec
	s_or_b64 s[6:7], s[6:7], exec
	s_andn2_b64 s[8:9], s[8:9], exec
	s_and_b64 s[50:51], s[2:3], exec
.LBB61_46:                              ;   in Loop: Header=BB61_3 Depth=1
	s_or_b64 exec, exec, s[44:45]
	s_and_b64 s[46:47], s[46:47], exec
	s_and_b64 s[44:45], s[6:7], exec
	;; [unrolled: 1-line block ×5, first 2 shown]
.LBB61_47:                              ;   in Loop: Header=BB61_3 Depth=1
	s_andn2_saveexec_b64 s[2:3], s[48:49]
; %bb.48:                               ;   in Loop: Header=BB61_3 Depth=1
	v_cmp_lt_i32_e32 vcc, 1, v1
	s_andn2_b64 s[48:49], s[50:51], exec
	s_and_b64 s[50:51], vcc, exec
	s_mov_b64 s[4:5], exec
	s_andn2_b64 s[46:47], s[46:47], exec
	s_andn2_b64 s[44:45], s[44:45], exec
	;; [unrolled: 1-line block ×3, first 2 shown]
	s_or_b64 s[50:51], s[48:49], s[50:51]
; %bb.49:                               ;   in Loop: Header=BB61_3 Depth=1
	s_or_b64 exec, exec, s[2:3]
	s_mov_b64 s[2:3], 0
	s_mov_b64 s[48:49], s[46:47]
	s_and_saveexec_b64 s[52:53], s[50:51]
	s_cbranch_execnz .LBB61_52
; %bb.50:                               ;   in Loop: Header=BB61_3 Depth=1
	s_or_b64 exec, exec, s[52:53]
	s_and_saveexec_b64 s[50:51], s[4:5]
	s_cbranch_execnz .LBB61_55
.LBB61_51:                              ;   in Loop: Header=BB61_3 Depth=1
	s_or_b64 exec, exec, s[50:51]
	s_and_saveexec_b64 s[4:5], s[2:3]
	s_cbranch_execnz .LBB61_56
	s_branch .LBB61_59
.LBB61_52:                              ;   in Loop: Header=BB61_3 Depth=1
	s_waitcnt vmcnt(2)
	v_cmp_le_f32_e32 vcc, 0, v7
	v_cmp_ge_f32_e64 s[2:3], 1.0, v7
	s_and_b64 s[48:49], vcc, s[2:3]
	s_mov_b64 s[2:3], 0
	s_and_saveexec_b64 s[50:51], s[48:49]
	s_xor_b64 s[48:49], exec, s[50:51]
	s_cbranch_execz .LBB61_54
; %bb.53:                               ;   in Loop: Header=BB61_3 Depth=1
	v_cvt_f32_u32_e32 v10, v13
	v_mov_b32_e32 v11, 0x2f800000
	v_lshlrev_b64 v[8:9], 1, v[8:9]
	v_add_co_u32_e32 v8, vcc, s20, v8
	v_fmac_f32_e32 v11, 0x2f800000, v10
	v_mov_b32_e32 v10, s21
	v_addc_co_u32_e32 v9, vcc, v10, v9, vcc
	v_cmp_le_f32_e32 vcc, v11, v7
	v_cndmask_b32_e64 v7, 0, 1, vcc
	s_mov_b64 s[2:3], exec
	global_store_short v[8:9], v7, off
.LBB61_54:                              ;   in Loop: Header=BB61_3 Depth=1
	s_or_b64 exec, exec, s[48:49]
	s_andn2_b64 s[48:49], s[46:47], exec
	s_or_b64 s[46:47], s[46:47], exec
	s_andn2_b64 s[44:45], s[44:45], exec
	s_andn2_b64 s[8:9], s[8:9], exec
	s_and_b64 s[2:3], s[2:3], exec
	s_andn2_b64 s[4:5], s[4:5], exec
	s_or_b64 exec, exec, s[52:53]
	s_and_saveexec_b64 s[50:51], s[4:5]
	s_cbranch_execz .LBB61_51
.LBB61_55:                              ;   in Loop: Header=BB61_3 Depth=1
	v_cmp_eq_u32_e32 vcc, 1, v1
	s_andn2_b64 s[2:3], s[2:3], exec
	s_and_b64 s[4:5], vcc, exec
	s_andn2_b64 s[48:49], s[48:49], exec
	s_andn2_b64 s[46:47], s[46:47], exec
	;; [unrolled: 1-line block ×4, first 2 shown]
	s_or_b64 s[6:7], s[6:7], exec
	s_or_b64 s[2:3], s[2:3], s[4:5]
	s_or_b64 exec, exec, s[50:51]
	s_and_saveexec_b64 s[4:5], s[2:3]
	s_cbranch_execz .LBB61_59
.LBB61_56:                              ;   in Loop: Header=BB61_3 Depth=1
	s_waitcnt vmcnt(3)
	v_cmp_le_f32_e32 vcc, 0, v2
	v_cmp_ge_f32_e64 s[2:3], 1.0, v2
	s_and_b64 s[52:53], vcc, s[2:3]
	s_mov_b64 s[2:3], 0
	s_and_saveexec_b64 s[50:51], s[52:53]
	s_cbranch_execz .LBB61_58
; %bb.57:                               ;   in Loop: Header=BB61_3 Depth=1
	v_cvt_f32_u32_e32 v1, v12
	s_waitcnt vmcnt(2)
	v_mov_b32_e32 v7, v3
	v_mov_b32_e32 v8, 0x2f800000
	v_lshlrev_b64 v[6:7], 1, v[6:7]
	v_fmac_f32_e32 v8, 0x2f800000, v1
	v_mov_b32_e32 v1, s21
	v_add_co_u32_e32 v6, vcc, s20, v6
	v_addc_co_u32_e32 v7, vcc, v1, v7, vcc
	v_cmp_le_f32_e32 vcc, v8, v2
	s_mov_b64 s[2:3], exec
	v_cndmask_b32_e64 v1, 0, 1, vcc
	global_store_short v[6:7], v1, off
.LBB61_58:                              ;   in Loop: Header=BB61_3 Depth=1
	s_or_b64 exec, exec, s[50:51]
	s_andn2_b64 s[6:7], s[6:7], exec
	s_and_b64 s[2:3], s[2:3], exec
	s_or_b64 s[48:49], s[48:49], exec
	s_andn2_b64 s[46:47], s[46:47], exec
	s_andn2_b64 s[44:45], s[44:45], exec
	;; [unrolled: 1-line block ×3, first 2 shown]
	s_or_b64 s[6:7], s[6:7], s[2:3]
.LBB61_59:                              ;   in Loop: Header=BB61_3 Depth=1
	s_or_b64 exec, exec, s[4:5]
	s_andn2_b64 s[4:5], s[42:43], exec
	s_and_b64 s[42:43], s[48:49], exec
	s_or_b64 s[42:43], s[4:5], s[42:43]
	s_andn2_b64 s[4:5], s[40:41], exec
	s_and_b64 s[40:41], s[46:47], exec
	s_or_b64 s[40:41], s[4:5], s[40:41]
	;; [unrolled: 3-line block ×3, first 2 shown]
	s_andn2_b64 s[4:5], s[36:37], exec
	s_and_b64 s[8:9], s[8:9], exec
	s_mov_b64 s[2:3], -1
	s_or_b64 s[36:37], s[4:5], s[8:9]
	s_and_saveexec_b64 s[4:5], s[6:7]
	s_cbranch_execz .LBB61_2
; %bb.60:                               ;   in Loop: Header=BB61_3 Depth=1
	v_add_u32_e32 v30, s57, v30
	v_cmp_le_u32_e32 vcc, s33, v30
	s_andn2_b64 s[42:43], s[42:43], exec
	s_andn2_b64 s[40:41], s[40:41], exec
	;; [unrolled: 1-line block ×4, first 2 shown]
	s_orn2_b64 s[2:3], vcc, exec
	s_branch .LBB61_2
.LBB61_61:
	s_or_b64 exec, exec, s[26:27]
	s_xor_b64 s[6:7], s[34:35], -1
	s_xor_b64 s[8:9], s[30:31], -1
	;; [unrolled: 1-line block ×3, first 2 shown]
	s_mov_b64 s[2:3], 0
	s_and_saveexec_b64 s[4:5], s[0:1]
	s_xor_b64 s[0:1], exec, s[4:5]
	s_cbranch_execnz .LBB61_66
; %bb.62:
	s_andn2_saveexec_b64 s[0:1], s[0:1]
	s_cbranch_execnz .LBB61_74
.LBB61_63:
	s_or_b64 exec, exec, s[0:1]
	s_and_b64 exec, exec, s[2:3]
.LBB61_64:
	; divergent unreachable
.LBB61_65:
	s_endpgm
.LBB61_66:
	s_mov_b64 s[4:5], 0
	s_and_saveexec_b64 s[2:3], s[8:9]
	s_xor_b64 s[2:3], exec, s[2:3]
	s_cbranch_execz .LBB61_72
; %bb.67:
	s_and_saveexec_b64 s[8:9], s[6:7]
	s_xor_b64 s[6:7], exec, s[8:9]
	s_cbranch_execz .LBB61_70
; %bb.68:
	s_and_saveexec_b64 s[8:9], s[18:19]
	s_xor_b64 s[8:9], exec, s[8:9]
	s_cbranch_execnz .LBB61_77
.LBB61_69:
	s_or_b64 exec, exec, s[8:9]
	s_and_b64 s[4:5], s[4:5], exec
.LBB61_70:
	s_andn2_saveexec_b64 s[6:7], s[6:7]
	s_cbranch_execnz .LBB61_76
.LBB61_71:
	s_or_b64 exec, exec, s[6:7]
	s_and_b64 s[4:5], s[4:5], exec
.LBB61_72:
	s_andn2_saveexec_b64 s[2:3], s[2:3]
	s_cbranch_execnz .LBB61_75
.LBB61_73:
	s_or_b64 exec, exec, s[2:3]
	s_and_b64 s[2:3], s[4:5], exec
	s_andn2_saveexec_b64 s[0:1], s[0:1]
	s_cbranch_execz .LBB61_63
.LBB61_74:
	s_or_b64 s[2:3], s[2:3], exec
	s_trap 2
	s_or_b64 exec, exec, s[0:1]
	s_and_b64 exec, exec, s[2:3]
	s_cbranch_execnz .LBB61_64
	s_branch .LBB61_65
.LBB61_75:
	s_or_b64 s[4:5], s[4:5], exec
	s_trap 2
	s_branch .LBB61_73
.LBB61_76:
	s_trap 2
	s_or_b64 s[4:5], s[4:5], exec
	s_branch .LBB61_71
.LBB61_77:
	s_mov_b64 s[4:5], exec
	s_trap 2
	s_branch .LBB61_69
	.section	.rodata,"a",@progbits
	.p2align	6, 0x0
	.amdhsa_kernel _ZN2at4cuda12_GLOBAL__N_121kernelPointwiseApply2IZNS_6native9templates4cuda28bernoulli_tensor_cuda_kernelIsfEEvRKNS_10TensorBaseES9_NS_15PhiloxCudaStateEEUliRsSB_SB_SB_RKfSD_SD_SD_E_sSC_jLin1ELi1ELi4ELi512ELi2EEEvNS0_6detail10TensorInfoIT0_T2_EENSG_IT1_SI_EESI_T_
		.amdhsa_group_segment_fixed_size 0
		.amdhsa_private_segment_fixed_size 0
		.amdhsa_kernarg_size 728
		.amdhsa_user_sgpr_count 6
		.amdhsa_user_sgpr_private_segment_buffer 1
		.amdhsa_user_sgpr_dispatch_ptr 0
		.amdhsa_user_sgpr_queue_ptr 0
		.amdhsa_user_sgpr_kernarg_segment_ptr 1
		.amdhsa_user_sgpr_dispatch_id 0
		.amdhsa_user_sgpr_flat_scratch_init 0
		.amdhsa_user_sgpr_kernarg_preload_length 0
		.amdhsa_user_sgpr_kernarg_preload_offset 0
		.amdhsa_user_sgpr_private_segment_size 0
		.amdhsa_uses_dynamic_stack 0
		.amdhsa_system_sgpr_private_segment_wavefront_offset 0
		.amdhsa_system_sgpr_workgroup_id_x 1
		.amdhsa_system_sgpr_workgroup_id_y 0
		.amdhsa_system_sgpr_workgroup_id_z 0
		.amdhsa_system_sgpr_workgroup_info 0
		.amdhsa_system_vgpr_workitem_id 0
		.amdhsa_next_free_vgpr 51
		.amdhsa_next_free_sgpr 61
		.amdhsa_accum_offset 52
		.amdhsa_reserve_vcc 1
		.amdhsa_reserve_flat_scratch 0
		.amdhsa_float_round_mode_32 0
		.amdhsa_float_round_mode_16_64 0
		.amdhsa_float_denorm_mode_32 3
		.amdhsa_float_denorm_mode_16_64 3
		.amdhsa_dx10_clamp 1
		.amdhsa_ieee_mode 1
		.amdhsa_fp16_overflow 0
		.amdhsa_tg_split 0
		.amdhsa_exception_fp_ieee_invalid_op 0
		.amdhsa_exception_fp_denorm_src 0
		.amdhsa_exception_fp_ieee_div_zero 0
		.amdhsa_exception_fp_ieee_overflow 0
		.amdhsa_exception_fp_ieee_underflow 0
		.amdhsa_exception_fp_ieee_inexact 0
		.amdhsa_exception_int_div_zero 0
	.end_amdhsa_kernel
	.section	.text._ZN2at4cuda12_GLOBAL__N_121kernelPointwiseApply2IZNS_6native9templates4cuda28bernoulli_tensor_cuda_kernelIsfEEvRKNS_10TensorBaseES9_NS_15PhiloxCudaStateEEUliRsSB_SB_SB_RKfSD_SD_SD_E_sSC_jLin1ELi1ELi4ELi512ELi2EEEvNS0_6detail10TensorInfoIT0_T2_EENSG_IT1_SI_EESI_T_,"axG",@progbits,_ZN2at4cuda12_GLOBAL__N_121kernelPointwiseApply2IZNS_6native9templates4cuda28bernoulli_tensor_cuda_kernelIsfEEvRKNS_10TensorBaseES9_NS_15PhiloxCudaStateEEUliRsSB_SB_SB_RKfSD_SD_SD_E_sSC_jLin1ELi1ELi4ELi512ELi2EEEvNS0_6detail10TensorInfoIT0_T2_EENSG_IT1_SI_EESI_T_,comdat
.Lfunc_end61:
	.size	_ZN2at4cuda12_GLOBAL__N_121kernelPointwiseApply2IZNS_6native9templates4cuda28bernoulli_tensor_cuda_kernelIsfEEvRKNS_10TensorBaseES9_NS_15PhiloxCudaStateEEUliRsSB_SB_SB_RKfSD_SD_SD_E_sSC_jLin1ELi1ELi4ELi512ELi2EEEvNS0_6detail10TensorInfoIT0_T2_EENSG_IT1_SI_EESI_T_, .Lfunc_end61-_ZN2at4cuda12_GLOBAL__N_121kernelPointwiseApply2IZNS_6native9templates4cuda28bernoulli_tensor_cuda_kernelIsfEEvRKNS_10TensorBaseES9_NS_15PhiloxCudaStateEEUliRsSB_SB_SB_RKfSD_SD_SD_E_sSC_jLin1ELi1ELi4ELi512ELi2EEEvNS0_6detail10TensorInfoIT0_T2_EENSG_IT1_SI_EESI_T_
                                        ; -- End function
	.section	.AMDGPU.csdata,"",@progbits
; Kernel info:
; codeLenInByte = 3508
; NumSgprs: 65
; NumVgprs: 51
; NumAgprs: 0
; TotalNumVgprs: 51
; ScratchSize: 0
; MemoryBound: 0
; FloatMode: 240
; IeeeMode: 1
; LDSByteSize: 0 bytes/workgroup (compile time only)
; SGPRBlocks: 8
; VGPRBlocks: 6
; NumSGPRsForWavesPerEU: 65
; NumVGPRsForWavesPerEU: 51
; AccumOffset: 52
; Occupancy: 8
; WaveLimiterHint : 1
; COMPUTE_PGM_RSRC2:SCRATCH_EN: 0
; COMPUTE_PGM_RSRC2:USER_SGPR: 6
; COMPUTE_PGM_RSRC2:TRAP_HANDLER: 0
; COMPUTE_PGM_RSRC2:TGID_X_EN: 1
; COMPUTE_PGM_RSRC2:TGID_Y_EN: 0
; COMPUTE_PGM_RSRC2:TGID_Z_EN: 0
; COMPUTE_PGM_RSRC2:TIDIG_COMP_CNT: 0
; COMPUTE_PGM_RSRC3_GFX90A:ACCUM_OFFSET: 12
; COMPUTE_PGM_RSRC3_GFX90A:TG_SPLIT: 0
	.section	.text._ZN2at4cuda12_GLOBAL__N_121kernelPointwiseApply2IZNS_6native9templates4cuda28bernoulli_tensor_cuda_kernelIsfEEvRKNS_10TensorBaseES9_NS_15PhiloxCudaStateEEUliRsSB_SB_SB_RKfSD_SD_SD_E_sSC_jLin1ELi2ELi4ELi512ELi2EEEvNS0_6detail10TensorInfoIT0_T2_EENSG_IT1_SI_EESI_T_,"axG",@progbits,_ZN2at4cuda12_GLOBAL__N_121kernelPointwiseApply2IZNS_6native9templates4cuda28bernoulli_tensor_cuda_kernelIsfEEvRKNS_10TensorBaseES9_NS_15PhiloxCudaStateEEUliRsSB_SB_SB_RKfSD_SD_SD_E_sSC_jLin1ELi2ELi4ELi512ELi2EEEvNS0_6detail10TensorInfoIT0_T2_EENSG_IT1_SI_EESI_T_,comdat
	.globl	_ZN2at4cuda12_GLOBAL__N_121kernelPointwiseApply2IZNS_6native9templates4cuda28bernoulli_tensor_cuda_kernelIsfEEvRKNS_10TensorBaseES9_NS_15PhiloxCudaStateEEUliRsSB_SB_SB_RKfSD_SD_SD_E_sSC_jLin1ELi2ELi4ELi512ELi2EEEvNS0_6detail10TensorInfoIT0_T2_EENSG_IT1_SI_EESI_T_ ; -- Begin function _ZN2at4cuda12_GLOBAL__N_121kernelPointwiseApply2IZNS_6native9templates4cuda28bernoulli_tensor_cuda_kernelIsfEEvRKNS_10TensorBaseES9_NS_15PhiloxCudaStateEEUliRsSB_SB_SB_RKfSD_SD_SD_E_sSC_jLin1ELi2ELi4ELi512ELi2EEEvNS0_6detail10TensorInfoIT0_T2_EENSG_IT1_SI_EESI_T_
	.p2align	8
	.type	_ZN2at4cuda12_GLOBAL__N_121kernelPointwiseApply2IZNS_6native9templates4cuda28bernoulli_tensor_cuda_kernelIsfEEvRKNS_10TensorBaseES9_NS_15PhiloxCudaStateEEUliRsSB_SB_SB_RKfSD_SD_SD_E_sSC_jLin1ELi2ELi4ELi512ELi2EEEvNS0_6detail10TensorInfoIT0_T2_EENSG_IT1_SI_EESI_T_,@function
_ZN2at4cuda12_GLOBAL__N_121kernelPointwiseApply2IZNS_6native9templates4cuda28bernoulli_tensor_cuda_kernelIsfEEvRKNS_10TensorBaseES9_NS_15PhiloxCudaStateEEUliRsSB_SB_SB_RKfSD_SD_SD_E_sSC_jLin1ELi2ELi4ELi512ELi2EEEvNS0_6detail10TensorInfoIT0_T2_EENSG_IT1_SI_EESI_T_: ; @_ZN2at4cuda12_GLOBAL__N_121kernelPointwiseApply2IZNS_6native9templates4cuda28bernoulli_tensor_cuda_kernelIsfEEvRKNS_10TensorBaseES9_NS_15PhiloxCudaStateEEUliRsSB_SB_SB_RKfSD_SD_SD_E_sSC_jLin1ELi2ELi4ELi512ELi2EEEvNS0_6detail10TensorInfoIT0_T2_EENSG_IT1_SI_EESI_T_
; %bb.0:
	s_load_dword s2, s[4:5], 0x1e4
	s_load_dword s33, s[4:5], 0x1b0
	s_add_u32 s0, s4, 0x1d8
	s_addc_u32 s1, s5, 0
	s_waitcnt lgkmcnt(0)
	s_and_b32 s2, s2, 0xffff
	s_mul_i32 s6, s6, s2
	v_add_u32_e32 v5, s6, v0
	v_lshlrev_b32_e32 v30, 2, v5
	v_cmp_gt_u32_e32 vcc, s33, v30
	s_and_saveexec_b64 s[6:7], vcc
	s_cbranch_execz .LBB62_73
; %bb.1:
	s_load_dword s56, s[4:5], 0xe4
	s_load_dwordx2 s[6:7], s[4:5], 0x144
	s_load_dword s3, s[0:1], 0x0
	s_load_dwordx2 s[12:13], s[4:5], 0xd8
	;; [unrolled: 2-line block ×3, first 2 shown]
	s_load_dwordx4 s[8:11], s[4:5], 0x1b8
	s_waitcnt lgkmcnt(0)
	v_cvt_f32_u32_e32 v0, s56
	s_mul_i32 s21, s3, s2
	s_load_dword s2, s[4:5], 0x1d0
	s_load_dword s57, s[4:5], 0x6c
	s_cmp_gt_i32 s20, 1
	v_rcp_iflag_f32_e32 v2, v0
	s_mov_b32 s58, 0xcd9e8d57
	s_cselect_b64 s[0:1], -1, 0
	s_waitcnt lgkmcnt(0)
	s_bitcmp1_b32 s2, 0
	v_mul_f32_e32 v2, 0x4f7ffffe, v2
	v_cvt_u32_f32_e32 v2, v2
	v_mad_u64_u32 v[0:1], s[2:3], v5, s58, 0
	s_cselect_b64 s[18:19], -1, 0
	s_sub_i32 s2, 0, s56
	s_mov_b32 s3, 0
	v_mov_b32_e32 v4, v1
	v_mul_lo_u32 v1, s2, v2
	s_add_i32 s2, s20, -1
	s_load_dwordx2 s[16:17], s[4:5], 0x0
	s_lshl_b32 s59, s21, 2
	s_add_i32 s60, s20, 1
	s_lshl_b64 s[2:3], s[2:3], 2
	s_add_u32 s2, s2, s4
	v_mul_hi_u32 v1, v2, v1
	s_addc_u32 s3, s3, s5
	v_add_u32_e32 v1, v2, v1
	s_add_u32 s20, s2, 8
	v_cndmask_b32_e64 v2, 0, 1, s[0:1]
	v_mov_b32_e32 v3, 0
	s_addc_u32 s21, s3, 0
	s_mov_b64 s[22:23], 0
	s_mov_b32 s61, 0xd2511f53
	v_cmp_ne_u32_e64 s[0:1], 1, v2
	s_mov_b32 s62, 0xf1bbcdc8
                                        ; implicit-def: $sgpr24_sgpr25
                                        ; implicit-def: $sgpr26_sgpr27
                                        ; implicit-def: $sgpr28_sgpr29
                                        ; implicit-def: $sgpr4_sgpr5
                                        ; implicit-def: $sgpr30_sgpr31
                                        ; implicit-def: $sgpr34_sgpr35
                                        ; implicit-def: $sgpr36_sgpr37
                                        ; implicit-def: $sgpr38_sgpr39
	s_branch .LBB62_3
.LBB62_2:                               ;   in Loop: Header=BB62_3 Depth=1
	s_or_b64 exec, exec, s[40:41]
	s_and_b64 s[2:3], exec, s[2:3]
	s_or_b64 s[22:23], s[2:3], s[22:23]
	s_andn2_b64 s[2:3], s[4:5], exec
	s_and_b64 s[4:5], s[38:39], exec
	s_or_b64 s[4:5], s[2:3], s[4:5]
	s_andn2_b64 s[2:3], s[28:29], exec
	s_and_b64 s[28:29], s[36:37], exec
	;; [unrolled: 3-line block ×4, first 2 shown]
	s_or_b64 s[24:25], s[2:3], s[24:25]
	s_andn2_b64 exec, exec, s[22:23]
	s_cbranch_execz .LBB62_69
.LBB62_3:                               ; =>This Loop Header: Depth=1
                                        ;     Child Loop BB62_6 Depth 2
                                        ;     Child Loop BB62_13 Depth 2
	;; [unrolled: 1-line block ×4, first 2 shown]
	v_sub_u32_e32 v31, s33, v30
	v_cmp_lt_i32_e64 s[2:3], 0, v31
	v_mov_b32_e32 v6, 0
	s_and_saveexec_b64 s[40:41], s[2:3]
	s_cbranch_execz .LBB62_8
; %bb.4:                                ;   in Loop: Header=BB62_3 Depth=1
	s_and_b64 vcc, exec, s[0:1]
	v_mov_b32_e32 v6, 0
	s_waitcnt vmcnt(3)
	v_mov_b32_e32 v2, v30
	s_cbranch_vccnz .LBB62_7
; %bb.5:                                ;   in Loop: Header=BB62_3 Depth=1
	v_mov_b32_e32 v6, 0
	s_mov_b64 s[42:43], s[20:21]
	s_mov_b32 s44, s60
	v_mov_b32_e32 v2, v30
.LBB62_6:                               ;   Parent Loop BB62_3 Depth=1
                                        ; =>  This Inner Loop Header: Depth=2
	s_load_dword s45, s[42:43], 0x0
	s_load_dword s46, s[42:43], 0x64
	s_waitcnt vmcnt(2)
	v_mov_b32_e32 v7, v2
	s_add_i32 s44, s44, -1
	s_waitcnt lgkmcnt(0)
	v_cvt_f32_u32_e32 v2, s45
	s_sub_i32 s47, 0, s45
	s_add_u32 s42, s42, -4
	s_addc_u32 s43, s43, -1
	v_rcp_iflag_f32_e32 v2, v2
	s_cmp_gt_u32 s44, 2
	v_mul_f32_e32 v2, 0x4f7ffffe, v2
	v_cvt_u32_f32_e32 v2, v2
	v_mul_lo_u32 v8, s47, v2
	v_mul_hi_u32 v8, v2, v8
	v_add_u32_e32 v2, v2, v8
	v_mul_hi_u32 v2, v7, v2
	v_mul_lo_u32 v8, v2, s45
	v_sub_u32_e32 v8, v7, v8
	s_waitcnt vmcnt(1)
	v_add_u32_e32 v9, 1, v2
	v_cmp_le_u32_e32 vcc, s45, v8
	v_cndmask_b32_e32 v2, v2, v9, vcc
	v_subrev_u32_e32 v9, s45, v8
	v_cndmask_b32_e32 v8, v8, v9, vcc
	v_add_u32_e32 v9, 1, v2
	v_cmp_le_u32_e32 vcc, s45, v8
	v_cndmask_b32_e32 v2, v2, v9, vcc
	v_mul_lo_u32 v8, v2, s45
	v_sub_u32_e32 v7, v7, v8
	v_mad_u64_u32 v[6:7], s[46:47], s46, v7, v[6:7]
	s_cbranch_scc1 .LBB62_6
.LBB62_7:                               ;   in Loop: Header=BB62_3 Depth=1
	s_waitcnt vmcnt(2)
	v_mad_u64_u32 v[6:7], s[42:43], s57, v2, v[6:7]
.LBB62_8:                               ;   in Loop: Header=BB62_3 Depth=1
	s_or_b64 exec, exec, s[40:41]
	v_mov_b32_e32 v8, 0
	s_waitcnt vmcnt(3)
	v_mov_b32_e32 v2, 0
	s_and_saveexec_b64 s[40:41], s[2:3]
	s_cbranch_execz .LBB62_10
; %bb.9:                                ;   in Loop: Header=BB62_3 Depth=1
	v_mul_hi_u32 v2, v30, v1
	s_waitcnt vmcnt(2)
	v_mul_lo_u32 v7, v2, s56
	v_sub_u32_e32 v7, v30, v7
	s_waitcnt vmcnt(1)
	v_add_u32_e32 v9, 1, v2
	v_cmp_le_u32_e32 vcc, s56, v7
	v_cndmask_b32_e32 v2, v2, v9, vcc
	v_subrev_u32_e32 v9, s56, v7
	v_cndmask_b32_e32 v7, v7, v9, vcc
	v_add_u32_e32 v9, 1, v2
	v_cmp_le_u32_e32 vcc, s56, v7
	v_cndmask_b32_e32 v7, v2, v9, vcc
	v_mul_lo_u32 v2, v7, s56
	v_sub_u32_e32 v2, v30, v2
	v_mul_lo_u32 v2, v2, s7
	v_mad_u64_u32 v[10:11], s[2:3], v7, s6, v[2:3]
	v_mov_b32_e32 v2, v10
.LBB62_10:                              ;   in Loop: Header=BB62_3 Depth=1
	s_or_b64 exec, exec, s[40:41]
	s_waitcnt vmcnt(2)
	v_or_b32_e32 v7, 1, v30
	v_cmp_lt_i32_e64 s[2:3], 1, v31
	s_and_saveexec_b64 s[40:41], s[2:3]
	s_cbranch_execz .LBB62_15
; %bb.11:                               ;   in Loop: Header=BB62_3 Depth=1
	s_and_b64 vcc, exec, s[0:1]
	v_mov_b32_e32 v8, 0
	v_mov_b32_e32 v10, v7
	s_cbranch_vccnz .LBB62_14
; %bb.12:                               ;   in Loop: Header=BB62_3 Depth=1
	v_mov_b32_e32 v8, 0
	s_mov_b64 s[42:43], s[20:21]
	s_mov_b32 s44, s60
	v_mov_b32_e32 v10, v7
.LBB62_13:                              ;   Parent Loop BB62_3 Depth=1
                                        ; =>  This Inner Loop Header: Depth=2
	s_load_dword s45, s[42:43], 0x0
	s_load_dword s46, s[42:43], 0x64
	s_waitcnt vmcnt(1)
	v_mov_b32_e32 v9, v10
	s_add_i32 s44, s44, -1
	s_waitcnt lgkmcnt(0)
	v_cvt_f32_u32_e32 v10, s45
	s_sub_i32 s47, 0, s45
	s_add_u32 s42, s42, -4
	s_addc_u32 s43, s43, -1
	v_rcp_iflag_f32_e32 v10, v10
	s_cmp_gt_u32 s44, 2
	v_mul_f32_e32 v10, 0x4f7ffffe, v10
	v_cvt_u32_f32_e32 v10, v10
	v_mul_lo_u32 v11, s47, v10
	v_mul_hi_u32 v11, v10, v11
	v_add_u32_e32 v10, v10, v11
	v_mul_hi_u32 v10, v9, v10
	v_mul_lo_u32 v11, v10, s45
	v_sub_u32_e32 v11, v9, v11
	v_add_u32_e32 v12, 1, v10
	v_cmp_le_u32_e32 vcc, s45, v11
	v_cndmask_b32_e32 v10, v10, v12, vcc
	v_subrev_u32_e32 v12, s45, v11
	v_cndmask_b32_e32 v11, v11, v12, vcc
	v_add_u32_e32 v12, 1, v10
	v_cmp_le_u32_e32 vcc, s45, v11
	v_cndmask_b32_e32 v10, v10, v12, vcc
	v_mul_lo_u32 v11, v10, s45
	v_sub_u32_e32 v9, v9, v11
	v_mad_u64_u32 v[8:9], s[46:47], s46, v9, v[8:9]
	s_cbranch_scc1 .LBB62_13
.LBB62_14:                              ;   in Loop: Header=BB62_3 Depth=1
	s_waitcnt vmcnt(1)
	v_mad_u64_u32 v[8:9], s[42:43], s57, v10, v[8:9]
.LBB62_15:                              ;   in Loop: Header=BB62_3 Depth=1
	s_or_b64 exec, exec, s[40:41]
	v_mov_b32_e32 v12, 0
	s_and_saveexec_b64 s[40:41], s[2:3]
	s_cbranch_execz .LBB62_17
; %bb.16:                               ;   in Loop: Header=BB62_3 Depth=1
	s_waitcnt vmcnt(1)
	v_mul_hi_u32 v9, v7, v1
	v_mul_lo_u32 v10, v9, s56
	v_sub_u32_e32 v10, v7, v10
	v_add_u32_e32 v11, 1, v9
	v_cmp_le_u32_e32 vcc, s56, v10
	v_cndmask_b32_e32 v9, v9, v11, vcc
	v_subrev_u32_e32 v11, s56, v10
	v_cndmask_b32_e32 v10, v10, v11, vcc
	v_add_u32_e32 v11, 1, v9
	v_cmp_le_u32_e32 vcc, s56, v10
	v_cndmask_b32_e32 v9, v9, v11, vcc
	v_mul_lo_u32 v10, v9, s56
	v_sub_u32_e32 v7, v7, v10
	v_mul_lo_u32 v10, v7, s7
	v_mad_u64_u32 v[12:13], s[2:3], v9, s6, v[10:11]
.LBB62_17:                              ;   in Loop: Header=BB62_3 Depth=1
	s_or_b64 exec, exec, s[40:41]
	v_or_b32_e32 v7, 2, v30
	v_cmp_lt_i32_e64 s[2:3], 2, v31
	v_pk_mov_b32 v[10:11], 0, 0
	s_and_saveexec_b64 s[40:41], s[2:3]
	s_cbranch_execz .LBB62_22
; %bb.18:                               ;   in Loop: Header=BB62_3 Depth=1
	s_and_b64 vcc, exec, s[0:1]
	v_mov_b32_e32 v10, 0
	s_waitcnt vmcnt(1)
	v_mov_b32_e32 v9, v7
	s_cbranch_vccnz .LBB62_21
; %bb.19:                               ;   in Loop: Header=BB62_3 Depth=1
	v_mov_b32_e32 v10, 0
	s_mov_b64 s[42:43], s[20:21]
	s_mov_b32 s44, s60
	v_mov_b32_e32 v9, v7
.LBB62_20:                              ;   Parent Loop BB62_3 Depth=1
                                        ; =>  This Inner Loop Header: Depth=2
	s_load_dword s45, s[42:43], 0x0
	s_load_dword s46, s[42:43], 0x64
	v_mov_b32_e32 v11, v9
	s_add_i32 s44, s44, -1
	s_waitcnt lgkmcnt(0)
	v_cvt_f32_u32_e32 v9, s45
	s_sub_i32 s47, 0, s45
	s_add_u32 s42, s42, -4
	s_addc_u32 s43, s43, -1
	v_rcp_iflag_f32_e32 v9, v9
	s_cmp_gt_u32 s44, 2
	v_mul_f32_e32 v9, 0x4f7ffffe, v9
	v_cvt_u32_f32_e32 v9, v9
	v_mul_lo_u32 v13, s47, v9
	v_mul_hi_u32 v13, v9, v13
	v_add_u32_e32 v9, v9, v13
	v_mul_hi_u32 v9, v11, v9
	v_mul_lo_u32 v13, v9, s45
	v_sub_u32_e32 v13, v11, v13
	v_add_u32_e32 v14, 1, v9
	v_cmp_le_u32_e32 vcc, s45, v13
	v_cndmask_b32_e32 v9, v9, v14, vcc
	v_subrev_u32_e32 v14, s45, v13
	v_cndmask_b32_e32 v13, v13, v14, vcc
	v_add_u32_e32 v14, 1, v9
	v_cmp_le_u32_e32 vcc, s45, v13
	v_cndmask_b32_e32 v9, v9, v14, vcc
	v_mul_lo_u32 v13, v9, s45
	v_sub_u32_e32 v11, v11, v13
	v_mad_u64_u32 v[10:11], s[46:47], s46, v11, v[10:11]
	s_cbranch_scc1 .LBB62_20
.LBB62_21:                              ;   in Loop: Header=BB62_3 Depth=1
	v_mad_u64_u32 v[10:11], s[42:43], s57, v9, v[10:11]
	v_mov_b32_e32 v11, v3
.LBB62_22:                              ;   in Loop: Header=BB62_3 Depth=1
	s_or_b64 exec, exec, s[40:41]
	v_pk_mov_b32 v[14:15], 0, 0
	v_pk_mov_b32 v[16:17], v[14:15], v[14:15] op_sel:[0,1]
	s_and_saveexec_b64 s[40:41], s[2:3]
	s_cbranch_execz .LBB62_24
; %bb.23:                               ;   in Loop: Header=BB62_3 Depth=1
	s_waitcnt vmcnt(1)
	v_mul_hi_u32 v9, v7, v1
	v_mul_lo_u32 v13, v9, s56
	v_sub_u32_e32 v13, v7, v13
	v_add_u32_e32 v16, 1, v9
	v_cmp_le_u32_e32 vcc, s56, v13
	v_cndmask_b32_e32 v9, v9, v16, vcc
	v_subrev_u32_e32 v16, s56, v13
	v_cndmask_b32_e32 v13, v13, v16, vcc
	v_add_u32_e32 v16, 1, v9
	v_cmp_le_u32_e32 vcc, s56, v13
	v_cndmask_b32_e32 v9, v9, v16, vcc
	v_mul_lo_u32 v13, v9, s56
	v_sub_u32_e32 v7, v7, v13
	v_mul_lo_u32 v16, v7, s7
	v_mad_u64_u32 v[16:17], s[2:3], v9, s6, v[16:17]
	v_mov_b32_e32 v17, v3
.LBB62_24:                              ;   in Loop: Header=BB62_3 Depth=1
	s_or_b64 exec, exec, s[40:41]
	v_or_b32_e32 v7, 3, v30
	v_cmp_lt_i32_e64 s[2:3], 3, v31
	s_and_saveexec_b64 s[40:41], s[2:3]
	s_cbranch_execz .LBB62_29
; %bb.25:                               ;   in Loop: Header=BB62_3 Depth=1
	s_and_b64 vcc, exec, s[0:1]
	v_mov_b32_e32 v14, 0
	s_waitcnt vmcnt(1)
	v_mov_b32_e32 v9, v7
	s_cbranch_vccnz .LBB62_28
; %bb.26:                               ;   in Loop: Header=BB62_3 Depth=1
	v_mov_b32_e32 v14, 0
	s_mov_b64 s[42:43], s[20:21]
	s_mov_b32 s44, s60
	v_mov_b32_e32 v9, v7
.LBB62_27:                              ;   Parent Loop BB62_3 Depth=1
                                        ; =>  This Inner Loop Header: Depth=2
	s_load_dword s45, s[42:43], 0x0
	s_load_dword s46, s[42:43], 0x64
	v_mov_b32_e32 v13, v9
	s_add_i32 s44, s44, -1
	s_waitcnt lgkmcnt(0)
	v_cvt_f32_u32_e32 v9, s45
	s_sub_i32 s47, 0, s45
	s_add_u32 s42, s42, -4
	s_addc_u32 s43, s43, -1
	v_rcp_iflag_f32_e32 v9, v9
	s_cmp_gt_u32 s44, 2
	v_mul_f32_e32 v9, 0x4f7ffffe, v9
	v_cvt_u32_f32_e32 v9, v9
	v_mul_lo_u32 v15, s47, v9
	v_mul_hi_u32 v15, v9, v15
	v_add_u32_e32 v9, v9, v15
	v_mul_hi_u32 v9, v13, v9
	v_mul_lo_u32 v15, v9, s45
	v_sub_u32_e32 v15, v13, v15
	v_add_u32_e32 v18, 1, v9
	v_cmp_le_u32_e32 vcc, s45, v15
	v_cndmask_b32_e32 v9, v9, v18, vcc
	v_subrev_u32_e32 v18, s45, v15
	v_cndmask_b32_e32 v15, v15, v18, vcc
	v_add_u32_e32 v18, 1, v9
	v_cmp_le_u32_e32 vcc, s45, v15
	v_cndmask_b32_e32 v9, v9, v18, vcc
	v_mul_lo_u32 v15, v9, s45
	v_sub_u32_e32 v13, v13, v15
	v_mad_u64_u32 v[14:15], s[46:47], s46, v13, v[14:15]
	s_cbranch_scc1 .LBB62_27
.LBB62_28:                              ;   in Loop: Header=BB62_3 Depth=1
	v_mad_u64_u32 v[14:15], s[42:43], s57, v9, v[14:15]
	v_mov_b32_e32 v15, v3
.LBB62_29:                              ;   in Loop: Header=BB62_3 Depth=1
	s_or_b64 exec, exec, s[40:41]
	v_pk_mov_b32 v[18:19], 0, 0
	s_and_saveexec_b64 s[40:41], s[2:3]
	s_cbranch_execz .LBB62_31
; %bb.30:                               ;   in Loop: Header=BB62_3 Depth=1
	s_waitcnt vmcnt(1)
	v_mul_hi_u32 v9, v7, v1
	v_mul_lo_u32 v13, v9, s56
	v_sub_u32_e32 v13, v7, v13
	v_add_u32_e32 v18, 1, v9
	v_cmp_le_u32_e32 vcc, s56, v13
	v_cndmask_b32_e32 v9, v9, v18, vcc
	v_subrev_u32_e32 v18, s56, v13
	v_cndmask_b32_e32 v13, v13, v18, vcc
	v_add_u32_e32 v18, 1, v9
	v_cmp_le_u32_e32 vcc, s56, v13
	v_cndmask_b32_e32 v9, v9, v18, vcc
	v_mul_lo_u32 v13, v9, s56
	v_sub_u32_e32 v7, v7, v13
	v_mul_lo_u32 v18, v7, s7
	v_mad_u64_u32 v[18:19], s[2:3], v9, s6, v[18:19]
	v_mov_b32_e32 v19, v3
.LBB62_31:                              ;   in Loop: Header=BB62_3 Depth=1
	s_or_b64 exec, exec, s[40:41]
	v_lshlrev_b64 v[20:21], 2, v[2:3]
	v_mov_b32_e32 v2, s13
	v_add_co_u32_e32 v20, vcc, s12, v20
	v_mov_b32_e32 v13, v3
	v_addc_co_u32_e32 v21, vcc, v2, v21, vcc
	v_lshlrev_b64 v[12:13], 2, v[12:13]
	v_add_co_u32_e32 v12, vcc, s12, v12
	v_addc_co_u32_e32 v13, vcc, v2, v13, vcc
	v_lshlrev_b64 v[16:17], 2, v[16:17]
	v_add_co_u32_e32 v16, vcc, s12, v16
	;; [unrolled: 3-line block ×3, first 2 shown]
	v_addc_co_u32_e32 v19, vcc, v2, v19, vcc
	global_load_dword v2, v[20:21], off
	global_load_dword v7, v[12:13], off
	;; [unrolled: 1-line block ×4, first 2 shown]
	s_andn2_b64 vcc, exec, s[18:19]
	v_pk_mov_b32 v[12:13], s[10:11], s[10:11] op_sel:[0,1]
	v_pk_mov_b32 v[16:17], s[8:9], s[8:9] op_sel:[0,1]
	s_cbranch_vccnz .LBB62_33
; %bb.32:                               ;   in Loop: Header=BB62_3 Depth=1
	v_pk_mov_b32 v[12:13], s[10:11], s[10:11] op_sel:[0,1]
	flat_load_dwordx2 v[12:13], v[12:13]
	v_pk_mov_b32 v[16:17], s[8:9], s[8:9] op_sel:[0,1]
	flat_load_dwordx2 v[16:17], v[16:17]
	v_mov_b32_e32 v18, s15
	s_waitcnt vmcnt(0) lgkmcnt(0)
	v_add_co_u32_e32 v12, vcc, s14, v12
	v_addc_co_u32_e32 v13, vcc, v13, v18, vcc
.LBB62_33:                              ;   in Loop: Header=BB62_3 Depth=1
	v_alignbit_b32 v26, v13, v12, 2
	v_lshrrev_b32_e32 v27, 2, v13
	v_xor_b32_e32 v18, v4, v16
	v_and_b32_e32 v33, 3, v12
	v_mad_u64_u32 v[12:13], s[2:3], v26, s61, 0
	v_xor_b32_e32 v18, v18, v27
	v_xor_b32_e32 v13, v13, v17
	v_add_u32_e32 v38, 0xbb67ae85, v17
	v_mad_u64_u32 v[18:19], s[2:3], v18, s61, 0
	v_mad_u64_u32 v[20:21], s[2:3], v13, s58, 0
	v_xor_b32_e32 v19, v38, v19
	v_add_u32_e32 v37, 0x9e3779b9, v16
	v_xor_b32_e32 v13, v0, v21
	v_xor_b32_e32 v19, v19, v12
	v_xor_b32_e32 v13, v13, v37
	v_add_u32_e32 v39, 0x3c6ef372, v16
	v_mad_u64_u32 v[22:23], s[2:3], v19, s58, 0
	v_add_u32_e32 v40, 0x76cf5d0a, v17
	v_mad_u64_u32 v[12:13], s[2:3], v13, s61, 0
	v_xor_b32_e32 v19, v39, v23
	v_xor_b32_e32 v19, v19, v20
	v_xor_b32_e32 v13, v40, v13
	v_xor_b32_e32 v13, v13, v18
	v_add_u32_e32 v42, 0x32370b8f, v17
	v_mad_u64_u32 v[18:19], s[2:3], v19, s61, 0
	v_add_u32_e32 v41, 0xdaa66d2b, v16
	v_mad_u64_u32 v[20:21], s[2:3], v13, s58, 0
	v_xor_b32_e32 v19, v42, v19
	;; [unrolled: 8-line block ×5, first 2 shown]
	v_xor_b32_e32 v19, v19, v20
	v_xor_b32_e32 v13, v48, v13
	;; [unrolled: 1-line block ×3, first 2 shown]
	v_add_u32_e32 v50, 0x1fd5c5a3, v17
	v_mad_u64_u32 v[18:19], s[2:3], v19, s61, 0
	v_xor_b32_e32 v19, v50, v19
	v_xor_b32_e32 v12, v19, v12
	v_add_u32_e32 v49, 0x5384540f, v16
	v_mad_u64_u32 v[24:25], s[2:3], v13, s58, 0
	v_add_co_u32_e32 v35, vcc, s62, v16
	v_mad_u64_u32 v[20:21], s[2:3], v12, s58, 0
	v_xor_b32_e32 v13, v49, v25
	v_xor_b32_e32 v12, v35, v21
	;; [unrolled: 1-line block ×4, first 2 shown]
	v_mad_u64_u32 v[22:23], s[2:3], v13, s61, 0
	v_mad_u64_u32 v[12:13], s[2:3], v12, s61, 0
	v_add_u32_e32 v36, 0x96a522ad, v17
	v_xor_b32_e32 v13, v13, v22
	v_xor_b32_e32 v34, v36, v13
	v_add_co_u32_e32 v13, vcc, 1, v26
	v_cndmask_b32_e64 v22, 0, 1, vcc
	v_addc_co_u32_e32 v28, vcc, 0, v27, vcc
	v_cmp_eq_u32_e32 vcc, 0, v28
	v_cndmask_b32_e32 v22, 0, v22, vcc
	v_add_u32_e32 v26, v22, v5
	v_cmp_eq_u32_e32 vcc, 0, v26
	v_mad_u64_u32 v[24:25], s[2:3], v13, s61, 0
	v_mad_u64_u32 v[26:27], s[2:3], v26, s58, 0
	v_add_u32_e32 v21, 0x8ff34781, v16
	v_cndmask_b32_e32 v22, 0, v22, vcc
	v_xor_b32_e32 v13, v27, v16
	v_xor_b32_e32 v16, v25, v17
	;; [unrolled: 1-line block ×4, first 2 shown]
	v_mad_u64_u32 v[28:29], s[2:3], v22, s58, 0
	v_add_u32_e32 v19, 0xdb3d7428, v17
	v_mad_u64_u32 v[16:17], s[2:3], v13, s61, 0
	v_xor_b32_e32 v13, v37, v29
	v_xor_b32_e32 v13, v13, v26
	v_xor_b32_e32 v17, v38, v17
	v_xor_b32_e32 v17, v17, v24
	v_mad_u64_u32 v[24:25], s[2:3], v13, s61, 0
	v_mad_u64_u32 v[26:27], s[2:3], v17, s58, 0
	v_xor_b32_e32 v17, v40, v25
	v_xor_b32_e32 v13, v39, v27
	v_xor_b32_e32 v22, v17, v16
	v_xor_b32_e32 v13, v13, v28
	v_mad_u64_u32 v[28:29], s[2:3], v22, s58, 0
	;; [unrolled: 6-line block ×7, first 2 shown]
	v_xor_b32_e32 v13, v19, v27
	v_xor_b32_e32 v13, v13, v16
	v_mad_u64_u32 v[28:29], s[2:3], v17, s58, 0
	v_mad_u64_u32 v[16:17], s[2:3], v13, s58, 0
	v_xor_b32_e32 v13, v17, v28
	v_xor_b32_e32 v13, v21, v13
	v_cmp_lt_i32_e32 vcc, 1, v33
                                        ; implicit-def: $vgpr25
	s_and_saveexec_b64 s[2:3], vcc
	s_xor_b64 s[2:3], exec, s[2:3]
	s_cbranch_execz .LBB62_39
; %bb.34:                               ;   in Loop: Header=BB62_3 Depth=1
	v_cmp_lt_i32_e32 vcc, 2, v33
                                        ; implicit-def: $vgpr25
	s_and_saveexec_b64 s[40:41], vcc
	s_xor_b64 s[40:41], exec, s[40:41]
; %bb.35:                               ;   in Loop: Header=BB62_3 Depth=1
	v_xor_b32_e32 v17, v35, v29
	v_xor_b32_e32 v17, v17, v24
	v_mul_hi_u32 v17, v17, s61
	v_xor_b32_e32 v17, v17, v26
	v_xor_b32_e32 v25, v36, v17
                                        ; implicit-def: $vgpr34
; %bb.36:                               ;   in Loop: Header=BB62_3 Depth=1
	s_andn2_saveexec_b64 s[40:41], s[40:41]
; %bb.37:                               ;   in Loop: Header=BB62_3 Depth=1
	v_mov_b32_e32 v25, v16
	v_mov_b32_e32 v16, v13
	;; [unrolled: 1-line block ×4, first 2 shown]
; %bb.38:                               ;   in Loop: Header=BB62_3 Depth=1
	s_or_b64 exec, exec, s[40:41]
                                        ; implicit-def: $vgpr18_vgpr19
                                        ; implicit-def: $vgpr20_vgpr21
                                        ; implicit-def: $vgpr33
                                        ; implicit-def: $vgpr34
                                        ; implicit-def: $vgpr22_vgpr23
                                        ; implicit-def: $vgpr19
                                        ; implicit-def: $vgpr21
.LBB62_39:                              ;   in Loop: Header=BB62_3 Depth=1
	s_andn2_saveexec_b64 s[2:3], s[2:3]
	s_cbranch_execz .LBB62_43
; %bb.40:                               ;   in Loop: Header=BB62_3 Depth=1
	v_xor_b32_e32 v16, v19, v23
	v_xor_b32_e32 v16, v16, v18
	v_mad_u64_u32 v[18:19], s[40:41], v16, s58, 0
	v_xor_b32_e32 v16, v19, v20
	v_xor_b32_e32 v17, v21, v16
	v_cmp_eq_u32_e32 vcc, 1, v33
	v_mov_b32_e32 v25, v12
	v_mov_b32_e32 v16, v34
	;; [unrolled: 1-line block ×3, first 2 shown]
	s_and_saveexec_b64 s[40:41], vcc
; %bb.41:                               ;   in Loop: Header=BB62_3 Depth=1
	v_mov_b32_e32 v25, v13
	v_mov_b32_e32 v16, v12
	;; [unrolled: 1-line block ×4, first 2 shown]
; %bb.42:                               ;   in Loop: Header=BB62_3 Depth=1
	s_or_b64 exec, exec, s[40:41]
	v_mov_b32_e32 v12, v17
	v_mov_b32_e32 v13, v19
.LBB62_43:                              ;   in Loop: Header=BB62_3 Depth=1
	s_or_b64 exec, exec, s[2:3]
	v_min_i32_e32 v17, 4, v31
	v_cmp_lt_i32_e32 vcc, 2, v17
	s_mov_b64 s[40:41], 0
	s_mov_b64 s[52:53], 0
	;; [unrolled: 1-line block ×3, first 2 shown]
                                        ; implicit-def: $sgpr44_sgpr45
                                        ; implicit-def: $sgpr46_sgpr47
                                        ; implicit-def: $sgpr48_sgpr49
	s_and_saveexec_b64 s[2:3], vcc
	s_xor_b64 s[50:51], exec, s[2:3]
	s_cbranch_execz .LBB62_55
; %bb.44:                               ;   in Loop: Header=BB62_3 Depth=1
	v_cmp_lt_i32_e32 vcc, 3, v17
	s_mov_b64 s[2:3], -1
	s_mov_b64 s[54:55], 0
                                        ; implicit-def: $sgpr42_sgpr43
                                        ; implicit-def: $sgpr44_sgpr45
	s_and_saveexec_b64 s[46:47], vcc
	s_cbranch_execz .LBB62_50
; %bb.45:                               ;   in Loop: Header=BB62_3 Depth=1
	v_cmp_eq_u32_e32 vcc, 4, v17
	s_mov_b64 s[2:3], 0
	s_mov_b64 s[54:55], -1
                                        ; implicit-def: $sgpr42_sgpr43
                                        ; implicit-def: $sgpr44_sgpr45
	s_and_saveexec_b64 s[48:49], vcc
	s_cbranch_execz .LBB62_49
; %bb.46:                               ;   in Loop: Header=BB62_3 Depth=1
	s_waitcnt vmcnt(0)
	v_cmp_le_f32_e32 vcc, 0, v32
	v_cmp_ge_f32_e64 s[2:3], 1.0, v32
	s_and_b64 s[54:55], vcc, s[2:3]
	s_mov_b64 s[42:43], 0
	s_mov_b64 s[2:3], 0
	s_and_saveexec_b64 s[44:45], s[54:55]
	s_cbranch_execz .LBB62_48
; %bb.47:                               ;   in Loop: Header=BB62_3 Depth=1
	v_cvt_f32_u32_e32 v18, v25
	v_mov_b32_e32 v19, 0x2f800000
	v_lshlrev_b64 v[14:15], 1, v[14:15]
	s_waitcnt lgkmcnt(0)
	v_add_co_u32_e32 v14, vcc, s16, v14
	v_fmac_f32_e32 v19, 0x2f800000, v18
	v_mov_b32_e32 v18, s17
	v_addc_co_u32_e32 v15, vcc, v18, v15, vcc
	v_cmp_le_f32_e32 vcc, v19, v32
	s_mov_b64 s[2:3], exec
	v_cndmask_b32_e64 v18, 0, 1, vcc
	global_store_short v[14:15], v18, off
.LBB62_48:                              ;   in Loop: Header=BB62_3 Depth=1
	s_or_b64 exec, exec, s[44:45]
	s_mov_b64 s[44:45], -1
	s_xor_b64 s[54:55], exec, -1
	s_and_b64 s[2:3], s[2:3], exec
.LBB62_49:                              ;   in Loop: Header=BB62_3 Depth=1
	s_or_b64 exec, exec, s[48:49]
	s_and_b64 s[54:55], s[54:55], exec
	s_orn2_b64 s[2:3], s[2:3], exec
.LBB62_50:                              ;   in Loop: Header=BB62_3 Depth=1
	s_or_b64 exec, exec, s[46:47]
	s_mov_b64 s[48:49], s[42:43]
	s_and_saveexec_b64 s[46:47], s[2:3]
	s_cbranch_execz .LBB62_54
; %bb.51:                               ;   in Loop: Header=BB62_3 Depth=1
	s_waitcnt vmcnt(1)
	v_cmp_le_f32_e32 vcc, 0, v9
	v_cmp_ge_f32_e64 s[2:3], 1.0, v9
	s_and_b64 s[48:49], vcc, s[2:3]
	s_mov_b64 s[2:3], 0
	s_and_saveexec_b64 s[52:53], s[48:49]
	s_xor_b64 s[48:49], exec, s[52:53]
	s_cbranch_execz .LBB62_53
; %bb.52:                               ;   in Loop: Header=BB62_3 Depth=1
	v_cvt_f32_u32_e32 v14, v16
	v_mov_b32_e32 v15, 0x2f800000
	v_lshlrev_b64 v[10:11], 1, v[10:11]
	s_waitcnt lgkmcnt(0)
	v_add_co_u32_e32 v10, vcc, s16, v10
	v_fmac_f32_e32 v15, 0x2f800000, v14
	v_mov_b32_e32 v14, s17
	v_addc_co_u32_e32 v11, vcc, v14, v11, vcc
	v_cmp_le_f32_e32 vcc, v15, v9
	v_cndmask_b32_e64 v9, 0, 1, vcc
	s_mov_b64 s[2:3], exec
	global_store_short v[10:11], v9, off
.LBB62_53:                              ;   in Loop: Header=BB62_3 Depth=1
	s_or_b64 exec, exec, s[48:49]
	s_andn2_b64 s[48:49], s[42:43], exec
	s_or_b64 s[42:43], s[42:43], exec
	s_andn2_b64 s[44:45], s[44:45], exec
	s_and_b64 s[52:53], s[2:3], exec
.LBB62_54:                              ;   in Loop: Header=BB62_3 Depth=1
	s_or_b64 exec, exec, s[46:47]
	s_and_b64 s[48:49], s[48:49], exec
	s_and_b64 s[46:47], s[42:43], exec
	s_and_b64 s[44:45], s[44:45], exec
	s_and_b64 s[42:43], s[54:55], exec
	s_and_b64 s[52:53], s[52:53], exec
.LBB62_55:                              ;   in Loop: Header=BB62_3 Depth=1
	s_andn2_saveexec_b64 s[2:3], s[50:51]
; %bb.56:                               ;   in Loop: Header=BB62_3 Depth=1
	v_cmp_lt_i32_e32 vcc, 1, v17
	s_andn2_b64 s[50:51], s[52:53], exec
	s_and_b64 s[52:53], vcc, exec
	s_mov_b64 s[40:41], exec
	s_andn2_b64 s[48:49], s[48:49], exec
	s_andn2_b64 s[46:47], s[46:47], exec
	;; [unrolled: 1-line block ×3, first 2 shown]
	s_or_b64 s[52:53], s[50:51], s[52:53]
; %bb.57:                               ;   in Loop: Header=BB62_3 Depth=1
	s_or_b64 exec, exec, s[2:3]
	s_mov_b64 s[2:3], 0
	s_mov_b64 s[50:51], s[48:49]
	s_and_saveexec_b64 s[54:55], s[52:53]
	s_cbranch_execnz .LBB62_60
; %bb.58:                               ;   in Loop: Header=BB62_3 Depth=1
	s_or_b64 exec, exec, s[54:55]
	s_and_saveexec_b64 s[52:53], s[40:41]
	s_cbranch_execnz .LBB62_63
.LBB62_59:                              ;   in Loop: Header=BB62_3 Depth=1
	s_or_b64 exec, exec, s[52:53]
	s_and_saveexec_b64 s[40:41], s[2:3]
	s_cbranch_execnz .LBB62_64
	s_branch .LBB62_67
.LBB62_60:                              ;   in Loop: Header=BB62_3 Depth=1
	s_waitcnt vmcnt(2)
	v_cmp_le_f32_e32 vcc, 0, v7
	v_cmp_ge_f32_e64 s[2:3], 1.0, v7
	s_and_b64 s[50:51], vcc, s[2:3]
	s_mov_b64 s[2:3], 0
	s_and_saveexec_b64 s[52:53], s[50:51]
	s_xor_b64 s[50:51], exec, s[52:53]
	s_cbranch_execz .LBB62_62
; %bb.61:                               ;   in Loop: Header=BB62_3 Depth=1
	v_cvt_f32_u32_e32 v10, v13
	s_waitcnt vmcnt(1)
	v_mov_b32_e32 v9, v3
	v_mov_b32_e32 v11, 0x2f800000
	v_lshlrev_b64 v[8:9], 1, v[8:9]
	v_fmac_f32_e32 v11, 0x2f800000, v10
	s_waitcnt lgkmcnt(0)
	v_mov_b32_e32 v10, s17
	v_add_co_u32_e32 v8, vcc, s16, v8
	v_addc_co_u32_e32 v9, vcc, v10, v9, vcc
	v_cmp_le_f32_e32 vcc, v11, v7
	v_cndmask_b32_e64 v7, 0, 1, vcc
	s_mov_b64 s[2:3], exec
	global_store_short v[8:9], v7, off
.LBB62_62:                              ;   in Loop: Header=BB62_3 Depth=1
	s_or_b64 exec, exec, s[50:51]
	s_andn2_b64 s[50:51], s[48:49], exec
	s_or_b64 s[48:49], s[48:49], exec
	s_andn2_b64 s[46:47], s[46:47], exec
	s_andn2_b64 s[44:45], s[44:45], exec
	s_and_b64 s[2:3], s[2:3], exec
	s_andn2_b64 s[40:41], s[40:41], exec
	s_or_b64 exec, exec, s[54:55]
	s_and_saveexec_b64 s[52:53], s[40:41]
	s_cbranch_execz .LBB62_59
.LBB62_63:                              ;   in Loop: Header=BB62_3 Depth=1
	v_cmp_eq_u32_e32 vcc, 1, v17
	s_andn2_b64 s[2:3], s[2:3], exec
	s_and_b64 s[40:41], vcc, exec
	s_andn2_b64 s[50:51], s[50:51], exec
	s_andn2_b64 s[48:49], s[48:49], exec
	;; [unrolled: 1-line block ×4, first 2 shown]
	s_or_b64 s[42:43], s[42:43], exec
	s_or_b64 s[2:3], s[2:3], s[40:41]
	s_or_b64 exec, exec, s[52:53]
	s_and_saveexec_b64 s[40:41], s[2:3]
	s_cbranch_execz .LBB62_67
.LBB62_64:                              ;   in Loop: Header=BB62_3 Depth=1
	s_waitcnt vmcnt(3)
	v_cmp_le_f32_e32 vcc, 0, v2
	v_cmp_ge_f32_e64 s[2:3], 1.0, v2
	s_and_b64 s[54:55], vcc, s[2:3]
	s_mov_b64 s[2:3], 0
	s_and_saveexec_b64 s[52:53], s[54:55]
	s_cbranch_execz .LBB62_66
; %bb.65:                               ;   in Loop: Header=BB62_3 Depth=1
	v_cvt_f32_u32_e32 v8, v12
	s_waitcnt vmcnt(2)
	v_mov_b32_e32 v7, v3
	s_waitcnt vmcnt(1)
	v_mov_b32_e32 v9, 0x2f800000
	v_lshlrev_b64 v[6:7], 1, v[6:7]
	v_fmac_f32_e32 v9, 0x2f800000, v8
	s_waitcnt lgkmcnt(0)
	v_mov_b32_e32 v8, s17
	v_add_co_u32_e32 v6, vcc, s16, v6
	v_addc_co_u32_e32 v7, vcc, v8, v7, vcc
	v_cmp_le_f32_e32 vcc, v9, v2
	s_mov_b64 s[2:3], exec
	v_cndmask_b32_e64 v2, 0, 1, vcc
	global_store_short v[6:7], v2, off
.LBB62_66:                              ;   in Loop: Header=BB62_3 Depth=1
	s_or_b64 exec, exec, s[52:53]
	s_andn2_b64 s[42:43], s[42:43], exec
	s_and_b64 s[2:3], s[2:3], exec
	s_or_b64 s[50:51], s[50:51], exec
	s_andn2_b64 s[48:49], s[48:49], exec
	s_andn2_b64 s[46:47], s[46:47], exec
	;; [unrolled: 1-line block ×3, first 2 shown]
	s_or_b64 s[42:43], s[42:43], s[2:3]
.LBB62_67:                              ;   in Loop: Header=BB62_3 Depth=1
	s_or_b64 exec, exec, s[40:41]
	s_andn2_b64 s[38:39], s[38:39], exec
	s_and_b64 s[40:41], s[50:51], exec
	s_or_b64 s[38:39], s[38:39], s[40:41]
	s_andn2_b64 s[36:37], s[36:37], exec
	s_and_b64 s[40:41], s[48:49], exec
	s_or_b64 s[36:37], s[36:37], s[40:41]
	s_andn2_b64 s[34:35], s[34:35], exec
	s_and_b64 s[40:41], s[46:47], exec
	s_or_b64 s[34:35], s[34:35], s[40:41]
	s_andn2_b64 s[30:31], s[30:31], exec
	s_and_b64 s[40:41], s[44:45], exec
	s_mov_b64 s[2:3], -1
	s_or_b64 s[30:31], s[30:31], s[40:41]
	s_and_saveexec_b64 s[40:41], s[42:43]
	s_cbranch_execz .LBB62_2
; %bb.68:                               ;   in Loop: Header=BB62_3 Depth=1
	v_add_u32_e32 v30, s59, v30
	v_cmp_le_u32_e32 vcc, s33, v30
	s_andn2_b64 s[38:39], s[38:39], exec
	s_andn2_b64 s[36:37], s[36:37], exec
	;; [unrolled: 1-line block ×4, first 2 shown]
	s_orn2_b64 s[2:3], vcc, exec
	s_branch .LBB62_2
.LBB62_69:
	s_or_b64 exec, exec, s[22:23]
	s_xor_b64 s[8:9], s[28:29], -1
	s_xor_b64 s[10:11], s[26:27], -1
	;; [unrolled: 1-line block ×3, first 2 shown]
	s_mov_b64 s[2:3], 0
	s_and_saveexec_b64 s[6:7], s[0:1]
	s_xor_b64 s[0:1], exec, s[6:7]
	s_cbranch_execnz .LBB62_74
; %bb.70:
	s_andn2_saveexec_b64 s[0:1], s[0:1]
	s_cbranch_execnz .LBB62_82
.LBB62_71:
	s_or_b64 exec, exec, s[0:1]
	s_and_b64 exec, exec, s[2:3]
.LBB62_72:
	; divergent unreachable
.LBB62_73:
	s_endpgm
.LBB62_74:
	s_mov_b64 s[6:7], 0
	s_and_saveexec_b64 s[2:3], s[10:11]
	s_xor_b64 s[2:3], exec, s[2:3]
	s_cbranch_execz .LBB62_80
; %bb.75:
	s_and_saveexec_b64 s[10:11], s[8:9]
	s_xor_b64 s[8:9], exec, s[10:11]
	s_cbranch_execz .LBB62_78
; %bb.76:
	s_and_saveexec_b64 s[10:11], s[4:5]
	s_xor_b64 s[4:5], exec, s[10:11]
	s_cbranch_execnz .LBB62_85
.LBB62_77:
	s_or_b64 exec, exec, s[4:5]
	s_and_b64 s[6:7], s[6:7], exec
.LBB62_78:
	s_andn2_saveexec_b64 s[4:5], s[8:9]
	s_cbranch_execnz .LBB62_84
.LBB62_79:
	s_or_b64 exec, exec, s[4:5]
	s_and_b64 s[6:7], s[6:7], exec
.LBB62_80:
	s_andn2_saveexec_b64 s[2:3], s[2:3]
	s_cbranch_execnz .LBB62_83
.LBB62_81:
	s_or_b64 exec, exec, s[2:3]
	s_and_b64 s[2:3], s[6:7], exec
	s_andn2_saveexec_b64 s[0:1], s[0:1]
	s_cbranch_execz .LBB62_71
.LBB62_82:
	s_or_b64 s[2:3], s[2:3], exec
	s_trap 2
	s_or_b64 exec, exec, s[0:1]
	s_and_b64 exec, exec, s[2:3]
	s_cbranch_execnz .LBB62_72
	s_branch .LBB62_73
.LBB62_83:
	s_or_b64 s[6:7], s[6:7], exec
	s_trap 2
	s_branch .LBB62_81
.LBB62_84:
	s_trap 2
	s_or_b64 s[6:7], s[6:7], exec
	s_branch .LBB62_79
.LBB62_85:
	s_mov_b64 s[6:7], exec
	s_trap 2
	s_branch .LBB62_77
	.section	.rodata,"a",@progbits
	.p2align	6, 0x0
	.amdhsa_kernel _ZN2at4cuda12_GLOBAL__N_121kernelPointwiseApply2IZNS_6native9templates4cuda28bernoulli_tensor_cuda_kernelIsfEEvRKNS_10TensorBaseES9_NS_15PhiloxCudaStateEEUliRsSB_SB_SB_RKfSD_SD_SD_E_sSC_jLin1ELi2ELi4ELi512ELi2EEEvNS0_6detail10TensorInfoIT0_T2_EENSG_IT1_SI_EESI_T_
		.amdhsa_group_segment_fixed_size 0
		.amdhsa_private_segment_fixed_size 0
		.amdhsa_kernarg_size 728
		.amdhsa_user_sgpr_count 6
		.amdhsa_user_sgpr_private_segment_buffer 1
		.amdhsa_user_sgpr_dispatch_ptr 0
		.amdhsa_user_sgpr_queue_ptr 0
		.amdhsa_user_sgpr_kernarg_segment_ptr 1
		.amdhsa_user_sgpr_dispatch_id 0
		.amdhsa_user_sgpr_flat_scratch_init 0
		.amdhsa_user_sgpr_kernarg_preload_length 0
		.amdhsa_user_sgpr_kernarg_preload_offset 0
		.amdhsa_user_sgpr_private_segment_size 0
		.amdhsa_uses_dynamic_stack 0
		.amdhsa_system_sgpr_private_segment_wavefront_offset 0
		.amdhsa_system_sgpr_workgroup_id_x 1
		.amdhsa_system_sgpr_workgroup_id_y 0
		.amdhsa_system_sgpr_workgroup_id_z 0
		.amdhsa_system_sgpr_workgroup_info 0
		.amdhsa_system_vgpr_workitem_id 0
		.amdhsa_next_free_vgpr 51
		.amdhsa_next_free_sgpr 63
		.amdhsa_accum_offset 52
		.amdhsa_reserve_vcc 1
		.amdhsa_reserve_flat_scratch 0
		.amdhsa_float_round_mode_32 0
		.amdhsa_float_round_mode_16_64 0
		.amdhsa_float_denorm_mode_32 3
		.amdhsa_float_denorm_mode_16_64 3
		.amdhsa_dx10_clamp 1
		.amdhsa_ieee_mode 1
		.amdhsa_fp16_overflow 0
		.amdhsa_tg_split 0
		.amdhsa_exception_fp_ieee_invalid_op 0
		.amdhsa_exception_fp_denorm_src 0
		.amdhsa_exception_fp_ieee_div_zero 0
		.amdhsa_exception_fp_ieee_overflow 0
		.amdhsa_exception_fp_ieee_underflow 0
		.amdhsa_exception_fp_ieee_inexact 0
		.amdhsa_exception_int_div_zero 0
	.end_amdhsa_kernel
	.section	.text._ZN2at4cuda12_GLOBAL__N_121kernelPointwiseApply2IZNS_6native9templates4cuda28bernoulli_tensor_cuda_kernelIsfEEvRKNS_10TensorBaseES9_NS_15PhiloxCudaStateEEUliRsSB_SB_SB_RKfSD_SD_SD_E_sSC_jLin1ELi2ELi4ELi512ELi2EEEvNS0_6detail10TensorInfoIT0_T2_EENSG_IT1_SI_EESI_T_,"axG",@progbits,_ZN2at4cuda12_GLOBAL__N_121kernelPointwiseApply2IZNS_6native9templates4cuda28bernoulli_tensor_cuda_kernelIsfEEvRKNS_10TensorBaseES9_NS_15PhiloxCudaStateEEUliRsSB_SB_SB_RKfSD_SD_SD_E_sSC_jLin1ELi2ELi4ELi512ELi2EEEvNS0_6detail10TensorInfoIT0_T2_EENSG_IT1_SI_EESI_T_,comdat
.Lfunc_end62:
	.size	_ZN2at4cuda12_GLOBAL__N_121kernelPointwiseApply2IZNS_6native9templates4cuda28bernoulli_tensor_cuda_kernelIsfEEvRKNS_10TensorBaseES9_NS_15PhiloxCudaStateEEUliRsSB_SB_SB_RKfSD_SD_SD_E_sSC_jLin1ELi2ELi4ELi512ELi2EEEvNS0_6detail10TensorInfoIT0_T2_EENSG_IT1_SI_EESI_T_, .Lfunc_end62-_ZN2at4cuda12_GLOBAL__N_121kernelPointwiseApply2IZNS_6native9templates4cuda28bernoulli_tensor_cuda_kernelIsfEEvRKNS_10TensorBaseES9_NS_15PhiloxCudaStateEEUliRsSB_SB_SB_RKfSD_SD_SD_E_sSC_jLin1ELi2ELi4ELi512ELi2EEEvNS0_6detail10TensorInfoIT0_T2_EENSG_IT1_SI_EESI_T_
                                        ; -- End function
	.section	.AMDGPU.csdata,"",@progbits
; Kernel info:
; codeLenInByte = 3976
; NumSgprs: 67
; NumVgprs: 51
; NumAgprs: 0
; TotalNumVgprs: 51
; ScratchSize: 0
; MemoryBound: 0
; FloatMode: 240
; IeeeMode: 1
; LDSByteSize: 0 bytes/workgroup (compile time only)
; SGPRBlocks: 8
; VGPRBlocks: 6
; NumSGPRsForWavesPerEU: 67
; NumVGPRsForWavesPerEU: 51
; AccumOffset: 52
; Occupancy: 8
; WaveLimiterHint : 1
; COMPUTE_PGM_RSRC2:SCRATCH_EN: 0
; COMPUTE_PGM_RSRC2:USER_SGPR: 6
; COMPUTE_PGM_RSRC2:TRAP_HANDLER: 0
; COMPUTE_PGM_RSRC2:TGID_X_EN: 1
; COMPUTE_PGM_RSRC2:TGID_Y_EN: 0
; COMPUTE_PGM_RSRC2:TGID_Z_EN: 0
; COMPUTE_PGM_RSRC2:TIDIG_COMP_CNT: 0
; COMPUTE_PGM_RSRC3_GFX90A:ACCUM_OFFSET: 12
; COMPUTE_PGM_RSRC3_GFX90A:TG_SPLIT: 0
	.section	.text._ZN2at4cuda12_GLOBAL__N_121kernelPointwiseApply2IZNS_6native9templates4cuda28bernoulli_tensor_cuda_kernelIsfEEvRKNS_10TensorBaseES9_NS_15PhiloxCudaStateEEUliRsSB_SB_SB_RKfSD_SD_SD_E_sSC_jLin1ELin1ELi4ELi512ELi2EEEvNS0_6detail10TensorInfoIT0_T2_EENSG_IT1_SI_EESI_T_,"axG",@progbits,_ZN2at4cuda12_GLOBAL__N_121kernelPointwiseApply2IZNS_6native9templates4cuda28bernoulli_tensor_cuda_kernelIsfEEvRKNS_10TensorBaseES9_NS_15PhiloxCudaStateEEUliRsSB_SB_SB_RKfSD_SD_SD_E_sSC_jLin1ELin1ELi4ELi512ELi2EEEvNS0_6detail10TensorInfoIT0_T2_EENSG_IT1_SI_EESI_T_,comdat
	.globl	_ZN2at4cuda12_GLOBAL__N_121kernelPointwiseApply2IZNS_6native9templates4cuda28bernoulli_tensor_cuda_kernelIsfEEvRKNS_10TensorBaseES9_NS_15PhiloxCudaStateEEUliRsSB_SB_SB_RKfSD_SD_SD_E_sSC_jLin1ELin1ELi4ELi512ELi2EEEvNS0_6detail10TensorInfoIT0_T2_EENSG_IT1_SI_EESI_T_ ; -- Begin function _ZN2at4cuda12_GLOBAL__N_121kernelPointwiseApply2IZNS_6native9templates4cuda28bernoulli_tensor_cuda_kernelIsfEEvRKNS_10TensorBaseES9_NS_15PhiloxCudaStateEEUliRsSB_SB_SB_RKfSD_SD_SD_E_sSC_jLin1ELin1ELi4ELi512ELi2EEEvNS0_6detail10TensorInfoIT0_T2_EENSG_IT1_SI_EESI_T_
	.p2align	8
	.type	_ZN2at4cuda12_GLOBAL__N_121kernelPointwiseApply2IZNS_6native9templates4cuda28bernoulli_tensor_cuda_kernelIsfEEvRKNS_10TensorBaseES9_NS_15PhiloxCudaStateEEUliRsSB_SB_SB_RKfSD_SD_SD_E_sSC_jLin1ELin1ELi4ELi512ELi2EEEvNS0_6detail10TensorInfoIT0_T2_EENSG_IT1_SI_EESI_T_,@function
_ZN2at4cuda12_GLOBAL__N_121kernelPointwiseApply2IZNS_6native9templates4cuda28bernoulli_tensor_cuda_kernelIsfEEvRKNS_10TensorBaseES9_NS_15PhiloxCudaStateEEUliRsSB_SB_SB_RKfSD_SD_SD_E_sSC_jLin1ELin1ELi4ELi512ELi2EEEvNS0_6detail10TensorInfoIT0_T2_EENSG_IT1_SI_EESI_T_: ; @_ZN2at4cuda12_GLOBAL__N_121kernelPointwiseApply2IZNS_6native9templates4cuda28bernoulli_tensor_cuda_kernelIsfEEvRKNS_10TensorBaseES9_NS_15PhiloxCudaStateEEUliRsSB_SB_SB_RKfSD_SD_SD_E_sSC_jLin1ELin1ELi4ELi512ELi2EEEvNS0_6detail10TensorInfoIT0_T2_EENSG_IT1_SI_EESI_T_
; %bb.0:
	s_load_dword s2, s[4:5], 0x1e4
	s_load_dword s33, s[4:5], 0x1b0
	s_add_u32 s0, s4, 0x1d8
	s_addc_u32 s1, s5, 0
	s_waitcnt lgkmcnt(0)
	s_and_b32 s2, s2, 0xffff
	s_mul_i32 s6, s6, s2
	v_add_u32_e32 v5, s6, v0
	v_lshlrev_b32_e32 v30, 2, v5
	v_cmp_gt_u32_e32 vcc, s33, v30
	s_and_saveexec_b64 s[6:7], vcc
	s_cbranch_execz .LBB63_85
; %bb.1:
	s_load_dword s0, s[0:1], 0x0
	s_nop 0
	s_load_dword s16, s[4:5], 0x1d0
	s_load_dword s20, s[4:5], 0xd0
	s_add_u32 s22, s4, 0xd8
	s_load_dwordx2 s[6:7], s[4:5], 0x1c8
	s_load_dwordx4 s[8:11], s[4:5], 0x1b8
	s_load_dword s24, s[4:5], 0x1a8
	s_load_dwordx2 s[12:13], s[4:5], 0xd8
	s_load_dword s56, s[4:5], 0x6c
	s_addc_u32 s23, s5, 0
	s_waitcnt lgkmcnt(0)
	s_mul_i32 s21, s0, s2
	s_cmp_gt_i32 s20, 1
	s_cselect_b64 s[0:1], -1, 0
	s_cmp_gt_i32 s24, 1
	s_mov_b32 s58, 0xcd9e8d57
	s_cselect_b64 s[2:3], -1, 0
	s_bitcmp1_b32 s16, 0
	v_mad_u64_u32 v[0:1], s[18:19], v5, s58, 0
	s_cselect_b64 s[16:17], -1, 0
	s_add_i32 s18, s20, -1
	s_mov_b32 s19, 0
	s_lshl_b32 s59, s21, 2
	s_add_i32 s60, s20, 1
	s_lshl_b64 s[20:21], s[18:19], 2
	s_load_dword s57, s[4:5], 0x144
	s_load_dwordx2 s[14:15], s[4:5], 0x0
	s_add_u32 s4, s20, s4
	s_addc_u32 s5, s21, s5
	s_add_u32 s20, s4, 8
	s_addc_u32 s21, s5, 0
	s_add_i32 s18, s24, -1
	s_add_i32 s61, s24, 1
	s_lshl_b64 s[4:5], s[18:19], 2
	s_add_u32 s4, s4, s22
	s_addc_u32 s5, s5, s23
	s_add_u32 s22, s4, 8
	v_cndmask_b32_e64 v2, 0, 1, s[0:1]
	v_mov_b32_e32 v3, 0
	v_mov_b32_e32 v4, v1
	s_addc_u32 s23, s5, 0
	s_mov_b64 s[24:25], 0
	v_cndmask_b32_e64 v1, 0, 1, s[2:3]
	s_mov_b32 s62, 0xd2511f53
	v_cmp_ne_u32_e64 s[0:1], 1, v2
	s_mov_b32 s63, 0xf1bbcdc8
                                        ; implicit-def: $sgpr26_sgpr27
                                        ; implicit-def: $sgpr28_sgpr29
                                        ; implicit-def: $sgpr30_sgpr31
                                        ; implicit-def: $sgpr18_sgpr19
                                        ; implicit-def: $sgpr34_sgpr35
                                        ; implicit-def: $sgpr36_sgpr37
                                        ; implicit-def: $sgpr38_sgpr39
                                        ; implicit-def: $sgpr40_sgpr41
	s_branch .LBB63_3
.LBB63_2:                               ;   in Loop: Header=BB63_3 Depth=1
	s_or_b64 exec, exec, s[4:5]
	s_and_b64 s[2:3], exec, s[2:3]
	s_or_b64 s[24:25], s[2:3], s[24:25]
	s_andn2_b64 s[2:3], s[18:19], exec
	s_and_b64 s[4:5], s[40:41], exec
	s_or_b64 s[18:19], s[2:3], s[4:5]
	s_andn2_b64 s[2:3], s[30:31], exec
	s_and_b64 s[4:5], s[38:39], exec
	;; [unrolled: 3-line block ×4, first 2 shown]
	s_or_b64 s[26:27], s[2:3], s[4:5]
	s_andn2_b64 exec, exec, s[24:25]
	s_cbranch_execz .LBB63_81
.LBB63_3:                               ; =>This Loop Header: Depth=1
                                        ;     Child Loop BB63_6 Depth 2
                                        ;     Child Loop BB63_11 Depth 2
	;; [unrolled: 1-line block ×8, first 2 shown]
	v_sub_u32_e32 v31, s33, v30
	v_cmp_lt_i32_e64 s[4:5], 0, v31
	v_mov_b32_e32 v6, 0
	s_and_saveexec_b64 s[2:3], s[4:5]
	s_cbranch_execz .LBB63_8
; %bb.4:                                ;   in Loop: Header=BB63_3 Depth=1
	s_and_b64 vcc, exec, s[0:1]
	v_mov_b32_e32 v6, 0
	s_waitcnt vmcnt(3)
	v_mov_b32_e32 v2, v30
	s_cbranch_vccnz .LBB63_7
; %bb.5:                                ;   in Loop: Header=BB63_3 Depth=1
	v_mov_b32_e32 v6, 0
	s_mov_b64 s[42:43], s[20:21]
	s_mov_b32 s44, s60
	v_mov_b32_e32 v2, v30
.LBB63_6:                               ;   Parent Loop BB63_3 Depth=1
                                        ; =>  This Inner Loop Header: Depth=2
	s_load_dword s45, s[42:43], 0x0
	s_load_dword s46, s[42:43], 0x64
	s_waitcnt vmcnt(2)
	v_mov_b32_e32 v7, v2
	s_add_i32 s44, s44, -1
	s_waitcnt lgkmcnt(0)
	v_cvt_f32_u32_e32 v2, s45
	s_sub_i32 s47, 0, s45
	s_add_u32 s42, s42, -4
	s_addc_u32 s43, s43, -1
	v_rcp_iflag_f32_e32 v2, v2
	s_cmp_gt_u32 s44, 2
	v_mul_f32_e32 v2, 0x4f7ffffe, v2
	v_cvt_u32_f32_e32 v2, v2
	v_mul_lo_u32 v8, s47, v2
	v_mul_hi_u32 v8, v2, v8
	v_add_u32_e32 v2, v2, v8
	v_mul_hi_u32 v2, v7, v2
	v_mul_lo_u32 v8, v2, s45
	v_sub_u32_e32 v8, v7, v8
	s_waitcnt vmcnt(1)
	v_add_u32_e32 v9, 1, v2
	v_cmp_le_u32_e32 vcc, s45, v8
	v_cndmask_b32_e32 v2, v2, v9, vcc
	v_subrev_u32_e32 v9, s45, v8
	v_cndmask_b32_e32 v8, v8, v9, vcc
	v_add_u32_e32 v9, 1, v2
	v_cmp_le_u32_e32 vcc, s45, v8
	v_cndmask_b32_e32 v2, v2, v9, vcc
	v_mul_lo_u32 v8, v2, s45
	v_sub_u32_e32 v7, v7, v8
	v_mad_u64_u32 v[6:7], s[46:47], s46, v7, v[6:7]
	s_cbranch_scc1 .LBB63_6
.LBB63_7:                               ;   in Loop: Header=BB63_3 Depth=1
	s_waitcnt vmcnt(2)
	v_mad_u64_u32 v[6:7], s[42:43], s56, v2, v[6:7]
.LBB63_8:                               ;   in Loop: Header=BB63_3 Depth=1
	s_or_b64 exec, exec, s[2:3]
	s_waitcnt vmcnt(3)
	v_mov_b32_e32 v2, 0
	v_cmp_ne_u32_e64 s[2:3], 1, v1
	s_and_saveexec_b64 s[42:43], s[4:5]
	s_cbranch_execz .LBB63_13
; %bb.9:                                ;   in Loop: Header=BB63_3 Depth=1
	s_and_b64 vcc, exec, s[2:3]
	v_mov_b32_e32 v8, 0
	v_mov_b32_e32 v2, v30
	s_cbranch_vccnz .LBB63_12
; %bb.10:                               ;   in Loop: Header=BB63_3 Depth=1
	v_mov_b32_e32 v8, 0
	s_mov_b64 s[4:5], s[22:23]
	s_mov_b32 s44, s61
	v_mov_b32_e32 v2, v30
.LBB63_11:                              ;   Parent Loop BB63_3 Depth=1
                                        ; =>  This Inner Loop Header: Depth=2
	s_load_dword s45, s[4:5], 0x0
	s_load_dword s46, s[4:5], 0x64
	s_waitcnt vmcnt(2)
	v_mov_b32_e32 v7, v2
	s_add_i32 s44, s44, -1
	s_waitcnt lgkmcnt(0)
	v_cvt_f32_u32_e32 v2, s45
	s_sub_i32 s47, 0, s45
	s_add_u32 s4, s4, -4
	s_addc_u32 s5, s5, -1
	v_rcp_iflag_f32_e32 v2, v2
	s_cmp_gt_u32 s44, 2
	v_mul_f32_e32 v2, 0x4f7ffffe, v2
	v_cvt_u32_f32_e32 v2, v2
	s_waitcnt vmcnt(1)
	v_mul_lo_u32 v9, s47, v2
	v_mul_hi_u32 v9, v2, v9
	v_add_u32_e32 v2, v2, v9
	v_mul_hi_u32 v2, v7, v2
	v_mul_lo_u32 v9, v2, s45
	v_sub_u32_e32 v9, v7, v9
	v_add_u32_e32 v10, 1, v2
	v_cmp_le_u32_e32 vcc, s45, v9
	v_cndmask_b32_e32 v2, v2, v10, vcc
	v_subrev_u32_e32 v10, s45, v9
	v_cndmask_b32_e32 v9, v9, v10, vcc
	v_add_u32_e32 v10, 1, v2
	v_cmp_le_u32_e32 vcc, s45, v9
	v_cndmask_b32_e32 v2, v2, v10, vcc
	v_mul_lo_u32 v9, v2, s45
	v_sub_u32_e32 v7, v7, v9
	v_mad_u64_u32 v[8:9], s[46:47], s46, v7, v[8:9]
	s_cbranch_scc1 .LBB63_11
.LBB63_12:                              ;   in Loop: Header=BB63_3 Depth=1
	s_waitcnt vmcnt(1) lgkmcnt(0)
	v_mad_u64_u32 v[8:9], s[4:5], s57, v2, v[8:9]
	v_mov_b32_e32 v2, v8
.LBB63_13:                              ;   in Loop: Header=BB63_3 Depth=1
	s_or_b64 exec, exec, s[42:43]
	s_waitcnt vmcnt(2)
	v_or_b32_e32 v7, 1, v30
	v_cmp_lt_i32_e64 s[4:5], 1, v31
	v_mov_b32_e32 v8, 0
	s_and_saveexec_b64 s[42:43], s[4:5]
	s_cbranch_execz .LBB63_18
; %bb.14:                               ;   in Loop: Header=BB63_3 Depth=1
	s_and_b64 vcc, exec, s[0:1]
	v_mov_b32_e32 v8, 0
	v_mov_b32_e32 v10, v7
	s_cbranch_vccnz .LBB63_17
; %bb.15:                               ;   in Loop: Header=BB63_3 Depth=1
	v_mov_b32_e32 v8, 0
	s_mov_b64 s[44:45], s[20:21]
	s_mov_b32 s46, s60
	v_mov_b32_e32 v10, v7
.LBB63_16:                              ;   Parent Loop BB63_3 Depth=1
                                        ; =>  This Inner Loop Header: Depth=2
	s_load_dword s47, s[44:45], 0x0
	s_load_dword s48, s[44:45], 0x64
	s_waitcnt vmcnt(1)
	v_mov_b32_e32 v9, v10
	s_add_i32 s46, s46, -1
	s_waitcnt lgkmcnt(0)
	v_cvt_f32_u32_e32 v10, s47
	s_sub_i32 s49, 0, s47
	s_add_u32 s44, s44, -4
	s_addc_u32 s45, s45, -1
	v_rcp_iflag_f32_e32 v10, v10
	s_cmp_gt_u32 s46, 2
	v_mul_f32_e32 v10, 0x4f7ffffe, v10
	v_cvt_u32_f32_e32 v10, v10
	s_waitcnt vmcnt(0)
	v_mul_lo_u32 v11, s49, v10
	v_mul_hi_u32 v11, v10, v11
	v_add_u32_e32 v10, v10, v11
	v_mul_hi_u32 v10, v9, v10
	v_mul_lo_u32 v11, v10, s47
	v_sub_u32_e32 v11, v9, v11
	v_add_u32_e32 v12, 1, v10
	v_cmp_le_u32_e32 vcc, s47, v11
	v_cndmask_b32_e32 v10, v10, v12, vcc
	v_subrev_u32_e32 v12, s47, v11
	v_cndmask_b32_e32 v11, v11, v12, vcc
	v_add_u32_e32 v12, 1, v10
	v_cmp_le_u32_e32 vcc, s47, v11
	v_cndmask_b32_e32 v10, v10, v12, vcc
	v_mul_lo_u32 v11, v10, s47
	v_sub_u32_e32 v9, v9, v11
	v_mad_u64_u32 v[8:9], s[48:49], s48, v9, v[8:9]
	s_cbranch_scc1 .LBB63_16
.LBB63_17:                              ;   in Loop: Header=BB63_3 Depth=1
	s_waitcnt vmcnt(1)
	v_mad_u64_u32 v[8:9], s[44:45], s56, v10, v[8:9]
.LBB63_18:                              ;   in Loop: Header=BB63_3 Depth=1
	s_or_b64 exec, exec, s[42:43]
	v_mov_b32_e32 v12, 0
	s_and_saveexec_b64 s[42:43], s[4:5]
	s_cbranch_execz .LBB63_23
; %bb.19:                               ;   in Loop: Header=BB63_3 Depth=1
	s_and_b64 vcc, exec, s[2:3]
	v_mov_b32_e32 v10, 0
	s_cbranch_vccnz .LBB63_22
; %bb.20:                               ;   in Loop: Header=BB63_3 Depth=1
	v_mov_b32_e32 v10, 0
	s_mov_b64 s[4:5], s[22:23]
	s_mov_b32 s44, s61
.LBB63_21:                              ;   Parent Loop BB63_3 Depth=1
                                        ; =>  This Inner Loop Header: Depth=2
	s_load_dword s45, s[4:5], 0x0
	s_load_dword s46, s[4:5], 0x64
	s_waitcnt vmcnt(1)
	v_mov_b32_e32 v9, v7
	s_add_i32 s44, s44, -1
	s_waitcnt lgkmcnt(0)
	v_cvt_f32_u32_e32 v7, s45
	s_sub_i32 s47, 0, s45
	s_add_u32 s4, s4, -4
	s_addc_u32 s5, s5, -1
	v_rcp_iflag_f32_e32 v7, v7
	s_cmp_gt_u32 s44, 2
	v_mul_f32_e32 v7, 0x4f7ffffe, v7
	v_cvt_u32_f32_e32 v7, v7
	s_waitcnt vmcnt(0)
	v_mul_lo_u32 v11, s47, v7
	v_mul_hi_u32 v11, v7, v11
	v_add_u32_e32 v7, v7, v11
	v_mul_hi_u32 v7, v9, v7
	v_mul_lo_u32 v11, v7, s45
	v_sub_u32_e32 v11, v9, v11
	v_add_u32_e32 v12, 1, v7
	v_cmp_le_u32_e32 vcc, s45, v11
	v_cndmask_b32_e32 v7, v7, v12, vcc
	v_subrev_u32_e32 v12, s45, v11
	v_cndmask_b32_e32 v11, v11, v12, vcc
	v_add_u32_e32 v12, 1, v7
	v_cmp_le_u32_e32 vcc, s45, v11
	v_cndmask_b32_e32 v7, v7, v12, vcc
	v_mul_lo_u32 v11, v7, s45
	v_sub_u32_e32 v9, v9, v11
	v_mad_u64_u32 v[10:11], s[46:47], s46, v9, v[10:11]
	s_cbranch_scc1 .LBB63_21
.LBB63_22:                              ;   in Loop: Header=BB63_3 Depth=1
	s_waitcnt vmcnt(0) lgkmcnt(0)
	v_mad_u64_u32 v[12:13], s[4:5], s57, v7, v[10:11]
.LBB63_23:                              ;   in Loop: Header=BB63_3 Depth=1
	s_or_b64 exec, exec, s[42:43]
	v_or_b32_e32 v7, 2, v30
	v_cmp_lt_i32_e64 s[4:5], 2, v31
	v_mov_b32_e32 v10, 0
	s_and_saveexec_b64 s[42:43], s[4:5]
	s_cbranch_execz .LBB63_28
; %bb.24:                               ;   in Loop: Header=BB63_3 Depth=1
	s_and_b64 vcc, exec, s[0:1]
	v_mov_b32_e32 v10, 0
	s_waitcnt vmcnt(1)
	v_mov_b32_e32 v9, v7
	s_cbranch_vccnz .LBB63_27
; %bb.25:                               ;   in Loop: Header=BB63_3 Depth=1
	v_mov_b32_e32 v10, 0
	s_mov_b64 s[44:45], s[20:21]
	s_mov_b32 s46, s60
	v_mov_b32_e32 v9, v7
.LBB63_26:                              ;   Parent Loop BB63_3 Depth=1
                                        ; =>  This Inner Loop Header: Depth=2
	s_load_dword s47, s[44:45], 0x0
	s_load_dword s48, s[44:45], 0x64
	s_waitcnt vmcnt(0)
	v_mov_b32_e32 v11, v9
	s_add_i32 s46, s46, -1
	s_waitcnt lgkmcnt(0)
	v_cvt_f32_u32_e32 v9, s47
	s_sub_i32 s49, 0, s47
	s_add_u32 s44, s44, -4
	s_addc_u32 s45, s45, -1
	v_rcp_iflag_f32_e32 v9, v9
	s_cmp_gt_u32 s46, 2
	v_mul_f32_e32 v9, 0x4f7ffffe, v9
	v_cvt_u32_f32_e32 v9, v9
	v_mul_lo_u32 v13, s49, v9
	v_mul_hi_u32 v13, v9, v13
	v_add_u32_e32 v9, v9, v13
	v_mul_hi_u32 v9, v11, v9
	v_mul_lo_u32 v13, v9, s47
	v_sub_u32_e32 v13, v11, v13
	v_add_u32_e32 v14, 1, v9
	v_cmp_le_u32_e32 vcc, s47, v13
	v_cndmask_b32_e32 v9, v9, v14, vcc
	v_subrev_u32_e32 v14, s47, v13
	v_cndmask_b32_e32 v13, v13, v14, vcc
	v_add_u32_e32 v14, 1, v9
	v_cmp_le_u32_e32 vcc, s47, v13
	v_cndmask_b32_e32 v9, v9, v14, vcc
	v_mul_lo_u32 v13, v9, s47
	v_sub_u32_e32 v11, v11, v13
	v_mad_u64_u32 v[10:11], s[48:49], s48, v11, v[10:11]
	s_cbranch_scc1 .LBB63_26
.LBB63_27:                              ;   in Loop: Header=BB63_3 Depth=1
	s_waitcnt vmcnt(0)
	v_mad_u64_u32 v[10:11], s[44:45], s56, v9, v[10:11]
.LBB63_28:                              ;   in Loop: Header=BB63_3 Depth=1
	s_or_b64 exec, exec, s[42:43]
	v_pk_mov_b32 v[16:17], 0, 0
	s_and_saveexec_b64 s[42:43], s[4:5]
	s_cbranch_execz .LBB63_33
; %bb.29:                               ;   in Loop: Header=BB63_3 Depth=1
	s_and_b64 vcc, exec, s[2:3]
	v_mov_b32_e32 v14, 0
	s_cbranch_vccnz .LBB63_32
; %bb.30:                               ;   in Loop: Header=BB63_3 Depth=1
	v_mov_b32_e32 v14, 0
	s_mov_b64 s[4:5], s[22:23]
	s_mov_b32 s44, s61
.LBB63_31:                              ;   Parent Loop BB63_3 Depth=1
                                        ; =>  This Inner Loop Header: Depth=2
	s_load_dword s45, s[4:5], 0x0
	s_load_dword s46, s[4:5], 0x64
	s_waitcnt vmcnt(1)
	v_mov_b32_e32 v9, v7
	s_add_i32 s44, s44, -1
	s_waitcnt lgkmcnt(0)
	v_cvt_f32_u32_e32 v7, s45
	s_sub_i32 s47, 0, s45
	s_add_u32 s4, s4, -4
	s_addc_u32 s5, s5, -1
	v_rcp_iflag_f32_e32 v7, v7
	s_cmp_gt_u32 s44, 2
	v_mul_f32_e32 v7, 0x4f7ffffe, v7
	v_cvt_u32_f32_e32 v7, v7
	s_waitcnt vmcnt(0)
	v_mul_lo_u32 v11, s47, v7
	v_mul_hi_u32 v11, v7, v11
	v_add_u32_e32 v7, v7, v11
	v_mul_hi_u32 v7, v9, v7
	v_mul_lo_u32 v11, v7, s45
	v_sub_u32_e32 v11, v9, v11
	v_add_u32_e32 v13, 1, v7
	v_cmp_le_u32_e32 vcc, s45, v11
	v_cndmask_b32_e32 v7, v7, v13, vcc
	v_subrev_u32_e32 v13, s45, v11
	v_cndmask_b32_e32 v11, v11, v13, vcc
	v_add_u32_e32 v13, 1, v7
	v_cmp_le_u32_e32 vcc, s45, v11
	v_cndmask_b32_e32 v7, v7, v13, vcc
	v_mul_lo_u32 v11, v7, s45
	v_sub_u32_e32 v9, v9, v11
	v_mad_u64_u32 v[14:15], s[46:47], s46, v9, v[14:15]
	s_cbranch_scc1 .LBB63_31
.LBB63_32:                              ;   in Loop: Header=BB63_3 Depth=1
	s_waitcnt lgkmcnt(0)
	v_mad_u64_u32 v[16:17], s[4:5], s57, v7, v[14:15]
	v_mov_b32_e32 v17, v3
.LBB63_33:                              ;   in Loop: Header=BB63_3 Depth=1
	s_or_b64 exec, exec, s[42:43]
	v_or_b32_e32 v7, 3, v30
	v_cmp_lt_i32_e64 s[4:5], 3, v31
	v_pk_mov_b32 v[14:15], 0, 0
	s_and_saveexec_b64 s[42:43], s[4:5]
	s_cbranch_execz .LBB63_38
; %bb.34:                               ;   in Loop: Header=BB63_3 Depth=1
	s_and_b64 vcc, exec, s[0:1]
	v_mov_b32_e32 v14, 0
	s_waitcnt vmcnt(1)
	v_mov_b32_e32 v9, v7
	s_cbranch_vccnz .LBB63_37
; %bb.35:                               ;   in Loop: Header=BB63_3 Depth=1
	v_mov_b32_e32 v14, 0
	s_mov_b64 s[44:45], s[20:21]
	s_mov_b32 s46, s60
	v_mov_b32_e32 v9, v7
.LBB63_36:                              ;   Parent Loop BB63_3 Depth=1
                                        ; =>  This Inner Loop Header: Depth=2
	s_load_dword s47, s[44:45], 0x0
	s_load_dword s48, s[44:45], 0x64
	s_waitcnt vmcnt(0)
	v_mov_b32_e32 v11, v9
	s_add_i32 s46, s46, -1
	s_waitcnt lgkmcnt(0)
	v_cvt_f32_u32_e32 v9, s47
	s_sub_i32 s49, 0, s47
	s_add_u32 s44, s44, -4
	s_addc_u32 s45, s45, -1
	v_rcp_iflag_f32_e32 v9, v9
	s_cmp_gt_u32 s46, 2
	v_mul_f32_e32 v9, 0x4f7ffffe, v9
	v_cvt_u32_f32_e32 v9, v9
	v_mul_lo_u32 v13, s49, v9
	v_mul_hi_u32 v13, v9, v13
	v_add_u32_e32 v9, v9, v13
	v_mul_hi_u32 v9, v11, v9
	v_mul_lo_u32 v13, v9, s47
	v_sub_u32_e32 v13, v11, v13
	v_add_u32_e32 v15, 1, v9
	v_cmp_le_u32_e32 vcc, s47, v13
	v_cndmask_b32_e32 v9, v9, v15, vcc
	v_subrev_u32_e32 v15, s47, v13
	v_cndmask_b32_e32 v13, v13, v15, vcc
	v_add_u32_e32 v15, 1, v9
	v_cmp_le_u32_e32 vcc, s47, v13
	v_cndmask_b32_e32 v9, v9, v15, vcc
	v_mul_lo_u32 v13, v9, s47
	v_sub_u32_e32 v11, v11, v13
	v_mad_u64_u32 v[14:15], s[48:49], s48, v11, v[14:15]
	s_cbranch_scc1 .LBB63_36
.LBB63_37:                              ;   in Loop: Header=BB63_3 Depth=1
	v_mad_u64_u32 v[14:15], s[44:45], s56, v9, v[14:15]
	v_mov_b32_e32 v15, v3
.LBB63_38:                              ;   in Loop: Header=BB63_3 Depth=1
	s_or_b64 exec, exec, s[42:43]
	v_pk_mov_b32 v[18:19], 0, 0
	s_and_saveexec_b64 s[42:43], s[4:5]
	s_cbranch_execz .LBB63_43
; %bb.39:                               ;   in Loop: Header=BB63_3 Depth=1
	s_and_b64 vcc, exec, s[2:3]
	v_mov_b32_e32 v18, 0
	s_cbranch_vccnz .LBB63_42
; %bb.40:                               ;   in Loop: Header=BB63_3 Depth=1
	v_mov_b32_e32 v18, 0
	s_mov_b64 s[2:3], s[22:23]
	s_mov_b32 s4, s61
.LBB63_41:                              ;   Parent Loop BB63_3 Depth=1
                                        ; =>  This Inner Loop Header: Depth=2
	s_load_dword s5, s[2:3], 0x0
	s_load_dword s44, s[2:3], 0x64
	s_waitcnt vmcnt(1)
	v_mov_b32_e32 v9, v7
	s_add_i32 s4, s4, -1
	s_waitcnt lgkmcnt(0)
	v_cvt_f32_u32_e32 v7, s5
	s_sub_i32 s45, 0, s5
	s_add_u32 s2, s2, -4
	s_addc_u32 s3, s3, -1
	v_rcp_iflag_f32_e32 v7, v7
	s_cmp_gt_u32 s4, 2
	v_mul_f32_e32 v7, 0x4f7ffffe, v7
	v_cvt_u32_f32_e32 v7, v7
	s_waitcnt vmcnt(0)
	v_mul_lo_u32 v11, s45, v7
	v_mul_hi_u32 v11, v7, v11
	v_add_u32_e32 v7, v7, v11
	v_mul_hi_u32 v7, v9, v7
	v_mul_lo_u32 v11, v7, s5
	v_sub_u32_e32 v11, v9, v11
	v_add_u32_e32 v13, 1, v7
	v_cmp_le_u32_e32 vcc, s5, v11
	v_cndmask_b32_e32 v7, v7, v13, vcc
	v_subrev_u32_e32 v13, s5, v11
	v_cndmask_b32_e32 v11, v11, v13, vcc
	v_add_u32_e32 v13, 1, v7
	v_cmp_le_u32_e32 vcc, s5, v11
	v_cndmask_b32_e32 v7, v7, v13, vcc
	v_mul_lo_u32 v11, v7, s5
	v_sub_u32_e32 v9, v9, v11
	v_mad_u64_u32 v[18:19], s[44:45], s44, v9, v[18:19]
	s_cbranch_scc1 .LBB63_41
.LBB63_42:                              ;   in Loop: Header=BB63_3 Depth=1
	s_waitcnt lgkmcnt(0)
	v_mad_u64_u32 v[18:19], s[2:3], s57, v7, v[18:19]
	v_mov_b32_e32 v19, v3
.LBB63_43:                              ;   in Loop: Header=BB63_3 Depth=1
	s_or_b64 exec, exec, s[42:43]
	v_lshlrev_b64 v[20:21], 2, v[2:3]
	v_mov_b32_e32 v2, s13
	v_add_co_u32_e32 v20, vcc, s12, v20
	v_mov_b32_e32 v13, v3
	v_addc_co_u32_e32 v21, vcc, v2, v21, vcc
	v_lshlrev_b64 v[12:13], 2, v[12:13]
	v_add_co_u32_e32 v12, vcc, s12, v12
	v_addc_co_u32_e32 v13, vcc, v2, v13, vcc
	v_lshlrev_b64 v[16:17], 2, v[16:17]
	v_add_co_u32_e32 v16, vcc, s12, v16
	;; [unrolled: 3-line block ×3, first 2 shown]
	v_addc_co_u32_e32 v19, vcc, v2, v19, vcc
	global_load_dword v2, v[20:21], off
	global_load_dword v7, v[12:13], off
	;; [unrolled: 1-line block ×4, first 2 shown]
	s_andn2_b64 vcc, exec, s[16:17]
	v_pk_mov_b32 v[12:13], s[10:11], s[10:11] op_sel:[0,1]
	v_pk_mov_b32 v[16:17], s[8:9], s[8:9] op_sel:[0,1]
	s_cbranch_vccnz .LBB63_45
; %bb.44:                               ;   in Loop: Header=BB63_3 Depth=1
	v_pk_mov_b32 v[12:13], s[10:11], s[10:11] op_sel:[0,1]
	flat_load_dwordx2 v[12:13], v[12:13]
	v_pk_mov_b32 v[16:17], s[8:9], s[8:9] op_sel:[0,1]
	flat_load_dwordx2 v[16:17], v[16:17]
	v_mov_b32_e32 v18, s7
	s_waitcnt vmcnt(0) lgkmcnt(0)
	v_add_co_u32_e32 v12, vcc, s6, v12
	v_addc_co_u32_e32 v13, vcc, v13, v18, vcc
.LBB63_45:                              ;   in Loop: Header=BB63_3 Depth=1
	v_alignbit_b32 v26, v13, v12, 2
	v_lshrrev_b32_e32 v27, 2, v13
	v_xor_b32_e32 v18, v4, v16
	v_and_b32_e32 v32, 3, v12
	v_mad_u64_u32 v[12:13], s[2:3], v26, s62, 0
	v_xor_b32_e32 v18, v18, v27
	v_xor_b32_e32 v13, v13, v17
	v_add_u32_e32 v37, 0xbb67ae85, v17
	v_mad_u64_u32 v[18:19], s[2:3], v18, s62, 0
	v_mad_u64_u32 v[20:21], s[2:3], v13, s58, 0
	v_xor_b32_e32 v19, v37, v19
	v_add_u32_e32 v36, 0x9e3779b9, v16
	v_xor_b32_e32 v13, v0, v21
	v_xor_b32_e32 v19, v19, v12
	v_xor_b32_e32 v13, v13, v36
	v_add_u32_e32 v38, 0x3c6ef372, v16
	v_mad_u64_u32 v[22:23], s[2:3], v19, s58, 0
	v_add_u32_e32 v39, 0x76cf5d0a, v17
	v_mad_u64_u32 v[12:13], s[2:3], v13, s62, 0
	v_xor_b32_e32 v19, v38, v23
	v_xor_b32_e32 v19, v19, v20
	v_xor_b32_e32 v13, v39, v13
	v_xor_b32_e32 v13, v13, v18
	v_add_u32_e32 v41, 0x32370b8f, v17
	v_mad_u64_u32 v[18:19], s[2:3], v19, s62, 0
	v_add_u32_e32 v40, 0xdaa66d2b, v16
	v_mad_u64_u32 v[20:21], s[2:3], v13, s58, 0
	v_xor_b32_e32 v19, v41, v19
	v_xor_b32_e32 v13, v40, v21
	v_xor_b32_e32 v19, v19, v12
	v_xor_b32_e32 v13, v13, v22
	v_add_u32_e32 v42, 0x78dde6e4, v16
	v_mad_u64_u32 v[22:23], s[2:3], v19, s58, 0
	v_add_u32_e32 v43, 0xed9eba14, v17
	v_mad_u64_u32 v[12:13], s[2:3], v13, s62, 0
	v_xor_b32_e32 v19, v42, v23
	v_xor_b32_e32 v19, v19, v20
	v_xor_b32_e32 v13, v43, v13
	v_xor_b32_e32 v13, v13, v18
	v_add_u32_e32 v45, 0xa9066899, v17
	v_mad_u64_u32 v[18:19], s[2:3], v19, s62, 0
	v_add_u32_e32 v44, 0x1715609d, v16
	v_mad_u64_u32 v[20:21], s[2:3], v13, s58, 0
	v_xor_b32_e32 v19, v45, v19
	v_xor_b32_e32 v13, v44, v21
	v_xor_b32_e32 v19, v19, v12
	v_xor_b32_e32 v13, v13, v22
	v_add_u32_e32 v46, 0xb54cda56, v16
	v_mad_u64_u32 v[22:23], s[2:3], v19, s58, 0
	v_add_u32_e32 v47, 0x646e171e, v17
	v_mad_u64_u32 v[12:13], s[2:3], v13, s62, 0
	v_xor_b32_e32 v19, v46, v23
	v_xor_b32_e32 v19, v19, v20
	v_xor_b32_e32 v13, v47, v13
	v_xor_b32_e32 v13, v13, v18
	v_add_u32_e32 v49, 0x1fd5c5a3, v17
	v_mad_u64_u32 v[18:19], s[2:3], v19, s62, 0
	v_xor_b32_e32 v19, v49, v19
	v_xor_b32_e32 v12, v19, v12
	v_add_u32_e32 v48, 0x5384540f, v16
	v_mad_u64_u32 v[24:25], s[2:3], v13, s58, 0
	v_add_co_u32_e32 v34, vcc, s63, v16
	v_mad_u64_u32 v[20:21], s[2:3], v12, s58, 0
	v_xor_b32_e32 v13, v48, v25
	v_xor_b32_e32 v12, v34, v21
	;; [unrolled: 1-line block ×4, first 2 shown]
	v_mad_u64_u32 v[22:23], s[2:3], v13, s62, 0
	v_mad_u64_u32 v[12:13], s[2:3], v12, s62, 0
	v_add_u32_e32 v35, 0x96a522ad, v17
	v_xor_b32_e32 v13, v13, v22
	v_xor_b32_e32 v33, v35, v13
	v_add_co_u32_e32 v13, vcc, 1, v26
	v_cndmask_b32_e64 v22, 0, 1, vcc
	v_addc_co_u32_e32 v28, vcc, 0, v27, vcc
	v_cmp_eq_u32_e32 vcc, 0, v28
	v_cndmask_b32_e32 v22, 0, v22, vcc
	v_add_u32_e32 v26, v22, v5
	v_cmp_eq_u32_e32 vcc, 0, v26
	v_mad_u64_u32 v[24:25], s[2:3], v13, s62, 0
	v_mad_u64_u32 v[26:27], s[2:3], v26, s58, 0
	v_add_u32_e32 v21, 0x8ff34781, v16
	v_cndmask_b32_e32 v22, 0, v22, vcc
	v_xor_b32_e32 v13, v27, v16
	v_xor_b32_e32 v16, v25, v17
	;; [unrolled: 1-line block ×4, first 2 shown]
	v_mad_u64_u32 v[28:29], s[2:3], v22, s58, 0
	v_add_u32_e32 v19, 0xdb3d7428, v17
	v_mad_u64_u32 v[16:17], s[2:3], v13, s62, 0
	v_xor_b32_e32 v13, v36, v29
	v_xor_b32_e32 v13, v13, v26
	v_xor_b32_e32 v17, v37, v17
	v_xor_b32_e32 v17, v17, v24
	v_mad_u64_u32 v[24:25], s[2:3], v13, s62, 0
	v_mad_u64_u32 v[26:27], s[2:3], v17, s58, 0
	v_xor_b32_e32 v17, v39, v25
	v_xor_b32_e32 v13, v38, v27
	v_xor_b32_e32 v22, v17, v16
	v_xor_b32_e32 v13, v13, v28
	v_mad_u64_u32 v[28:29], s[2:3], v22, s58, 0
	;; [unrolled: 6-line block ×7, first 2 shown]
	v_xor_b32_e32 v13, v19, v27
	v_xor_b32_e32 v13, v13, v16
	v_mad_u64_u32 v[28:29], s[2:3], v17, s58, 0
	v_mad_u64_u32 v[16:17], s[2:3], v13, s58, 0
	v_xor_b32_e32 v13, v17, v28
	v_xor_b32_e32 v13, v21, v13
	v_cmp_lt_i32_e32 vcc, 1, v32
                                        ; implicit-def: $vgpr25
	s_and_saveexec_b64 s[2:3], vcc
	s_xor_b64 s[2:3], exec, s[2:3]
	s_cbranch_execz .LBB63_51
; %bb.46:                               ;   in Loop: Header=BB63_3 Depth=1
	v_cmp_lt_i32_e32 vcc, 2, v32
                                        ; implicit-def: $vgpr25
	s_and_saveexec_b64 s[4:5], vcc
	s_xor_b64 s[4:5], exec, s[4:5]
; %bb.47:                               ;   in Loop: Header=BB63_3 Depth=1
	v_xor_b32_e32 v17, v34, v29
	v_xor_b32_e32 v17, v17, v24
	v_mul_hi_u32 v17, v17, s62
	v_xor_b32_e32 v17, v17, v26
	v_xor_b32_e32 v25, v35, v17
                                        ; implicit-def: $vgpr33
; %bb.48:                               ;   in Loop: Header=BB63_3 Depth=1
	s_andn2_saveexec_b64 s[4:5], s[4:5]
; %bb.49:                               ;   in Loop: Header=BB63_3 Depth=1
	v_mov_b32_e32 v25, v16
	v_mov_b32_e32 v16, v13
	;; [unrolled: 1-line block ×4, first 2 shown]
; %bb.50:                               ;   in Loop: Header=BB63_3 Depth=1
	s_or_b64 exec, exec, s[4:5]
                                        ; implicit-def: $vgpr18_vgpr19
                                        ; implicit-def: $vgpr20_vgpr21
                                        ; implicit-def: $vgpr32
                                        ; implicit-def: $vgpr33
                                        ; implicit-def: $vgpr22_vgpr23
                                        ; implicit-def: $vgpr19
                                        ; implicit-def: $vgpr21
.LBB63_51:                              ;   in Loop: Header=BB63_3 Depth=1
	s_andn2_saveexec_b64 s[2:3], s[2:3]
	s_cbranch_execz .LBB63_55
; %bb.52:                               ;   in Loop: Header=BB63_3 Depth=1
	v_xor_b32_e32 v16, v19, v23
	v_xor_b32_e32 v16, v16, v18
	v_mad_u64_u32 v[18:19], s[4:5], v16, s58, 0
	v_xor_b32_e32 v16, v19, v20
	v_xor_b32_e32 v17, v21, v16
	v_cmp_eq_u32_e32 vcc, 1, v32
	v_mov_b32_e32 v25, v12
	v_mov_b32_e32 v16, v33
	;; [unrolled: 1-line block ×3, first 2 shown]
	s_and_saveexec_b64 s[4:5], vcc
; %bb.53:                               ;   in Loop: Header=BB63_3 Depth=1
	v_mov_b32_e32 v25, v13
	v_mov_b32_e32 v16, v12
	;; [unrolled: 1-line block ×4, first 2 shown]
; %bb.54:                               ;   in Loop: Header=BB63_3 Depth=1
	s_or_b64 exec, exec, s[4:5]
	v_mov_b32_e32 v12, v17
	v_mov_b32_e32 v13, v19
.LBB63_55:                              ;   in Loop: Header=BB63_3 Depth=1
	s_or_b64 exec, exec, s[2:3]
	v_min_i32_e32 v17, 4, v31
	v_cmp_lt_i32_e32 vcc, 2, v17
	s_mov_b64 s[4:5], 0
	s_mov_b64 s[52:53], 0
	;; [unrolled: 1-line block ×3, first 2 shown]
                                        ; implicit-def: $sgpr44_sgpr45
                                        ; implicit-def: $sgpr46_sgpr47
                                        ; implicit-def: $sgpr48_sgpr49
	s_and_saveexec_b64 s[2:3], vcc
	s_xor_b64 s[50:51], exec, s[2:3]
	s_cbranch_execz .LBB63_67
; %bb.56:                               ;   in Loop: Header=BB63_3 Depth=1
	v_cmp_lt_i32_e32 vcc, 3, v17
	s_mov_b64 s[2:3], -1
	s_mov_b64 s[54:55], 0
                                        ; implicit-def: $sgpr42_sgpr43
                                        ; implicit-def: $sgpr44_sgpr45
	s_and_saveexec_b64 s[46:47], vcc
	s_cbranch_execz .LBB63_62
; %bb.57:                               ;   in Loop: Header=BB63_3 Depth=1
	v_cmp_eq_u32_e32 vcc, 4, v17
	s_mov_b64 s[2:3], 0
	s_mov_b64 s[54:55], -1
                                        ; implicit-def: $sgpr42_sgpr43
                                        ; implicit-def: $sgpr44_sgpr45
	s_and_saveexec_b64 s[48:49], vcc
	s_cbranch_execz .LBB63_61
; %bb.58:                               ;   in Loop: Header=BB63_3 Depth=1
	s_waitcnt vmcnt(0)
	v_cmp_le_f32_e32 vcc, 0, v11
	v_cmp_ge_f32_e64 s[2:3], 1.0, v11
	s_and_b64 s[54:55], vcc, s[2:3]
	s_mov_b64 s[42:43], 0
	s_mov_b64 s[2:3], 0
	s_and_saveexec_b64 s[44:45], s[54:55]
	s_cbranch_execz .LBB63_60
; %bb.59:                               ;   in Loop: Header=BB63_3 Depth=1
	v_cvt_f32_u32_e32 v18, v25
	v_mov_b32_e32 v19, 0x2f800000
	v_lshlrev_b64 v[14:15], 1, v[14:15]
	s_waitcnt lgkmcnt(0)
	v_add_co_u32_e32 v14, vcc, s14, v14
	v_fmac_f32_e32 v19, 0x2f800000, v18
	v_mov_b32_e32 v18, s15
	v_addc_co_u32_e32 v15, vcc, v18, v15, vcc
	v_cmp_le_f32_e32 vcc, v19, v11
	s_mov_b64 s[2:3], exec
	v_cndmask_b32_e64 v11, 0, 1, vcc
	global_store_short v[14:15], v11, off
.LBB63_60:                              ;   in Loop: Header=BB63_3 Depth=1
	s_or_b64 exec, exec, s[44:45]
	s_mov_b64 s[44:45], -1
	s_xor_b64 s[54:55], exec, -1
	s_and_b64 s[2:3], s[2:3], exec
.LBB63_61:                              ;   in Loop: Header=BB63_3 Depth=1
	s_or_b64 exec, exec, s[48:49]
	s_and_b64 s[54:55], s[54:55], exec
	s_orn2_b64 s[2:3], s[2:3], exec
.LBB63_62:                              ;   in Loop: Header=BB63_3 Depth=1
	s_or_b64 exec, exec, s[46:47]
	s_mov_b64 s[48:49], s[42:43]
	s_and_saveexec_b64 s[46:47], s[2:3]
	s_cbranch_execz .LBB63_66
; %bb.63:                               ;   in Loop: Header=BB63_3 Depth=1
	s_waitcnt vmcnt(1)
	v_cmp_le_f32_e32 vcc, 0, v9
	v_cmp_ge_f32_e64 s[2:3], 1.0, v9
	s_and_b64 s[48:49], vcc, s[2:3]
	s_mov_b64 s[2:3], 0
	s_and_saveexec_b64 s[52:53], s[48:49]
	s_xor_b64 s[48:49], exec, s[52:53]
	s_cbranch_execz .LBB63_65
; %bb.64:                               ;   in Loop: Header=BB63_3 Depth=1
	v_cvt_f32_u32_e32 v14, v16
	s_waitcnt vmcnt(0)
	v_mov_b32_e32 v11, v3
	v_mov_b32_e32 v15, 0x2f800000
	v_lshlrev_b64 v[10:11], 1, v[10:11]
	v_fmac_f32_e32 v15, 0x2f800000, v14
	s_waitcnt lgkmcnt(0)
	v_mov_b32_e32 v14, s15
	v_add_co_u32_e32 v10, vcc, s14, v10
	v_addc_co_u32_e32 v11, vcc, v14, v11, vcc
	v_cmp_le_f32_e32 vcc, v15, v9
	v_cndmask_b32_e64 v9, 0, 1, vcc
	s_mov_b64 s[2:3], exec
	global_store_short v[10:11], v9, off
.LBB63_65:                              ;   in Loop: Header=BB63_3 Depth=1
	s_or_b64 exec, exec, s[48:49]
	s_andn2_b64 s[48:49], s[42:43], exec
	s_or_b64 s[42:43], s[42:43], exec
	s_andn2_b64 s[44:45], s[44:45], exec
	s_and_b64 s[52:53], s[2:3], exec
.LBB63_66:                              ;   in Loop: Header=BB63_3 Depth=1
	s_or_b64 exec, exec, s[46:47]
	s_and_b64 s[48:49], s[48:49], exec
	s_and_b64 s[46:47], s[42:43], exec
	;; [unrolled: 1-line block ×5, first 2 shown]
.LBB63_67:                              ;   in Loop: Header=BB63_3 Depth=1
	s_andn2_saveexec_b64 s[2:3], s[50:51]
; %bb.68:                               ;   in Loop: Header=BB63_3 Depth=1
	v_cmp_lt_i32_e32 vcc, 1, v17
	s_andn2_b64 s[50:51], s[52:53], exec
	s_and_b64 s[52:53], vcc, exec
	s_mov_b64 s[4:5], exec
	s_andn2_b64 s[48:49], s[48:49], exec
	s_andn2_b64 s[46:47], s[46:47], exec
	;; [unrolled: 1-line block ×3, first 2 shown]
	s_or_b64 s[52:53], s[50:51], s[52:53]
; %bb.69:                               ;   in Loop: Header=BB63_3 Depth=1
	s_or_b64 exec, exec, s[2:3]
	s_mov_b64 s[2:3], 0
	s_mov_b64 s[50:51], s[48:49]
	s_and_saveexec_b64 s[54:55], s[52:53]
	s_cbranch_execnz .LBB63_72
; %bb.70:                               ;   in Loop: Header=BB63_3 Depth=1
	s_or_b64 exec, exec, s[54:55]
	s_and_saveexec_b64 s[52:53], s[4:5]
	s_cbranch_execnz .LBB63_75
.LBB63_71:                              ;   in Loop: Header=BB63_3 Depth=1
	s_or_b64 exec, exec, s[52:53]
	s_and_saveexec_b64 s[4:5], s[2:3]
	s_cbranch_execnz .LBB63_76
	s_branch .LBB63_79
.LBB63_72:                              ;   in Loop: Header=BB63_3 Depth=1
	s_waitcnt vmcnt(2)
	v_cmp_le_f32_e32 vcc, 0, v7
	v_cmp_ge_f32_e64 s[2:3], 1.0, v7
	s_and_b64 s[50:51], vcc, s[2:3]
	s_mov_b64 s[2:3], 0
	s_and_saveexec_b64 s[52:53], s[50:51]
	s_xor_b64 s[50:51], exec, s[52:53]
	s_cbranch_execz .LBB63_74
; %bb.73:                               ;   in Loop: Header=BB63_3 Depth=1
	v_cvt_f32_u32_e32 v10, v13
	s_waitcnt vmcnt(1)
	v_mov_b32_e32 v9, v3
	s_waitcnt vmcnt(0)
	v_mov_b32_e32 v11, 0x2f800000
	v_lshlrev_b64 v[8:9], 1, v[8:9]
	v_fmac_f32_e32 v11, 0x2f800000, v10
	s_waitcnt lgkmcnt(0)
	v_mov_b32_e32 v10, s15
	v_add_co_u32_e32 v8, vcc, s14, v8
	v_addc_co_u32_e32 v9, vcc, v10, v9, vcc
	v_cmp_le_f32_e32 vcc, v11, v7
	v_cndmask_b32_e64 v7, 0, 1, vcc
	s_mov_b64 s[2:3], exec
	global_store_short v[8:9], v7, off
.LBB63_74:                              ;   in Loop: Header=BB63_3 Depth=1
	s_or_b64 exec, exec, s[50:51]
	s_andn2_b64 s[50:51], s[48:49], exec
	s_or_b64 s[48:49], s[48:49], exec
	s_andn2_b64 s[46:47], s[46:47], exec
	s_andn2_b64 s[44:45], s[44:45], exec
	s_and_b64 s[2:3], s[2:3], exec
	s_andn2_b64 s[4:5], s[4:5], exec
	s_or_b64 exec, exec, s[54:55]
	s_and_saveexec_b64 s[52:53], s[4:5]
	s_cbranch_execz .LBB63_71
.LBB63_75:                              ;   in Loop: Header=BB63_3 Depth=1
	v_cmp_eq_u32_e32 vcc, 1, v17
	s_andn2_b64 s[2:3], s[2:3], exec
	s_and_b64 s[4:5], vcc, exec
	s_andn2_b64 s[50:51], s[50:51], exec
	s_andn2_b64 s[48:49], s[48:49], exec
	;; [unrolled: 1-line block ×4, first 2 shown]
	s_or_b64 s[42:43], s[42:43], exec
	s_or_b64 s[2:3], s[2:3], s[4:5]
	s_or_b64 exec, exec, s[52:53]
	s_and_saveexec_b64 s[4:5], s[2:3]
	s_cbranch_execz .LBB63_79
.LBB63_76:                              ;   in Loop: Header=BB63_3 Depth=1
	s_waitcnt vmcnt(3)
	v_cmp_le_f32_e32 vcc, 0, v2
	v_cmp_ge_f32_e64 s[2:3], 1.0, v2
	s_and_b64 s[54:55], vcc, s[2:3]
	s_mov_b64 s[2:3], 0
	s_and_saveexec_b64 s[52:53], s[54:55]
	s_cbranch_execz .LBB63_78
; %bb.77:                               ;   in Loop: Header=BB63_3 Depth=1
	v_cvt_f32_u32_e32 v8, v12
	s_waitcnt vmcnt(2)
	v_mov_b32_e32 v7, v3
	s_waitcnt vmcnt(1)
	v_mov_b32_e32 v9, 0x2f800000
	v_lshlrev_b64 v[6:7], 1, v[6:7]
	v_fmac_f32_e32 v9, 0x2f800000, v8
	s_waitcnt lgkmcnt(0)
	v_mov_b32_e32 v8, s15
	v_add_co_u32_e32 v6, vcc, s14, v6
	v_addc_co_u32_e32 v7, vcc, v8, v7, vcc
	v_cmp_le_f32_e32 vcc, v9, v2
	s_mov_b64 s[2:3], exec
	v_cndmask_b32_e64 v2, 0, 1, vcc
	global_store_short v[6:7], v2, off
.LBB63_78:                              ;   in Loop: Header=BB63_3 Depth=1
	s_or_b64 exec, exec, s[52:53]
	s_andn2_b64 s[42:43], s[42:43], exec
	s_and_b64 s[2:3], s[2:3], exec
	s_or_b64 s[50:51], s[50:51], exec
	s_andn2_b64 s[48:49], s[48:49], exec
	s_andn2_b64 s[46:47], s[46:47], exec
	;; [unrolled: 1-line block ×3, first 2 shown]
	s_or_b64 s[42:43], s[42:43], s[2:3]
.LBB63_79:                              ;   in Loop: Header=BB63_3 Depth=1
	s_or_b64 exec, exec, s[4:5]
	s_andn2_b64 s[4:5], s[40:41], exec
	s_and_b64 s[40:41], s[50:51], exec
	s_or_b64 s[40:41], s[4:5], s[40:41]
	s_andn2_b64 s[4:5], s[38:39], exec
	s_and_b64 s[38:39], s[48:49], exec
	s_or_b64 s[38:39], s[4:5], s[38:39]
	;; [unrolled: 3-line block ×3, first 2 shown]
	s_andn2_b64 s[4:5], s[34:35], exec
	s_and_b64 s[34:35], s[44:45], exec
	s_mov_b64 s[2:3], -1
	s_or_b64 s[34:35], s[4:5], s[34:35]
	s_and_saveexec_b64 s[4:5], s[42:43]
	s_cbranch_execz .LBB63_2
; %bb.80:                               ;   in Loop: Header=BB63_3 Depth=1
	v_add_u32_e32 v30, s59, v30
	v_cmp_le_u32_e32 vcc, s33, v30
	s_andn2_b64 s[40:41], s[40:41], exec
	s_andn2_b64 s[38:39], s[38:39], exec
	;; [unrolled: 1-line block ×4, first 2 shown]
	s_orn2_b64 s[2:3], vcc, exec
	s_branch .LBB63_2
.LBB63_81:
	s_or_b64 exec, exec, s[24:25]
	s_xor_b64 s[6:7], s[30:31], -1
	s_xor_b64 s[8:9], s[28:29], -1
	;; [unrolled: 1-line block ×3, first 2 shown]
	s_mov_b64 s[2:3], 0
	s_and_saveexec_b64 s[4:5], s[0:1]
	s_xor_b64 s[0:1], exec, s[4:5]
	s_cbranch_execnz .LBB63_86
; %bb.82:
	s_andn2_saveexec_b64 s[0:1], s[0:1]
	s_cbranch_execnz .LBB63_94
.LBB63_83:
	s_or_b64 exec, exec, s[0:1]
	s_and_b64 exec, exec, s[2:3]
.LBB63_84:
	; divergent unreachable
.LBB63_85:
	s_endpgm
.LBB63_86:
	s_mov_b64 s[4:5], 0
	s_and_saveexec_b64 s[2:3], s[8:9]
	s_xor_b64 s[2:3], exec, s[2:3]
	s_cbranch_execz .LBB63_92
; %bb.87:
	s_and_saveexec_b64 s[8:9], s[6:7]
	s_xor_b64 s[6:7], exec, s[8:9]
	s_cbranch_execz .LBB63_90
; %bb.88:
	s_and_saveexec_b64 s[8:9], s[18:19]
	s_xor_b64 s[8:9], exec, s[8:9]
	s_cbranch_execnz .LBB63_97
.LBB63_89:
	s_or_b64 exec, exec, s[8:9]
	s_and_b64 s[4:5], s[4:5], exec
.LBB63_90:
	s_andn2_saveexec_b64 s[6:7], s[6:7]
	s_cbranch_execnz .LBB63_96
.LBB63_91:
	s_or_b64 exec, exec, s[6:7]
	s_and_b64 s[4:5], s[4:5], exec
.LBB63_92:
	s_andn2_saveexec_b64 s[2:3], s[2:3]
	s_cbranch_execnz .LBB63_95
.LBB63_93:
	s_or_b64 exec, exec, s[2:3]
	s_and_b64 s[2:3], s[4:5], exec
	s_andn2_saveexec_b64 s[0:1], s[0:1]
	s_cbranch_execz .LBB63_83
.LBB63_94:
	s_or_b64 s[2:3], s[2:3], exec
	s_trap 2
	s_or_b64 exec, exec, s[0:1]
	s_and_b64 exec, exec, s[2:3]
	s_cbranch_execnz .LBB63_84
	s_branch .LBB63_85
.LBB63_95:
	s_or_b64 s[4:5], s[4:5], exec
	s_trap 2
	s_branch .LBB63_93
.LBB63_96:
	s_trap 2
	s_or_b64 s[4:5], s[4:5], exec
	s_branch .LBB63_91
.LBB63_97:
	s_mov_b64 s[4:5], exec
	s_trap 2
	s_branch .LBB63_89
	.section	.rodata,"a",@progbits
	.p2align	6, 0x0
	.amdhsa_kernel _ZN2at4cuda12_GLOBAL__N_121kernelPointwiseApply2IZNS_6native9templates4cuda28bernoulli_tensor_cuda_kernelIsfEEvRKNS_10TensorBaseES9_NS_15PhiloxCudaStateEEUliRsSB_SB_SB_RKfSD_SD_SD_E_sSC_jLin1ELin1ELi4ELi512ELi2EEEvNS0_6detail10TensorInfoIT0_T2_EENSG_IT1_SI_EESI_T_
		.amdhsa_group_segment_fixed_size 0
		.amdhsa_private_segment_fixed_size 0
		.amdhsa_kernarg_size 728
		.amdhsa_user_sgpr_count 6
		.amdhsa_user_sgpr_private_segment_buffer 1
		.amdhsa_user_sgpr_dispatch_ptr 0
		.amdhsa_user_sgpr_queue_ptr 0
		.amdhsa_user_sgpr_kernarg_segment_ptr 1
		.amdhsa_user_sgpr_dispatch_id 0
		.amdhsa_user_sgpr_flat_scratch_init 0
		.amdhsa_user_sgpr_kernarg_preload_length 0
		.amdhsa_user_sgpr_kernarg_preload_offset 0
		.amdhsa_user_sgpr_private_segment_size 0
		.amdhsa_uses_dynamic_stack 0
		.amdhsa_system_sgpr_private_segment_wavefront_offset 0
		.amdhsa_system_sgpr_workgroup_id_x 1
		.amdhsa_system_sgpr_workgroup_id_y 0
		.amdhsa_system_sgpr_workgroup_id_z 0
		.amdhsa_system_sgpr_workgroup_info 0
		.amdhsa_system_vgpr_workitem_id 0
		.amdhsa_next_free_vgpr 50
		.amdhsa_next_free_sgpr 64
		.amdhsa_accum_offset 52
		.amdhsa_reserve_vcc 1
		.amdhsa_reserve_flat_scratch 0
		.amdhsa_float_round_mode_32 0
		.amdhsa_float_round_mode_16_64 0
		.amdhsa_float_denorm_mode_32 3
		.amdhsa_float_denorm_mode_16_64 3
		.amdhsa_dx10_clamp 1
		.amdhsa_ieee_mode 1
		.amdhsa_fp16_overflow 0
		.amdhsa_tg_split 0
		.amdhsa_exception_fp_ieee_invalid_op 0
		.amdhsa_exception_fp_denorm_src 0
		.amdhsa_exception_fp_ieee_div_zero 0
		.amdhsa_exception_fp_ieee_overflow 0
		.amdhsa_exception_fp_ieee_underflow 0
		.amdhsa_exception_fp_ieee_inexact 0
		.amdhsa_exception_int_div_zero 0
	.end_amdhsa_kernel
	.section	.text._ZN2at4cuda12_GLOBAL__N_121kernelPointwiseApply2IZNS_6native9templates4cuda28bernoulli_tensor_cuda_kernelIsfEEvRKNS_10TensorBaseES9_NS_15PhiloxCudaStateEEUliRsSB_SB_SB_RKfSD_SD_SD_E_sSC_jLin1ELin1ELi4ELi512ELi2EEEvNS0_6detail10TensorInfoIT0_T2_EENSG_IT1_SI_EESI_T_,"axG",@progbits,_ZN2at4cuda12_GLOBAL__N_121kernelPointwiseApply2IZNS_6native9templates4cuda28bernoulli_tensor_cuda_kernelIsfEEvRKNS_10TensorBaseES9_NS_15PhiloxCudaStateEEUliRsSB_SB_SB_RKfSD_SD_SD_E_sSC_jLin1ELin1ELi4ELi512ELi2EEEvNS0_6detail10TensorInfoIT0_T2_EENSG_IT1_SI_EESI_T_,comdat
.Lfunc_end63:
	.size	_ZN2at4cuda12_GLOBAL__N_121kernelPointwiseApply2IZNS_6native9templates4cuda28bernoulli_tensor_cuda_kernelIsfEEvRKNS_10TensorBaseES9_NS_15PhiloxCudaStateEEUliRsSB_SB_SB_RKfSD_SD_SD_E_sSC_jLin1ELin1ELi4ELi512ELi2EEEvNS0_6detail10TensorInfoIT0_T2_EENSG_IT1_SI_EESI_T_, .Lfunc_end63-_ZN2at4cuda12_GLOBAL__N_121kernelPointwiseApply2IZNS_6native9templates4cuda28bernoulli_tensor_cuda_kernelIsfEEvRKNS_10TensorBaseES9_NS_15PhiloxCudaStateEEUliRsSB_SB_SB_RKfSD_SD_SD_E_sSC_jLin1ELin1ELi4ELi512ELi2EEEvNS0_6detail10TensorInfoIT0_T2_EENSG_IT1_SI_EESI_T_
                                        ; -- End function
	.section	.AMDGPU.csdata,"",@progbits
; Kernel info:
; codeLenInByte = 4500
; NumSgprs: 68
; NumVgprs: 50
; NumAgprs: 0
; TotalNumVgprs: 50
; ScratchSize: 0
; MemoryBound: 0
; FloatMode: 240
; IeeeMode: 1
; LDSByteSize: 0 bytes/workgroup (compile time only)
; SGPRBlocks: 8
; VGPRBlocks: 6
; NumSGPRsForWavesPerEU: 68
; NumVGPRsForWavesPerEU: 50
; AccumOffset: 52
; Occupancy: 8
; WaveLimiterHint : 1
; COMPUTE_PGM_RSRC2:SCRATCH_EN: 0
; COMPUTE_PGM_RSRC2:USER_SGPR: 6
; COMPUTE_PGM_RSRC2:TRAP_HANDLER: 0
; COMPUTE_PGM_RSRC2:TGID_X_EN: 1
; COMPUTE_PGM_RSRC2:TGID_Y_EN: 0
; COMPUTE_PGM_RSRC2:TGID_Z_EN: 0
; COMPUTE_PGM_RSRC2:TIDIG_COMP_CNT: 0
; COMPUTE_PGM_RSRC3_GFX90A:ACCUM_OFFSET: 12
; COMPUTE_PGM_RSRC3_GFX90A:TG_SPLIT: 0
	.section	.text._ZN2at4cuda12_GLOBAL__N_121kernelPointwiseApply2IZNS_6native9templates4cuda28bernoulli_tensor_cuda_kernelIsfEEvRKNS_10TensorBaseES9_NS_15PhiloxCudaStateEEUliRsSB_SB_SB_RKfSD_SD_SD_E_sSC_mLi1ELi1ELi4ELi512ELi2EEEvNS0_6detail10TensorInfoIT0_T2_EENSG_IT1_SI_EESI_T_,"axG",@progbits,_ZN2at4cuda12_GLOBAL__N_121kernelPointwiseApply2IZNS_6native9templates4cuda28bernoulli_tensor_cuda_kernelIsfEEvRKNS_10TensorBaseES9_NS_15PhiloxCudaStateEEUliRsSB_SB_SB_RKfSD_SD_SD_E_sSC_mLi1ELi1ELi4ELi512ELi2EEEvNS0_6detail10TensorInfoIT0_T2_EENSG_IT1_SI_EESI_T_,comdat
	.globl	_ZN2at4cuda12_GLOBAL__N_121kernelPointwiseApply2IZNS_6native9templates4cuda28bernoulli_tensor_cuda_kernelIsfEEvRKNS_10TensorBaseES9_NS_15PhiloxCudaStateEEUliRsSB_SB_SB_RKfSD_SD_SD_E_sSC_mLi1ELi1ELi4ELi512ELi2EEEvNS0_6detail10TensorInfoIT0_T2_EENSG_IT1_SI_EESI_T_ ; -- Begin function _ZN2at4cuda12_GLOBAL__N_121kernelPointwiseApply2IZNS_6native9templates4cuda28bernoulli_tensor_cuda_kernelIsfEEvRKNS_10TensorBaseES9_NS_15PhiloxCudaStateEEUliRsSB_SB_SB_RKfSD_SD_SD_E_sSC_mLi1ELi1ELi4ELi512ELi2EEEvNS0_6detail10TensorInfoIT0_T2_EENSG_IT1_SI_EESI_T_
	.p2align	8
	.type	_ZN2at4cuda12_GLOBAL__N_121kernelPointwiseApply2IZNS_6native9templates4cuda28bernoulli_tensor_cuda_kernelIsfEEvRKNS_10TensorBaseES9_NS_15PhiloxCudaStateEEUliRsSB_SB_SB_RKfSD_SD_SD_E_sSC_mLi1ELi1ELi4ELi512ELi2EEEvNS0_6detail10TensorInfoIT0_T2_EENSG_IT1_SI_EESI_T_,@function
_ZN2at4cuda12_GLOBAL__N_121kernelPointwiseApply2IZNS_6native9templates4cuda28bernoulli_tensor_cuda_kernelIsfEEvRKNS_10TensorBaseES9_NS_15PhiloxCudaStateEEUliRsSB_SB_SB_RKfSD_SD_SD_E_sSC_mLi1ELi1ELi4ELi512ELi2EEEvNS0_6detail10TensorInfoIT0_T2_EENSG_IT1_SI_EESI_T_: ; @_ZN2at4cuda12_GLOBAL__N_121kernelPointwiseApply2IZNS_6native9templates4cuda28bernoulli_tensor_cuda_kernelIsfEEvRKNS_10TensorBaseES9_NS_15PhiloxCudaStateEEUliRsSB_SB_SB_RKfSD_SD_SD_E_sSC_mLi1ELi1ELi4ELi512ELi2EEEvNS0_6detail10TensorInfoIT0_T2_EENSG_IT1_SI_EESI_T_
; %bb.0:
	s_load_dword s2, s[4:5], 0x374
	s_load_dwordx8 s[12:19], s[4:5], 0x340
	s_add_u32 s0, s4, 0x368
	s_addc_u32 s1, s5, 0
	v_mov_b32_e32 v1, 0
	s_waitcnt lgkmcnt(0)
	s_and_b32 s2, s2, 0xffff
	s_mul_i32 s6, s6, s2
	v_add_u32_e32 v5, s6, v0
	v_lshlrev_b32_e32 v0, 2, v5
	v_cmp_gt_u64_e32 vcc, s[12:13], v[0:1]
	s_and_saveexec_b64 s[6:7], vcc
	s_cbranch_execz .LBB64_43
; %bb.1:
	s_load_dword s3, s[0:1], 0x0
	s_load_dword s22, s[4:5], 0x360
	s_load_dwordx2 s[10:11], s[4:5], 0x0
	s_load_dwordx2 s[6:7], s[4:5], 0xd0
	;; [unrolled: 1-line block ×4, first 2 shown]
	s_waitcnt lgkmcnt(0)
	s_mul_i32 s3, s3, s2
	s_bitcmp1_b32 s22, 0
	s_mov_b32 s33, 0xcd9e8d57
	v_pk_mov_b32 v[6:7], s[6:7], s[6:7] op_sel:[0,1]
	s_cselect_b64 s[22:23], -1, 0
	v_mad_u64_u32 v[2:3], s[0:1], v5, s33, 0
	s_lshl_b32 s60, s3, 2
	v_mad_u64_u32 v[6:7], s[0:1], s6, v0, v[6:7]
	s_mul_i32 s0, s7, s60
	s_mul_hi_u32 s1, s6, s60
	v_add_co_u32_e32 v16, vcc, 2, v0
	s_add_i32 s62, s1, s0
	v_addc_co_u32_e64 v17, s[0:1], 0, 0, vcc
	v_add_co_u32_e32 v18, vcc, 3, v0
	v_mul_lo_u32 v10, s7, v16
	v_mul_lo_u32 v11, s6, v17
	v_mad_u64_u32 v[8:9], s[0:1], s6, v16, 0
	v_addc_co_u32_e64 v19, s[0:1], 0, 0, vcc
	v_add3_u32 v9, v9, v11, v10
	v_mul_lo_u32 v12, s7, v18
	v_mul_lo_u32 v13, s6, v19
	v_mad_u64_u32 v[10:11], s[0:1], s6, v18, 0
	v_mul_lo_u32 v14, s7, v0
	v_add3_u32 v11, v11, v13, v12
	v_mad_u64_u32 v[12:13], s[0:1], s6, v0, 0
	v_add_u32_e32 v7, v14, v7
	v_add_u32_e32 v13, v13, v14
	v_pk_mov_b32 v[14:15], s[8:9], s[8:9] op_sel:[0,1]
	v_mad_u64_u32 v[14:15], s[0:1], s8, v0, v[14:15]
	s_mul_i32 s0, s9, s60
	s_mul_hi_u32 s1, s8, s60
	s_add_i32 s64, s1, s0
	v_mul_lo_u32 v20, s9, v16
	v_mul_lo_u32 v21, s8, v17
	v_mad_u64_u32 v[16:17], s[0:1], s8, v16, 0
	v_add3_u32 v17, v17, v21, v20
	v_mul_lo_u32 v20, s9, v18
	v_mul_lo_u32 v21, s8, v19
	v_mad_u64_u32 v[18:19], s[0:1], s8, v18, 0
	v_mul_lo_u32 v22, s9, v0
	v_add3_u32 v19, v19, v21, v20
	v_mad_u64_u32 v[20:21], s[0:1], s8, v0, 0
	v_mov_b32_e32 v4, v3
	s_mov_b32 s61, 0
	v_sub_u32_e32 v3, s12, v0
	s_mul_i32 s63, s6, s60
	v_add_u32_e32 v15, v22, v15
	s_mul_i32 s65, s8, s60
	v_add_u32_e32 v21, v21, v22
	s_mov_b64 s[26:27], 0
	s_mov_b32 s66, 0xd2511f53
	v_mov_b32_e32 v38, s21
	s_mov_b32 s21, 0xf1bbcdc8
	s_mov_b64 s[42:43], 0
	s_mov_b64 s[46:47], 0
                                        ; implicit-def: $sgpr28_sgpr29
                                        ; implicit-def: $sgpr30_sgpr31
                                        ; implicit-def: $sgpr34_sgpr35
                                        ; implicit-def: $sgpr24_sgpr25
                                        ; implicit-def: $sgpr36_sgpr37
                                        ; implicit-def: $sgpr38_sgpr39
                                        ; implicit-def: $sgpr40_sgpr41
                                        ; implicit-def: $sgpr44_sgpr45
	s_branch .LBB64_3
.LBB64_2:                               ;   in Loop: Header=BB64_3 Depth=1
	s_or_b64 exec, exec, s[2:3]
	s_and_b64 s[0:1], exec, s[0:1]
	s_or_b64 s[26:27], s[0:1], s[26:27]
	s_andn2_b64 s[0:1], s[24:25], exec
	s_and_b64 s[2:3], s[44:45], exec
	s_or_b64 s[24:25], s[0:1], s[2:3]
	s_andn2_b64 s[0:1], s[34:35], exec
	s_and_b64 s[2:3], s[40:41], exec
	;; [unrolled: 3-line block ×4, first 2 shown]
	s_or_b64 s[28:29], s[0:1], s[2:3]
	s_andn2_b64 exec, exec, s[26:27]
	s_cbranch_execz .LBB64_39
.LBB64_3:                               ; =>This Inner Loop Header: Depth=1
	v_mov_b32_e32 v28, s43
	v_add_co_u32_e32 v22, vcc, s42, v20
	v_addc_co_u32_e32 v23, vcc, v21, v28, vcc
	v_add_co_u32_e32 v24, vcc, s42, v14
	v_addc_co_u32_e32 v25, vcc, v15, v28, vcc
	v_add_co_u32_e32 v26, vcc, s42, v16
	v_cmp_lt_i32_e64 s[0:1], 0, v3
	v_addc_co_u32_e32 v27, vcc, v17, v28, vcc
	v_cndmask_b32_e64 v23, 0, v23, s[0:1]
	v_cndmask_b32_e64 v22, 0, v22, s[0:1]
	v_add_co_u32_e32 v30, vcc, s42, v18
	v_cmp_lt_i32_e64 s[2:3], 1, v3
	v_addc_co_u32_e32 v28, vcc, v19, v28, vcc
	v_lshlrev_b64 v[22:23], 2, v[22:23]
	v_cndmask_b32_e64 v25, 0, v25, s[2:3]
	v_cndmask_b32_e64 v24, 0, v24, s[2:3]
	v_add_co_u32_e32 v22, vcc, s20, v22
	v_cmp_lt_i32_e64 s[4:5], 2, v3
	v_addc_co_u32_e32 v23, vcc, v38, v23, vcc
	v_lshlrev_b64 v[24:25], 2, v[24:25]
	;; [unrolled: 6-line block ×3, first 2 shown]
	v_cndmask_b32_e64 v29, 0, v28, s[6:7]
	v_cndmask_b32_e64 v28, 0, v30, s[6:7]
	v_add_co_u32_e32 v26, vcc, s20, v26
	v_addc_co_u32_e32 v27, vcc, v38, v27, vcc
	v_lshlrev_b64 v[28:29], 2, v[28:29]
	v_add_co_u32_e32 v28, vcc, s20, v28
	v_addc_co_u32_e32 v29, vcc, v38, v29, vcc
	global_load_dword v39, v[22:23], off
	global_load_dword v40, v[24:25], off
	;; [unrolled: 1-line block ×4, first 2 shown]
	s_andn2_b64 vcc, exec, s[22:23]
	v_pk_mov_b32 v[22:23], s[16:17], s[16:17] op_sel:[0,1]
	v_pk_mov_b32 v[24:25], s[14:15], s[14:15] op_sel:[0,1]
	s_cbranch_vccnz .LBB64_5
; %bb.4:                                ;   in Loop: Header=BB64_3 Depth=1
	v_pk_mov_b32 v[22:23], s[16:17], s[16:17] op_sel:[0,1]
	flat_load_dwordx2 v[22:23], v[22:23]
	v_pk_mov_b32 v[24:25], s[14:15], s[14:15] op_sel:[0,1]
	flat_load_dwordx2 v[24:25], v[24:25]
	v_mov_b32_e32 v26, s19
	s_waitcnt vmcnt(0) lgkmcnt(0)
	v_add_co_u32_e32 v22, vcc, s18, v22
	v_addc_co_u32_e32 v23, vcc, v23, v26, vcc
.LBB64_5:                               ;   in Loop: Header=BB64_3 Depth=1
	v_alignbit_b32 v34, v23, v22, 2
	v_lshrrev_b32_e32 v35, 2, v23
	v_xor_b32_e32 v26, v4, v24
	v_and_b32_e32 v43, 3, v22
	v_mad_u64_u32 v[22:23], s[8:9], v34, s66, 0
	v_xor_b32_e32 v26, v26, v35
	v_xor_b32_e32 v23, v23, v25
	v_add_u32_e32 v48, 0xbb67ae85, v25
	v_mad_u64_u32 v[26:27], s[8:9], v26, s66, 0
	v_mad_u64_u32 v[28:29], s[8:9], v23, s33, 0
	v_xor_b32_e32 v27, v48, v27
	v_add_u32_e32 v47, 0x9e3779b9, v24
	v_xor_b32_e32 v23, v2, v29
	v_xor_b32_e32 v27, v27, v22
	v_xor_b32_e32 v23, v23, v47
	v_add_u32_e32 v49, 0x3c6ef372, v24
	v_mad_u64_u32 v[30:31], s[8:9], v27, s33, 0
	v_add_u32_e32 v50, 0x76cf5d0a, v25
	v_mad_u64_u32 v[22:23], s[8:9], v23, s66, 0
	v_xor_b32_e32 v27, v49, v31
	v_xor_b32_e32 v27, v27, v28
	v_xor_b32_e32 v23, v50, v23
	v_xor_b32_e32 v23, v23, v26
	v_add_u32_e32 v52, 0x32370b8f, v25
	v_mad_u64_u32 v[26:27], s[8:9], v27, s66, 0
	v_add_u32_e32 v51, 0xdaa66d2b, v24
	v_mad_u64_u32 v[28:29], s[8:9], v23, s33, 0
	v_xor_b32_e32 v27, v52, v27
	;; [unrolled: 8-line block ×5, first 2 shown]
	v_xor_b32_e32 v27, v27, v28
	v_xor_b32_e32 v23, v58, v23
	;; [unrolled: 1-line block ×3, first 2 shown]
	v_add_u32_e32 v60, 0x1fd5c5a3, v25
	v_mad_u64_u32 v[26:27], s[8:9], v27, s66, 0
	v_xor_b32_e32 v27, v60, v27
	v_xor_b32_e32 v22, v27, v22
	v_add_u32_e32 v59, 0x5384540f, v24
	v_mad_u64_u32 v[32:33], s[8:9], v23, s33, 0
	v_add_co_u32_e32 v45, vcc, s21, v24
	v_mad_u64_u32 v[28:29], s[8:9], v22, s33, 0
	v_xor_b32_e32 v23, v59, v33
	v_xor_b32_e32 v22, v45, v29
	;; [unrolled: 1-line block ×4, first 2 shown]
	v_mad_u64_u32 v[30:31], s[8:9], v23, s66, 0
	v_mad_u64_u32 v[22:23], s[8:9], v22, s66, 0
	v_add_u32_e32 v46, 0x96a522ad, v25
	v_xor_b32_e32 v23, v23, v30
	v_xor_b32_e32 v44, v46, v23
	v_add_co_u32_e32 v23, vcc, 1, v34
	v_cndmask_b32_e64 v30, 0, 1, vcc
	v_addc_co_u32_e32 v36, vcc, 0, v35, vcc
	v_cmp_eq_u32_e32 vcc, 0, v36
	v_cndmask_b32_e32 v30, 0, v30, vcc
	v_add_u32_e32 v34, v30, v5
	v_cmp_eq_u32_e32 vcc, 0, v34
	v_mad_u64_u32 v[32:33], s[8:9], v23, s66, 0
	v_mad_u64_u32 v[34:35], s[8:9], v34, s33, 0
	v_add_u32_e32 v29, 0x8ff34781, v24
	v_cndmask_b32_e32 v30, 0, v30, vcc
	v_xor_b32_e32 v23, v35, v24
	v_xor_b32_e32 v24, v33, v25
	;; [unrolled: 1-line block ×4, first 2 shown]
	v_mad_u64_u32 v[36:37], s[8:9], v30, s33, 0
	v_add_u32_e32 v27, 0xdb3d7428, v25
	v_mad_u64_u32 v[24:25], s[8:9], v23, s66, 0
	v_xor_b32_e32 v23, v47, v37
	v_xor_b32_e32 v23, v23, v34
	v_xor_b32_e32 v25, v48, v25
	v_xor_b32_e32 v25, v25, v32
	v_mad_u64_u32 v[32:33], s[8:9], v23, s66, 0
	v_mad_u64_u32 v[34:35], s[8:9], v25, s33, 0
	v_xor_b32_e32 v25, v50, v33
	v_xor_b32_e32 v23, v49, v35
	v_xor_b32_e32 v30, v25, v24
	v_xor_b32_e32 v23, v23, v36
	v_mad_u64_u32 v[36:37], s[8:9], v30, s33, 0
	;; [unrolled: 6-line block ×7, first 2 shown]
	v_xor_b32_e32 v23, v27, v35
	v_xor_b32_e32 v23, v23, v24
	v_mad_u64_u32 v[36:37], s[8:9], v25, s33, 0
	v_mad_u64_u32 v[24:25], s[8:9], v23, s33, 0
	v_xor_b32_e32 v23, v25, v36
	v_xor_b32_e32 v23, v29, v23
	v_cmp_lt_i32_e32 vcc, 1, v43
                                        ; implicit-def: $vgpr33
	s_and_saveexec_b64 s[8:9], vcc
	s_xor_b64 s[8:9], exec, s[8:9]
	s_cbranch_execz .LBB64_11
; %bb.6:                                ;   in Loop: Header=BB64_3 Depth=1
	v_cmp_lt_i32_e32 vcc, 2, v43
                                        ; implicit-def: $vgpr33
	s_and_saveexec_b64 s[48:49], vcc
	s_xor_b64 s[48:49], exec, s[48:49]
; %bb.7:                                ;   in Loop: Header=BB64_3 Depth=1
	v_xor_b32_e32 v25, v45, v37
	v_xor_b32_e32 v25, v25, v32
	v_mul_hi_u32 v25, v25, s66
	v_xor_b32_e32 v25, v25, v34
	v_xor_b32_e32 v33, v46, v25
                                        ; implicit-def: $vgpr44
; %bb.8:                                ;   in Loop: Header=BB64_3 Depth=1
	s_andn2_saveexec_b64 s[48:49], s[48:49]
; %bb.9:                                ;   in Loop: Header=BB64_3 Depth=1
	v_mov_b32_e32 v33, v24
	v_mov_b32_e32 v24, v23
	;; [unrolled: 1-line block ×4, first 2 shown]
; %bb.10:                               ;   in Loop: Header=BB64_3 Depth=1
	s_or_b64 exec, exec, s[48:49]
                                        ; implicit-def: $vgpr26_vgpr27
                                        ; implicit-def: $vgpr28_vgpr29
                                        ; implicit-def: $vgpr43
                                        ; implicit-def: $vgpr44
                                        ; implicit-def: $vgpr30_vgpr31
                                        ; implicit-def: $vgpr27
                                        ; implicit-def: $vgpr29
.LBB64_11:                              ;   in Loop: Header=BB64_3 Depth=1
	s_andn2_saveexec_b64 s[8:9], s[8:9]
	s_cbranch_execz .LBB64_15
; %bb.12:                               ;   in Loop: Header=BB64_3 Depth=1
	v_xor_b32_e32 v24, v27, v31
	v_xor_b32_e32 v24, v24, v26
	v_mad_u64_u32 v[26:27], s[48:49], v24, s33, 0
	v_xor_b32_e32 v24, v27, v28
	v_xor_b32_e32 v25, v29, v24
	v_cmp_eq_u32_e32 vcc, 1, v43
	v_mov_b32_e32 v33, v22
	v_mov_b32_e32 v24, v44
	;; [unrolled: 1-line block ×3, first 2 shown]
	s_and_saveexec_b64 s[48:49], vcc
; %bb.13:                               ;   in Loop: Header=BB64_3 Depth=1
	v_mov_b32_e32 v33, v23
	v_mov_b32_e32 v24, v22
	;; [unrolled: 1-line block ×4, first 2 shown]
; %bb.14:                               ;   in Loop: Header=BB64_3 Depth=1
	s_or_b64 exec, exec, s[48:49]
	v_mov_b32_e32 v22, v25
	v_mov_b32_e32 v23, v27
.LBB64_15:                              ;   in Loop: Header=BB64_3 Depth=1
	s_or_b64 exec, exec, s[8:9]
	v_min_i32_e32 v25, 4, v3
	v_cmp_lt_i32_e32 vcc, 2, v25
	s_mov_b64 s[48:49], 0
	s_mov_b64 s[58:59], 0
                                        ; implicit-def: $sgpr8_sgpr9
                                        ; implicit-def: $sgpr50_sgpr51
                                        ; implicit-def: $sgpr52_sgpr53
	s_and_saveexec_b64 s[54:55], vcc
	s_xor_b64 s[54:55], exec, s[54:55]
	s_cbranch_execz .LBB64_25
; %bb.16:                               ;   in Loop: Header=BB64_3 Depth=1
	v_cmp_lt_i32_e32 vcc, 3, v25
	s_mov_b64 s[52:53], -1
                                        ; implicit-def: $sgpr8_sgpr9
                                        ; implicit-def: $sgpr56_sgpr57
	s_and_saveexec_b64 s[50:51], vcc
	s_cbranch_execz .LBB64_20
; %bb.17:                               ;   in Loop: Header=BB64_3 Depth=1
	s_waitcnt vmcnt(0)
	v_cmp_le_f32_e32 vcc, 0, v42
	v_cmp_ge_f32_e64 s[8:9], 1.0, v42
	s_and_b64 s[58:59], vcc, s[8:9]
	s_mov_b64 s[8:9], 0
	s_mov_b64 s[52:53], 0
	s_and_saveexec_b64 s[56:57], s[58:59]
	s_cbranch_execz .LBB64_19
; %bb.18:                               ;   in Loop: Header=BB64_3 Depth=1
	v_cvt_f32_u32_e32 v26, v33
	v_mov_b32_e32 v28, 0x2f800000
	v_mov_b32_e32 v27, s47
	;; [unrolled: 1-line block ×3, first 2 shown]
	v_fmac_f32_e32 v28, 0x2f800000, v26
	v_add_co_u32_e32 v26, vcc, s46, v10
	v_addc_co_u32_e32 v27, vcc, v11, v27, vcc
	v_cndmask_b32_e64 v27, 0, v27, s[6:7]
	v_cndmask_b32_e64 v26, 0, v26, s[6:7]
	v_lshlrev_b64 v[26:27], 1, v[26:27]
	v_add_co_u32_e32 v26, vcc, s10, v26
	v_addc_co_u32_e32 v27, vcc, v29, v27, vcc
	v_cmp_le_f32_e32 vcc, v28, v42
	s_mov_b64 s[52:53], exec
	v_cndmask_b32_e64 v28, 0, 1, vcc
	global_store_short v[26:27], v28, off
.LBB64_19:                              ;   in Loop: Header=BB64_3 Depth=1
	s_or_b64 exec, exec, s[56:57]
	s_mov_b64 s[56:57], -1
	s_orn2_b64 s[52:53], s[52:53], exec
.LBB64_20:                              ;   in Loop: Header=BB64_3 Depth=1
	s_or_b64 exec, exec, s[50:51]
	s_mov_b64 s[6:7], 0
	s_mov_b64 s[58:59], s[8:9]
	s_and_saveexec_b64 s[50:51], s[52:53]
	s_cbranch_execz .LBB64_24
; %bb.21:                               ;   in Loop: Header=BB64_3 Depth=1
	s_waitcnt vmcnt(1)
	v_cmp_le_f32_e32 vcc, 0, v41
	v_cmp_ge_f32_e64 s[6:7], 1.0, v41
	s_and_b64 s[52:53], vcc, s[6:7]
	s_mov_b64 s[6:7], 0
	s_and_saveexec_b64 s[58:59], s[52:53]
	s_xor_b64 s[52:53], exec, s[58:59]
	s_cbranch_execz .LBB64_23
; %bb.22:                               ;   in Loop: Header=BB64_3 Depth=1
	v_cvt_f32_u32_e32 v24, v24
	v_mov_b32_e32 v28, 0x2f800000
	v_mov_b32_e32 v26, s47
	s_mov_b64 s[6:7], exec
	v_fmac_f32_e32 v28, 0x2f800000, v24
	v_add_co_u32_e32 v24, vcc, s46, v8
	v_addc_co_u32_e32 v26, vcc, v9, v26, vcc
	v_cndmask_b32_e64 v27, 0, v26, s[4:5]
	v_cndmask_b32_e64 v26, 0, v24, s[4:5]
	v_lshlrev_b64 v[26:27], 1, v[26:27]
	v_mov_b32_e32 v24, s11
	v_add_co_u32_e32 v26, vcc, s10, v26
	v_addc_co_u32_e32 v27, vcc, v24, v27, vcc
	v_cmp_le_f32_e32 vcc, v28, v41
	v_cndmask_b32_e64 v24, 0, 1, vcc
	global_store_short v[26:27], v24, off
.LBB64_23:                              ;   in Loop: Header=BB64_3 Depth=1
	s_or_b64 exec, exec, s[52:53]
	s_andn2_b64 s[58:59], s[8:9], exec
	s_or_b64 s[8:9], s[8:9], exec
	s_andn2_b64 s[56:57], s[56:57], exec
	s_and_b64 s[6:7], s[6:7], exec
.LBB64_24:                              ;   in Loop: Header=BB64_3 Depth=1
	s_or_b64 exec, exec, s[50:51]
	s_and_b64 s[52:53], s[58:59], exec
	s_and_b64 s[50:51], s[8:9], exec
	;; [unrolled: 1-line block ×4, first 2 shown]
.LBB64_25:                              ;   in Loop: Header=BB64_3 Depth=1
	s_andn2_saveexec_b64 s[4:5], s[54:55]
; %bb.26:                               ;   in Loop: Header=BB64_3 Depth=1
	v_cmp_lt_i32_e32 vcc, 1, v25
	s_andn2_b64 s[6:7], s[58:59], exec
	s_and_b64 s[54:55], vcc, exec
	s_mov_b64 s[48:49], exec
	s_andn2_b64 s[52:53], s[52:53], exec
	s_andn2_b64 s[50:51], s[50:51], exec
	;; [unrolled: 1-line block ×3, first 2 shown]
	s_or_b64 s[58:59], s[6:7], s[54:55]
; %bb.27:                               ;   in Loop: Header=BB64_3 Depth=1
	s_or_b64 exec, exec, s[4:5]
	s_mov_b64 s[6:7], 0
	s_mov_b64 s[54:55], 0
	;; [unrolled: 1-line block ×3, first 2 shown]
	s_and_saveexec_b64 s[56:57], s[58:59]
	s_cbranch_execnz .LBB64_30
; %bb.28:                               ;   in Loop: Header=BB64_3 Depth=1
	s_or_b64 exec, exec, s[56:57]
	s_and_saveexec_b64 s[2:3], s[48:49]
	s_cbranch_execnz .LBB64_33
.LBB64_29:                              ;   in Loop: Header=BB64_3 Depth=1
	s_or_b64 exec, exec, s[2:3]
	s_and_saveexec_b64 s[48:49], s[54:55]
	s_cbranch_execnz .LBB64_34
	s_branch .LBB64_37
.LBB64_30:                              ;   in Loop: Header=BB64_3 Depth=1
	s_waitcnt vmcnt(2)
	v_cmp_le_f32_e32 vcc, 0, v40
	v_cmp_ge_f32_e64 s[4:5], 1.0, v40
	s_and_b64 s[4:5], vcc, s[4:5]
	s_and_saveexec_b64 s[58:59], s[4:5]
	s_xor_b64 s[4:5], exec, s[58:59]
	s_cbranch_execz .LBB64_32
; %bb.31:                               ;   in Loop: Header=BB64_3 Depth=1
	v_cvt_f32_u32_e32 v23, v23
	v_mov_b32_e32 v24, 0x2f800000
	v_mov_b32_e32 v26, s47
	s_mov_b64 s[54:55], exec
	v_fmac_f32_e32 v24, 0x2f800000, v23
	v_add_co_u32_e32 v23, vcc, s46, v6
	v_addc_co_u32_e32 v26, vcc, v7, v26, vcc
	v_cndmask_b32_e64 v27, 0, v26, s[2:3]
	v_cndmask_b32_e64 v26, 0, v23, s[2:3]
	v_lshlrev_b64 v[26:27], 1, v[26:27]
	v_mov_b32_e32 v23, s11
	v_add_co_u32_e32 v26, vcc, s10, v26
	v_addc_co_u32_e32 v27, vcc, v23, v27, vcc
	v_cmp_le_f32_e32 vcc, v24, v40
	v_cndmask_b32_e64 v23, 0, 1, vcc
	global_store_short v[26:27], v23, off
.LBB64_32:                              ;   in Loop: Header=BB64_3 Depth=1
	s_or_b64 exec, exec, s[4:5]
	s_andn2_b64 s[4:5], s[52:53], exec
	s_or_b64 s[52:53], s[52:53], exec
	s_andn2_b64 s[50:51], s[50:51], exec
	s_andn2_b64 s[8:9], s[8:9], exec
	s_and_b64 s[54:55], s[54:55], exec
	s_andn2_b64 s[48:49], s[48:49], exec
	s_or_b64 exec, exec, s[56:57]
	s_and_saveexec_b64 s[2:3], s[48:49]
	s_cbranch_execz .LBB64_29
.LBB64_33:                              ;   in Loop: Header=BB64_3 Depth=1
	v_cmp_eq_u32_e32 vcc, 1, v25
	s_andn2_b64 s[48:49], s[54:55], exec
	s_and_b64 s[54:55], vcc, exec
	s_mov_b64 s[6:7], exec
	s_andn2_b64 s[4:5], s[4:5], exec
	s_andn2_b64 s[52:53], s[52:53], exec
	s_andn2_b64 s[50:51], s[50:51], exec
	s_andn2_b64 s[8:9], s[8:9], exec
	s_or_b64 s[54:55], s[48:49], s[54:55]
	s_or_b64 exec, exec, s[2:3]
	s_and_saveexec_b64 s[48:49], s[54:55]
	s_cbranch_execz .LBB64_37
.LBB64_34:                              ;   in Loop: Header=BB64_3 Depth=1
	s_waitcnt vmcnt(3)
	v_cmp_le_f32_e32 vcc, 0, v39
	v_cmp_ge_f32_e64 s[2:3], 1.0, v39
	s_and_b64 s[56:57], vcc, s[2:3]
	s_mov_b64 s[2:3], 0
	s_and_saveexec_b64 s[54:55], s[56:57]
	s_cbranch_execz .LBB64_36
; %bb.35:                               ;   in Loop: Header=BB64_3 Depth=1
	v_cvt_f32_u32_e32 v22, v22
	v_mov_b32_e32 v24, 0x2f800000
	v_mov_b32_e32 v23, s47
	;; [unrolled: 1-line block ×3, first 2 shown]
	v_fmac_f32_e32 v24, 0x2f800000, v22
	v_add_co_u32_e32 v22, vcc, s46, v12
	v_addc_co_u32_e32 v23, vcc, v13, v23, vcc
	v_cndmask_b32_e64 v23, 0, v23, s[0:1]
	v_cndmask_b32_e64 v22, 0, v22, s[0:1]
	v_lshlrev_b64 v[22:23], 1, v[22:23]
	v_add_co_u32_e32 v22, vcc, s10, v22
	v_addc_co_u32_e32 v23, vcc, v25, v23, vcc
	v_cmp_le_f32_e32 vcc, v24, v39
	s_mov_b64 s[2:3], exec
	v_cndmask_b32_e64 v24, 0, 1, vcc
	global_store_short v[22:23], v24, off
.LBB64_36:                              ;   in Loop: Header=BB64_3 Depth=1
	s_or_b64 exec, exec, s[54:55]
	s_andn2_b64 s[0:1], s[6:7], exec
	s_and_b64 s[2:3], s[2:3], exec
	s_or_b64 s[4:5], s[4:5], exec
	s_andn2_b64 s[52:53], s[52:53], exec
	s_andn2_b64 s[50:51], s[50:51], exec
	;; [unrolled: 1-line block ×3, first 2 shown]
	s_or_b64 s[6:7], s[0:1], s[2:3]
.LBB64_37:                              ;   in Loop: Header=BB64_3 Depth=1
	s_or_b64 exec, exec, s[48:49]
	s_andn2_b64 s[2:3], s[44:45], exec
	s_and_b64 s[4:5], s[4:5], exec
	s_or_b64 s[44:45], s[2:3], s[4:5]
	s_andn2_b64 s[2:3], s[40:41], exec
	s_and_b64 s[4:5], s[52:53], exec
	s_or_b64 s[40:41], s[2:3], s[4:5]
	;; [unrolled: 3-line block ×3, first 2 shown]
	s_andn2_b64 s[2:3], s[36:37], exec
	s_and_b64 s[4:5], s[8:9], exec
	s_mov_b64 s[0:1], -1
	s_or_b64 s[36:37], s[2:3], s[4:5]
	s_and_saveexec_b64 s[2:3], s[6:7]
	s_cbranch_execz .LBB64_2
; %bb.38:                               ;   in Loop: Header=BB64_3 Depth=1
	v_mov_b32_e32 v22, s61
	v_add_co_u32_e32 v0, vcc, s60, v0
	s_add_u32 s46, s46, s63
	v_addc_co_u32_e32 v1, vcc, v1, v22, vcc
	s_addc_u32 s47, s47, s62
	s_add_u32 s42, s42, s65
	v_cmp_le_u64_e32 vcc, s[12:13], v[0:1]
	v_subrev_u32_e32 v3, s60, v3
	s_addc_u32 s43, s43, s64
	s_andn2_b64 s[44:45], s[44:45], exec
	s_andn2_b64 s[40:41], s[40:41], exec
	;; [unrolled: 1-line block ×4, first 2 shown]
	s_orn2_b64 s[0:1], vcc, exec
	s_branch .LBB64_2
.LBB64_39:
	s_or_b64 exec, exec, s[26:27]
	s_xor_b64 s[6:7], s[34:35], -1
	s_xor_b64 s[8:9], s[30:31], -1
	;; [unrolled: 1-line block ×3, first 2 shown]
	s_mov_b64 s[2:3], 0
	s_and_saveexec_b64 s[4:5], s[0:1]
	s_xor_b64 s[0:1], exec, s[4:5]
	s_cbranch_execnz .LBB64_44
; %bb.40:
	s_andn2_saveexec_b64 s[0:1], s[0:1]
	s_cbranch_execnz .LBB64_52
.LBB64_41:
	s_or_b64 exec, exec, s[0:1]
	s_and_b64 exec, exec, s[2:3]
.LBB64_42:
	; divergent unreachable
.LBB64_43:
	s_endpgm
.LBB64_44:
	s_mov_b64 s[4:5], 0
	s_and_saveexec_b64 s[2:3], s[8:9]
	s_xor_b64 s[2:3], exec, s[2:3]
	s_cbranch_execz .LBB64_50
; %bb.45:
	s_and_saveexec_b64 s[8:9], s[6:7]
	s_xor_b64 s[6:7], exec, s[8:9]
	s_cbranch_execz .LBB64_48
; %bb.46:
	s_and_saveexec_b64 s[8:9], s[24:25]
	s_xor_b64 s[8:9], exec, s[8:9]
	s_cbranch_execnz .LBB64_55
.LBB64_47:
	s_or_b64 exec, exec, s[8:9]
	s_and_b64 s[4:5], s[4:5], exec
.LBB64_48:
	s_andn2_saveexec_b64 s[6:7], s[6:7]
	s_cbranch_execnz .LBB64_54
.LBB64_49:
	s_or_b64 exec, exec, s[6:7]
	s_and_b64 s[4:5], s[4:5], exec
.LBB64_50:
	s_andn2_saveexec_b64 s[2:3], s[2:3]
	s_cbranch_execnz .LBB64_53
.LBB64_51:
	s_or_b64 exec, exec, s[2:3]
	s_and_b64 s[2:3], s[4:5], exec
	s_andn2_saveexec_b64 s[0:1], s[0:1]
	s_cbranch_execz .LBB64_41
.LBB64_52:
	s_or_b64 s[2:3], s[2:3], exec
	s_trap 2
	s_or_b64 exec, exec, s[0:1]
	s_and_b64 exec, exec, s[2:3]
	s_cbranch_execnz .LBB64_42
	s_branch .LBB64_43
.LBB64_53:
	s_or_b64 s[4:5], s[4:5], exec
	s_trap 2
	s_branch .LBB64_51
.LBB64_54:
	s_trap 2
	s_or_b64 s[4:5], s[4:5], exec
	s_branch .LBB64_49
.LBB64_55:
	s_mov_b64 s[4:5], exec
	s_trap 2
	s_branch .LBB64_47
	.section	.rodata,"a",@progbits
	.p2align	6, 0x0
	.amdhsa_kernel _ZN2at4cuda12_GLOBAL__N_121kernelPointwiseApply2IZNS_6native9templates4cuda28bernoulli_tensor_cuda_kernelIsfEEvRKNS_10TensorBaseES9_NS_15PhiloxCudaStateEEUliRsSB_SB_SB_RKfSD_SD_SD_E_sSC_mLi1ELi1ELi4ELi512ELi2EEEvNS0_6detail10TensorInfoIT0_T2_EENSG_IT1_SI_EESI_T_
		.amdhsa_group_segment_fixed_size 0
		.amdhsa_private_segment_fixed_size 0
		.amdhsa_kernarg_size 1128
		.amdhsa_user_sgpr_count 6
		.amdhsa_user_sgpr_private_segment_buffer 1
		.amdhsa_user_sgpr_dispatch_ptr 0
		.amdhsa_user_sgpr_queue_ptr 0
		.amdhsa_user_sgpr_kernarg_segment_ptr 1
		.amdhsa_user_sgpr_dispatch_id 0
		.amdhsa_user_sgpr_flat_scratch_init 0
		.amdhsa_user_sgpr_kernarg_preload_length 0
		.amdhsa_user_sgpr_kernarg_preload_offset 0
		.amdhsa_user_sgpr_private_segment_size 0
		.amdhsa_uses_dynamic_stack 0
		.amdhsa_system_sgpr_private_segment_wavefront_offset 0
		.amdhsa_system_sgpr_workgroup_id_x 1
		.amdhsa_system_sgpr_workgroup_id_y 0
		.amdhsa_system_sgpr_workgroup_id_z 0
		.amdhsa_system_sgpr_workgroup_info 0
		.amdhsa_system_vgpr_workitem_id 0
		.amdhsa_next_free_vgpr 61
		.amdhsa_next_free_sgpr 67
		.amdhsa_accum_offset 64
		.amdhsa_reserve_vcc 1
		.amdhsa_reserve_flat_scratch 0
		.amdhsa_float_round_mode_32 0
		.amdhsa_float_round_mode_16_64 0
		.amdhsa_float_denorm_mode_32 3
		.amdhsa_float_denorm_mode_16_64 3
		.amdhsa_dx10_clamp 1
		.amdhsa_ieee_mode 1
		.amdhsa_fp16_overflow 0
		.amdhsa_tg_split 0
		.amdhsa_exception_fp_ieee_invalid_op 0
		.amdhsa_exception_fp_denorm_src 0
		.amdhsa_exception_fp_ieee_div_zero 0
		.amdhsa_exception_fp_ieee_overflow 0
		.amdhsa_exception_fp_ieee_underflow 0
		.amdhsa_exception_fp_ieee_inexact 0
		.amdhsa_exception_int_div_zero 0
	.end_amdhsa_kernel
	.section	.text._ZN2at4cuda12_GLOBAL__N_121kernelPointwiseApply2IZNS_6native9templates4cuda28bernoulli_tensor_cuda_kernelIsfEEvRKNS_10TensorBaseES9_NS_15PhiloxCudaStateEEUliRsSB_SB_SB_RKfSD_SD_SD_E_sSC_mLi1ELi1ELi4ELi512ELi2EEEvNS0_6detail10TensorInfoIT0_T2_EENSG_IT1_SI_EESI_T_,"axG",@progbits,_ZN2at4cuda12_GLOBAL__N_121kernelPointwiseApply2IZNS_6native9templates4cuda28bernoulli_tensor_cuda_kernelIsfEEvRKNS_10TensorBaseES9_NS_15PhiloxCudaStateEEUliRsSB_SB_SB_RKfSD_SD_SD_E_sSC_mLi1ELi1ELi4ELi512ELi2EEEvNS0_6detail10TensorInfoIT0_T2_EENSG_IT1_SI_EESI_T_,comdat
.Lfunc_end64:
	.size	_ZN2at4cuda12_GLOBAL__N_121kernelPointwiseApply2IZNS_6native9templates4cuda28bernoulli_tensor_cuda_kernelIsfEEvRKNS_10TensorBaseES9_NS_15PhiloxCudaStateEEUliRsSB_SB_SB_RKfSD_SD_SD_E_sSC_mLi1ELi1ELi4ELi512ELi2EEEvNS0_6detail10TensorInfoIT0_T2_EENSG_IT1_SI_EESI_T_, .Lfunc_end64-_ZN2at4cuda12_GLOBAL__N_121kernelPointwiseApply2IZNS_6native9templates4cuda28bernoulli_tensor_cuda_kernelIsfEEvRKNS_10TensorBaseES9_NS_15PhiloxCudaStateEEUliRsSB_SB_SB_RKfSD_SD_SD_E_sSC_mLi1ELi1ELi4ELi512ELi2EEEvNS0_6detail10TensorInfoIT0_T2_EENSG_IT1_SI_EESI_T_
                                        ; -- End function
	.section	.AMDGPU.csdata,"",@progbits
; Kernel info:
; codeLenInByte = 2916
; NumSgprs: 71
; NumVgprs: 61
; NumAgprs: 0
; TotalNumVgprs: 61
; ScratchSize: 0
; MemoryBound: 0
; FloatMode: 240
; IeeeMode: 1
; LDSByteSize: 0 bytes/workgroup (compile time only)
; SGPRBlocks: 8
; VGPRBlocks: 7
; NumSGPRsForWavesPerEU: 71
; NumVGPRsForWavesPerEU: 61
; AccumOffset: 64
; Occupancy: 8
; WaveLimiterHint : 1
; COMPUTE_PGM_RSRC2:SCRATCH_EN: 0
; COMPUTE_PGM_RSRC2:USER_SGPR: 6
; COMPUTE_PGM_RSRC2:TRAP_HANDLER: 0
; COMPUTE_PGM_RSRC2:TGID_X_EN: 1
; COMPUTE_PGM_RSRC2:TGID_Y_EN: 0
; COMPUTE_PGM_RSRC2:TGID_Z_EN: 0
; COMPUTE_PGM_RSRC2:TIDIG_COMP_CNT: 0
; COMPUTE_PGM_RSRC3_GFX90A:ACCUM_OFFSET: 15
; COMPUTE_PGM_RSRC3_GFX90A:TG_SPLIT: 0
	.section	.text._ZN2at4cuda12_GLOBAL__N_121kernelPointwiseApply2IZNS_6native9templates4cuda28bernoulli_tensor_cuda_kernelIsfEEvRKNS_10TensorBaseES9_NS_15PhiloxCudaStateEEUliRsSB_SB_SB_RKfSD_SD_SD_E_sSC_mLin1ELin1ELi4ELi512ELi2EEEvNS0_6detail10TensorInfoIT0_T2_EENSG_IT1_SI_EESI_T_,"axG",@progbits,_ZN2at4cuda12_GLOBAL__N_121kernelPointwiseApply2IZNS_6native9templates4cuda28bernoulli_tensor_cuda_kernelIsfEEvRKNS_10TensorBaseES9_NS_15PhiloxCudaStateEEUliRsSB_SB_SB_RKfSD_SD_SD_E_sSC_mLin1ELin1ELi4ELi512ELi2EEEvNS0_6detail10TensorInfoIT0_T2_EENSG_IT1_SI_EESI_T_,comdat
	.globl	_ZN2at4cuda12_GLOBAL__N_121kernelPointwiseApply2IZNS_6native9templates4cuda28bernoulli_tensor_cuda_kernelIsfEEvRKNS_10TensorBaseES9_NS_15PhiloxCudaStateEEUliRsSB_SB_SB_RKfSD_SD_SD_E_sSC_mLin1ELin1ELi4ELi512ELi2EEEvNS0_6detail10TensorInfoIT0_T2_EENSG_IT1_SI_EESI_T_ ; -- Begin function _ZN2at4cuda12_GLOBAL__N_121kernelPointwiseApply2IZNS_6native9templates4cuda28bernoulli_tensor_cuda_kernelIsfEEvRKNS_10TensorBaseES9_NS_15PhiloxCudaStateEEUliRsSB_SB_SB_RKfSD_SD_SD_E_sSC_mLin1ELin1ELi4ELi512ELi2EEEvNS0_6detail10TensorInfoIT0_T2_EENSG_IT1_SI_EESI_T_
	.p2align	8
	.type	_ZN2at4cuda12_GLOBAL__N_121kernelPointwiseApply2IZNS_6native9templates4cuda28bernoulli_tensor_cuda_kernelIsfEEvRKNS_10TensorBaseES9_NS_15PhiloxCudaStateEEUliRsSB_SB_SB_RKfSD_SD_SD_E_sSC_mLin1ELin1ELi4ELi512ELi2EEEvNS0_6detail10TensorInfoIT0_T2_EENSG_IT1_SI_EESI_T_,@function
_ZN2at4cuda12_GLOBAL__N_121kernelPointwiseApply2IZNS_6native9templates4cuda28bernoulli_tensor_cuda_kernelIsfEEvRKNS_10TensorBaseES9_NS_15PhiloxCudaStateEEUliRsSB_SB_SB_RKfSD_SD_SD_E_sSC_mLin1ELin1ELi4ELi512ELi2EEEvNS0_6detail10TensorInfoIT0_T2_EENSG_IT1_SI_EESI_T_: ; @_ZN2at4cuda12_GLOBAL__N_121kernelPointwiseApply2IZNS_6native9templates4cuda28bernoulli_tensor_cuda_kernelIsfEEvRKNS_10TensorBaseES9_NS_15PhiloxCudaStateEEUliRsSB_SB_SB_RKfSD_SD_SD_E_sSC_mLin1ELin1ELi4ELi512ELi2EEEvNS0_6detail10TensorInfoIT0_T2_EENSG_IT1_SI_EESI_T_
; %bb.0:
	s_load_dword s2, s[4:5], 0x374
	s_load_dwordx8 s[8:15], s[4:5], 0x340
	s_add_u32 s0, s4, 0x368
	s_addc_u32 s1, s5, 0
	v_mov_b32_e32 v2, 0
	s_waitcnt lgkmcnt(0)
	s_and_b32 s2, s2, 0xffff
	s_mul_i32 s6, s6, s2
	v_add_u32_e32 v7, s6, v0
	v_lshlrev_b32_e32 v0, 2, v7
	v_mov_b32_e32 v1, v2
	v_cmp_gt_u64_e32 vcc, s[8:9], v[0:1]
	s_and_saveexec_b64 s[6:7], vcc
	s_cbranch_execz .LBB65_114
; %bb.1:
	s_load_dword s0, s[0:1], 0x0
	s_add_u32 s6, s4, 0x1a0
	s_load_dword s7, s[4:5], 0x198
	s_load_dwordx2 s[20:21], s[4:5], 0x270
	s_addc_u32 s28, s5, 0
	s_waitcnt lgkmcnt(0)
	s_mul_i32 s29, s0, s2
	s_load_dword s2, s[4:5], 0x360
	s_load_dword s34, s[4:5], 0x338
	s_load_dwordx2 s[16:17], s[4:5], 0x1a0
	s_load_dwordx2 s[18:19], s[4:5], 0xd0
	;; [unrolled: 1-line block ×3, first 2 shown]
	s_cmp_gt_i32 s7, 1
	s_cselect_b64 s[0:1], -1, 0
	s_waitcnt lgkmcnt(0)
	s_cmp_gt_i32 s34, 1
	s_mov_b32 s33, 0xcd9e8d57
	s_cselect_b64 s[22:23], -1, 0
	s_bitcmp1_b32 s2, 0
	v_mad_u64_u32 v[4:5], s[2:3], v7, s33, 0
	s_mov_b32 s63, 0
	s_cselect_b64 s[26:27], -1, 0
	s_add_i32 s2, s7, -1
	s_mov_b32 s3, s63
	s_lshl_b32 s62, s29, 2
	s_add_i32 s64, s7, 1
	s_lshl_b64 s[2:3], s[2:3], 3
	s_add_u32 s2, s2, s4
	s_addc_u32 s3, s3, s5
	s_add_u32 s30, s2, 8
	s_addc_u32 s31, s3, 0
	s_add_i32 s2, s34, -1
	s_mov_b32 s3, s63
	s_add_i32 s65, s34, 1
	s_lshl_b64 s[2:3], s[2:3], 3
	s_add_u32 s2, s2, s6
	s_addc_u32 s3, s3, s28
	s_add_u32 s34, s2, 8
	v_mov_b32_e32 v6, v5
	s_addc_u32 s35, s3, 0
	s_mov_b64 s[36:37], 0
	v_cndmask_b32_e64 v5, 0, 1, s[0:1]
	s_mov_b32 s66, 0xd2511f53
	s_mov_b32 s67, 0xf1bbcdc8
                                        ; implicit-def: $sgpr38_sgpr39
                                        ; implicit-def: $sgpr40_sgpr41
                                        ; implicit-def: $sgpr42_sgpr43
                                        ; implicit-def: $sgpr28_sgpr29
                                        ; implicit-def: $sgpr44_sgpr45
                                        ; implicit-def: $sgpr46_sgpr47
                                        ; implicit-def: $sgpr48_sgpr49
                                        ; implicit-def: $sgpr50_sgpr51
	s_branch .LBB65_3
.LBB65_2:                               ;   in Loop: Header=BB65_3 Depth=1
	s_or_b64 exec, exec, s[2:3]
	s_and_b64 s[0:1], exec, s[0:1]
	s_or_b64 s[36:37], s[0:1], s[36:37]
	s_andn2_b64 s[0:1], s[28:29], exec
	s_and_b64 s[2:3], s[50:51], exec
	s_or_b64 s[28:29], s[0:1], s[2:3]
	s_andn2_b64 s[0:1], s[42:43], exec
	s_and_b64 s[2:3], s[48:49], exec
	;; [unrolled: 3-line block ×4, first 2 shown]
	s_or_b64 s[38:39], s[0:1], s[2:3]
	s_andn2_b64 exec, exec, s[36:37]
	s_cbranch_execz .LBB65_110
.LBB65_3:                               ; =>This Loop Header: Depth=1
                                        ;     Child Loop BB65_5 Depth 2
                                        ;     Child Loop BB65_14 Depth 2
	;; [unrolled: 1-line block ×8, first 2 shown]
	v_sub_u32_e32 v32, s8, v0
	v_cmp_lt_i32_e64 s[4:5], 0, v32
	v_pk_mov_b32 v[8:9], 0, 0
	v_cmp_ne_u32_e64 s[0:1], 1, v5
	s_and_saveexec_b64 s[6:7], s[4:5]
	s_cbranch_execz .LBB65_12
; %bb.4:                                ;   in Loop: Header=BB65_3 Depth=1
	s_and_b64 vcc, exec, s[0:1]
	v_pk_mov_b32 v[8:9], 0, 0
	s_mov_b64 s[52:53], s[30:31]
	s_mov_b32 s58, s64
	v_pk_mov_b32 v[10:11], v[0:1], v[0:1] op_sel:[0,1]
	v_pk_mov_b32 v[12:13], v[0:1], v[0:1] op_sel:[0,1]
	s_cbranch_vccnz .LBB65_11
.LBB65_5:                               ;   Parent Loop BB65_3 Depth=1
                                        ; =>  This Inner Loop Header: Depth=2
	s_load_dwordx2 s[54:55], s[52:53], 0x0
                                        ; implicit-def: $vgpr12_vgpr13
	s_waitcnt vmcnt(3) lgkmcnt(0)
	v_or_b32_e32 v3, s55, v11
	v_cmp_ne_u64_e32 vcc, 0, v[2:3]
	s_and_saveexec_b64 s[2:3], vcc
	s_xor_b64 s[56:57], exec, s[2:3]
	s_cbranch_execz .LBB65_7
; %bb.6:                                ;   in Loop: Header=BB65_5 Depth=2
	v_cvt_f32_u32_e32 v3, s54
	v_cvt_f32_u32_e32 v12, s55
	s_sub_u32 s2, 0, s54
	s_subb_u32 s3, 0, s55
	v_mac_f32_e32 v3, 0x4f800000, v12
	v_rcp_f32_e32 v3, v3
	v_mul_f32_e32 v3, 0x5f7ffffc, v3
	v_mul_f32_e32 v12, 0x2f800000, v3
	v_trunc_f32_e32 v12, v12
	v_mac_f32_e32 v3, 0xcf800000, v12
	v_cvt_u32_f32_e32 v12, v12
	v_cvt_u32_f32_e32 v3, v3
	v_mul_lo_u32 v13, s2, v12
	v_mul_hi_u32 v15, s2, v3
	v_mul_lo_u32 v14, s3, v3
	v_add_u32_e32 v13, v15, v13
	v_mul_lo_u32 v16, s2, v3
	v_add_u32_e32 v13, v13, v14
	v_mul_hi_u32 v15, v3, v16
	v_mul_lo_u32 v17, v3, v13
	v_mul_hi_u32 v14, v3, v13
	v_add_co_u32_e32 v15, vcc, v15, v17
	v_addc_co_u32_e32 v14, vcc, 0, v14, vcc
	v_mul_hi_u32 v18, v12, v16
	v_mul_lo_u32 v16, v12, v16
	v_add_co_u32_e32 v15, vcc, v15, v16
	v_mul_hi_u32 v17, v12, v13
	v_addc_co_u32_e32 v14, vcc, v14, v18, vcc
	v_addc_co_u32_e32 v15, vcc, 0, v17, vcc
	v_mul_lo_u32 v13, v12, v13
	v_add_co_u32_e32 v13, vcc, v14, v13
	v_addc_co_u32_e32 v14, vcc, 0, v15, vcc
	v_add_co_u32_e32 v3, vcc, v3, v13
	v_addc_co_u32_e32 v12, vcc, v12, v14, vcc
	v_mul_lo_u32 v13, s2, v12
	v_mul_hi_u32 v14, s2, v3
	v_add_u32_e32 v13, v14, v13
	v_mul_lo_u32 v14, s3, v3
	v_add_u32_e32 v13, v13, v14
	v_mul_lo_u32 v15, s2, v3
	v_mul_hi_u32 v16, v12, v15
	v_mul_lo_u32 v17, v12, v15
	v_mul_lo_u32 v19, v3, v13
	v_mul_hi_u32 v15, v3, v15
	v_mul_hi_u32 v18, v3, v13
	v_add_co_u32_e32 v15, vcc, v15, v19
	v_addc_co_u32_e32 v18, vcc, 0, v18, vcc
	v_add_co_u32_e32 v15, vcc, v15, v17
	v_mul_hi_u32 v14, v12, v13
	v_addc_co_u32_e32 v15, vcc, v18, v16, vcc
	v_addc_co_u32_e32 v14, vcc, 0, v14, vcc
	v_mul_lo_u32 v13, v12, v13
	v_add_co_u32_e32 v13, vcc, v15, v13
	v_addc_co_u32_e32 v14, vcc, 0, v14, vcc
	v_add_co_u32_e32 v3, vcc, v3, v13
	v_addc_co_u32_e32 v14, vcc, v12, v14, vcc
	v_mad_u64_u32 v[12:13], s[2:3], v10, v14, 0
	v_mul_hi_u32 v15, v10, v3
	v_add_co_u32_e32 v16, vcc, v15, v12
	v_addc_co_u32_e32 v17, vcc, 0, v13, vcc
	v_mad_u64_u32 v[12:13], s[2:3], v11, v14, 0
	v_mad_u64_u32 v[14:15], s[2:3], v11, v3, 0
	v_add_co_u32_e32 v3, vcc, v16, v14
	v_addc_co_u32_e32 v3, vcc, v17, v15, vcc
	v_addc_co_u32_e32 v13, vcc, 0, v13, vcc
	v_add_co_u32_e32 v3, vcc, v3, v12
	v_addc_co_u32_e32 v14, vcc, 0, v13, vcc
	v_mul_lo_u32 v15, s55, v3
	v_mul_lo_u32 v16, s54, v14
	v_mad_u64_u32 v[12:13], s[2:3], s54, v3, 0
	v_add3_u32 v13, v13, v16, v15
	v_sub_u32_e32 v15, v11, v13
	v_mov_b32_e32 v16, s55
	v_sub_co_u32_e32 v12, vcc, v10, v12
	v_subb_co_u32_e64 v15, s[2:3], v15, v16, vcc
	v_subrev_co_u32_e64 v16, s[2:3], s54, v12
	v_subbrev_co_u32_e64 v15, s[2:3], 0, v15, s[2:3]
	v_cmp_le_u32_e64 s[2:3], s55, v15
	v_cndmask_b32_e64 v17, 0, -1, s[2:3]
	v_cmp_le_u32_e64 s[2:3], s54, v16
	v_cndmask_b32_e64 v16, 0, -1, s[2:3]
	v_cmp_eq_u32_e64 s[2:3], s55, v15
	v_cndmask_b32_e64 v15, v17, v16, s[2:3]
	v_add_co_u32_e64 v16, s[2:3], 2, v3
	v_addc_co_u32_e64 v17, s[2:3], 0, v14, s[2:3]
	v_add_co_u32_e64 v18, s[2:3], 1, v3
	v_addc_co_u32_e64 v19, s[2:3], 0, v14, s[2:3]
	v_subb_co_u32_e32 v13, vcc, v11, v13, vcc
	v_cmp_ne_u32_e64 s[2:3], 0, v15
	v_cmp_le_u32_e32 vcc, s55, v13
	v_cndmask_b32_e64 v15, v19, v17, s[2:3]
	v_cndmask_b32_e64 v17, 0, -1, vcc
	v_cmp_le_u32_e32 vcc, s54, v12
	v_cndmask_b32_e64 v12, 0, -1, vcc
	v_cmp_eq_u32_e32 vcc, s55, v13
	v_cndmask_b32_e32 v12, v17, v12, vcc
	v_cmp_ne_u32_e32 vcc, 0, v12
	v_cndmask_b32_e64 v12, v18, v16, s[2:3]
	v_cndmask_b32_e32 v13, v14, v15, vcc
	v_cndmask_b32_e32 v12, v3, v12, vcc
.LBB65_7:                               ;   in Loop: Header=BB65_5 Depth=2
	s_andn2_saveexec_b64 s[2:3], s[56:57]
	s_cbranch_execz .LBB65_9
; %bb.8:                                ;   in Loop: Header=BB65_5 Depth=2
	v_cvt_f32_u32_e32 v3, s54
	s_sub_i32 s56, 0, s54
	v_rcp_iflag_f32_e32 v3, v3
	v_mul_f32_e32 v3, 0x4f7ffffe, v3
	v_cvt_u32_f32_e32 v3, v3
	v_mul_lo_u32 v12, s56, v3
	v_mul_hi_u32 v12, v3, v12
	v_add_u32_e32 v3, v3, v12
	v_mul_hi_u32 v3, v10, v3
	v_mul_lo_u32 v12, v3, s54
	v_sub_u32_e32 v12, v10, v12
	v_add_u32_e32 v13, 1, v3
	v_subrev_u32_e32 v14, s54, v12
	v_cmp_le_u32_e32 vcc, s54, v12
	v_cndmask_b32_e32 v12, v12, v14, vcc
	v_cndmask_b32_e32 v3, v3, v13, vcc
	v_add_u32_e32 v13, 1, v3
	v_cmp_le_u32_e32 vcc, s54, v12
	v_cndmask_b32_e32 v12, v3, v13, vcc
	v_mov_b32_e32 v13, v2
.LBB65_9:                               ;   in Loop: Header=BB65_5 Depth=2
	s_or_b64 exec, exec, s[2:3]
	v_mad_u64_u32 v[14:15], s[2:3], v12, s54, 0
	s_load_dwordx2 s[2:3], s[52:53], 0xc8
	v_mul_lo_u32 v3, v13, s54
	v_mul_lo_u32 v16, v12, s55
	v_add3_u32 v3, v15, v16, v3
	v_sub_co_u32_e32 v10, vcc, v10, v14
	s_add_i32 s58, s58, -1
	v_subb_co_u32_e32 v3, vcc, v11, v3, vcc
	s_add_u32 s52, s52, -8
	s_waitcnt lgkmcnt(0)
	v_mul_lo_u32 v3, s2, v3
	v_mul_lo_u32 v11, s3, v10
	v_mad_u64_u32 v[8:9], s[2:3], s2, v10, v[8:9]
	s_addc_u32 s53, s53, -1
	s_cmp_gt_u32 s58, 2
	v_add3_u32 v9, v11, v9, v3
	s_cbranch_scc0 .LBB65_11
; %bb.10:                               ;   in Loop: Header=BB65_5 Depth=2
	v_pk_mov_b32 v[10:11], v[12:13], v[12:13] op_sel:[0,1]
	s_branch .LBB65_5
.LBB65_11:                              ;   in Loop: Header=BB65_3 Depth=1
	v_mad_u64_u32 v[8:9], s[2:3], s18, v12, v[8:9]
	s_waitcnt vmcnt(3)
	v_mul_lo_u32 v3, s18, v13
	v_mul_lo_u32 v10, s19, v12
	v_add3_u32 v9, v10, v9, v3
.LBB65_12:                              ;   in Loop: Header=BB65_3 Depth=1
	s_or_b64 exec, exec, s[6:7]
	s_waitcnt vmcnt(3)
	v_cndmask_b32_e64 v3, 0, 1, s[22:23]
	v_pk_mov_b32 v[12:13], 0, 0
	v_cmp_ne_u32_e64 s[2:3], 1, v3
	s_and_saveexec_b64 s[6:7], s[4:5]
	s_cbranch_execz .LBB65_21
; %bb.13:                               ;   in Loop: Header=BB65_3 Depth=1
	s_and_b64 vcc, exec, s[2:3]
	v_pk_mov_b32 v[10:11], 0, 0
	s_mov_b64 s[52:53], s[34:35]
	s_mov_b32 s58, s65
	v_pk_mov_b32 v[12:13], v[0:1], v[0:1] op_sel:[0,1]
	v_pk_mov_b32 v[14:15], v[0:1], v[0:1] op_sel:[0,1]
	s_cbranch_vccnz .LBB65_20
.LBB65_14:                              ;   Parent Loop BB65_3 Depth=1
                                        ; =>  This Inner Loop Header: Depth=2
	s_load_dwordx2 s[54:55], s[52:53], 0x0
                                        ; implicit-def: $vgpr14_vgpr15
	s_waitcnt lgkmcnt(0)
	v_or_b32_e32 v3, s55, v13
	v_cmp_ne_u64_e32 vcc, 0, v[2:3]
	s_and_saveexec_b64 s[4:5], vcc
	s_xor_b64 s[56:57], exec, s[4:5]
	s_cbranch_execz .LBB65_16
; %bb.15:                               ;   in Loop: Header=BB65_14 Depth=2
	v_cvt_f32_u32_e32 v3, s54
	v_cvt_f32_u32_e32 v14, s55
	s_sub_u32 s4, 0, s54
	s_subb_u32 s5, 0, s55
	v_mac_f32_e32 v3, 0x4f800000, v14
	v_rcp_f32_e32 v3, v3
	v_mul_f32_e32 v3, 0x5f7ffffc, v3
	v_mul_f32_e32 v14, 0x2f800000, v3
	v_trunc_f32_e32 v14, v14
	v_mac_f32_e32 v3, 0xcf800000, v14
	v_cvt_u32_f32_e32 v14, v14
	v_cvt_u32_f32_e32 v3, v3
	v_mul_lo_u32 v15, s4, v14
	v_mul_hi_u32 v17, s4, v3
	v_mul_lo_u32 v16, s5, v3
	v_add_u32_e32 v15, v17, v15
	v_mul_lo_u32 v18, s4, v3
	v_add_u32_e32 v15, v15, v16
	v_mul_hi_u32 v17, v3, v18
	v_mul_lo_u32 v19, v3, v15
	v_mul_hi_u32 v16, v3, v15
	v_add_co_u32_e32 v17, vcc, v17, v19
	v_addc_co_u32_e32 v16, vcc, 0, v16, vcc
	v_mul_hi_u32 v20, v14, v18
	v_mul_lo_u32 v18, v14, v18
	v_add_co_u32_e32 v17, vcc, v17, v18
	v_mul_hi_u32 v19, v14, v15
	v_addc_co_u32_e32 v16, vcc, v16, v20, vcc
	v_addc_co_u32_e32 v17, vcc, 0, v19, vcc
	v_mul_lo_u32 v15, v14, v15
	v_add_co_u32_e32 v15, vcc, v16, v15
	v_addc_co_u32_e32 v16, vcc, 0, v17, vcc
	v_add_co_u32_e32 v3, vcc, v3, v15
	v_addc_co_u32_e32 v14, vcc, v14, v16, vcc
	v_mul_lo_u32 v15, s4, v14
	v_mul_hi_u32 v16, s4, v3
	v_add_u32_e32 v15, v16, v15
	v_mul_lo_u32 v16, s5, v3
	v_add_u32_e32 v15, v15, v16
	v_mul_lo_u32 v17, s4, v3
	v_mul_hi_u32 v18, v14, v17
	v_mul_lo_u32 v19, v14, v17
	v_mul_lo_u32 v21, v3, v15
	v_mul_hi_u32 v17, v3, v17
	v_mul_hi_u32 v20, v3, v15
	v_add_co_u32_e32 v17, vcc, v17, v21
	v_addc_co_u32_e32 v20, vcc, 0, v20, vcc
	v_add_co_u32_e32 v17, vcc, v17, v19
	v_mul_hi_u32 v16, v14, v15
	v_addc_co_u32_e32 v17, vcc, v20, v18, vcc
	v_addc_co_u32_e32 v16, vcc, 0, v16, vcc
	v_mul_lo_u32 v15, v14, v15
	v_add_co_u32_e32 v15, vcc, v17, v15
	v_addc_co_u32_e32 v16, vcc, 0, v16, vcc
	v_add_co_u32_e32 v3, vcc, v3, v15
	v_addc_co_u32_e32 v16, vcc, v14, v16, vcc
	v_mad_u64_u32 v[14:15], s[4:5], v12, v16, 0
	v_mul_hi_u32 v17, v12, v3
	v_add_co_u32_e32 v18, vcc, v17, v14
	v_addc_co_u32_e32 v19, vcc, 0, v15, vcc
	v_mad_u64_u32 v[14:15], s[4:5], v13, v16, 0
	v_mad_u64_u32 v[16:17], s[4:5], v13, v3, 0
	v_add_co_u32_e32 v3, vcc, v18, v16
	v_addc_co_u32_e32 v3, vcc, v19, v17, vcc
	v_addc_co_u32_e32 v15, vcc, 0, v15, vcc
	v_add_co_u32_e32 v3, vcc, v3, v14
	v_addc_co_u32_e32 v16, vcc, 0, v15, vcc
	v_mul_lo_u32 v17, s55, v3
	v_mul_lo_u32 v18, s54, v16
	v_mad_u64_u32 v[14:15], s[4:5], s54, v3, 0
	v_add3_u32 v15, v15, v18, v17
	v_sub_u32_e32 v17, v13, v15
	v_mov_b32_e32 v18, s55
	v_sub_co_u32_e32 v14, vcc, v12, v14
	v_subb_co_u32_e64 v17, s[4:5], v17, v18, vcc
	v_subrev_co_u32_e64 v18, s[4:5], s54, v14
	v_subbrev_co_u32_e64 v17, s[4:5], 0, v17, s[4:5]
	v_cmp_le_u32_e64 s[4:5], s55, v17
	v_cndmask_b32_e64 v19, 0, -1, s[4:5]
	v_cmp_le_u32_e64 s[4:5], s54, v18
	v_cndmask_b32_e64 v18, 0, -1, s[4:5]
	v_cmp_eq_u32_e64 s[4:5], s55, v17
	v_cndmask_b32_e64 v17, v19, v18, s[4:5]
	v_add_co_u32_e64 v18, s[4:5], 2, v3
	v_addc_co_u32_e64 v19, s[4:5], 0, v16, s[4:5]
	v_add_co_u32_e64 v20, s[4:5], 1, v3
	v_addc_co_u32_e64 v21, s[4:5], 0, v16, s[4:5]
	v_subb_co_u32_e32 v15, vcc, v13, v15, vcc
	v_cmp_ne_u32_e64 s[4:5], 0, v17
	v_cmp_le_u32_e32 vcc, s55, v15
	v_cndmask_b32_e64 v17, v21, v19, s[4:5]
	v_cndmask_b32_e64 v19, 0, -1, vcc
	v_cmp_le_u32_e32 vcc, s54, v14
	v_cndmask_b32_e64 v14, 0, -1, vcc
	v_cmp_eq_u32_e32 vcc, s55, v15
	v_cndmask_b32_e32 v14, v19, v14, vcc
	v_cmp_ne_u32_e32 vcc, 0, v14
	v_cndmask_b32_e64 v14, v20, v18, s[4:5]
	v_cndmask_b32_e32 v15, v16, v17, vcc
	v_cndmask_b32_e32 v14, v3, v14, vcc
.LBB65_16:                              ;   in Loop: Header=BB65_14 Depth=2
	s_andn2_saveexec_b64 s[4:5], s[56:57]
	s_cbranch_execz .LBB65_18
; %bb.17:                               ;   in Loop: Header=BB65_14 Depth=2
	v_cvt_f32_u32_e32 v3, s54
	s_sub_i32 s56, 0, s54
	v_rcp_iflag_f32_e32 v3, v3
	v_mul_f32_e32 v3, 0x4f7ffffe, v3
	v_cvt_u32_f32_e32 v3, v3
	v_mul_lo_u32 v14, s56, v3
	v_mul_hi_u32 v14, v3, v14
	v_add_u32_e32 v3, v3, v14
	v_mul_hi_u32 v3, v12, v3
	v_mul_lo_u32 v14, v3, s54
	v_sub_u32_e32 v14, v12, v14
	v_add_u32_e32 v15, 1, v3
	v_subrev_u32_e32 v16, s54, v14
	v_cmp_le_u32_e32 vcc, s54, v14
	v_cndmask_b32_e32 v14, v14, v16, vcc
	v_cndmask_b32_e32 v3, v3, v15, vcc
	v_add_u32_e32 v15, 1, v3
	v_cmp_le_u32_e32 vcc, s54, v14
	v_cndmask_b32_e32 v14, v3, v15, vcc
	v_mov_b32_e32 v15, v2
.LBB65_18:                              ;   in Loop: Header=BB65_14 Depth=2
	s_or_b64 exec, exec, s[4:5]
	v_mad_u64_u32 v[16:17], s[4:5], v14, s54, 0
	s_load_dwordx2 s[4:5], s[52:53], 0xc8
	v_mul_lo_u32 v3, v15, s54
	v_mul_lo_u32 v18, v14, s55
	v_add3_u32 v3, v17, v18, v3
	v_sub_co_u32_e32 v12, vcc, v12, v16
	s_add_i32 s58, s58, -1
	v_subb_co_u32_e32 v3, vcc, v13, v3, vcc
	s_add_u32 s52, s52, -8
	s_waitcnt lgkmcnt(0)
	v_mul_lo_u32 v3, s4, v3
	v_mul_lo_u32 v13, s5, v12
	v_mad_u64_u32 v[10:11], s[4:5], s4, v12, v[10:11]
	s_addc_u32 s53, s53, -1
	s_cmp_gt_u32 s58, 2
	v_add3_u32 v11, v13, v11, v3
	s_cbranch_scc0 .LBB65_20
; %bb.19:                               ;   in Loop: Header=BB65_14 Depth=2
	v_pk_mov_b32 v[12:13], v[14:15], v[14:15] op_sel:[0,1]
	s_branch .LBB65_14
.LBB65_20:                              ;   in Loop: Header=BB65_3 Depth=1
	v_mad_u64_u32 v[12:13], s[4:5], s20, v14, v[10:11]
	v_mul_lo_u32 v3, s20, v15
	v_mul_lo_u32 v10, s21, v14
	v_add3_u32 v13, v10, v13, v3
.LBB65_21:                              ;   in Loop: Header=BB65_3 Depth=1
	s_or_b64 exec, exec, s[6:7]
	v_or_b32_e32 v14, 1, v0
	v_mov_b32_e32 v15, v1
	v_cmp_lt_i32_e64 s[4:5], 1, v32
	v_pk_mov_b32 v[10:11], 0, 0
	s_and_saveexec_b64 s[52:53], s[4:5]
	s_cbranch_execz .LBB65_30
; %bb.22:                               ;   in Loop: Header=BB65_3 Depth=1
	s_and_b64 vcc, exec, s[0:1]
	v_pk_mov_b32 v[10:11], 0, 0
	s_mov_b64 s[54:55], s[30:31]
	s_mov_b32 s60, s64
	v_pk_mov_b32 v[16:17], v[14:15], v[14:15] op_sel:[0,1]
	v_pk_mov_b32 v[18:19], v[14:15], v[14:15] op_sel:[0,1]
	s_cbranch_vccnz .LBB65_29
.LBB65_23:                              ;   Parent Loop BB65_3 Depth=1
                                        ; =>  This Inner Loop Header: Depth=2
	s_load_dwordx2 s[56:57], s[54:55], 0x0
                                        ; implicit-def: $vgpr18_vgpr19
	s_waitcnt lgkmcnt(0)
	v_or_b32_e32 v3, s57, v17
	v_cmp_ne_u64_e32 vcc, 0, v[2:3]
	s_and_saveexec_b64 s[6:7], vcc
	s_xor_b64 s[58:59], exec, s[6:7]
	s_cbranch_execz .LBB65_25
; %bb.24:                               ;   in Loop: Header=BB65_23 Depth=2
	v_cvt_f32_u32_e32 v3, s56
	v_cvt_f32_u32_e32 v18, s57
	s_sub_u32 s6, 0, s56
	s_subb_u32 s7, 0, s57
	v_mac_f32_e32 v3, 0x4f800000, v18
	v_rcp_f32_e32 v3, v3
	v_mul_f32_e32 v3, 0x5f7ffffc, v3
	v_mul_f32_e32 v18, 0x2f800000, v3
	v_trunc_f32_e32 v18, v18
	v_mac_f32_e32 v3, 0xcf800000, v18
	v_cvt_u32_f32_e32 v18, v18
	v_cvt_u32_f32_e32 v3, v3
	v_mul_lo_u32 v19, s6, v18
	v_mul_hi_u32 v21, s6, v3
	v_mul_lo_u32 v20, s7, v3
	v_add_u32_e32 v19, v21, v19
	v_mul_lo_u32 v22, s6, v3
	v_add_u32_e32 v19, v19, v20
	v_mul_hi_u32 v21, v3, v22
	v_mul_lo_u32 v23, v3, v19
	v_mul_hi_u32 v20, v3, v19
	v_add_co_u32_e32 v21, vcc, v21, v23
	v_addc_co_u32_e32 v20, vcc, 0, v20, vcc
	v_mul_hi_u32 v24, v18, v22
	v_mul_lo_u32 v22, v18, v22
	v_add_co_u32_e32 v21, vcc, v21, v22
	v_mul_hi_u32 v23, v18, v19
	v_addc_co_u32_e32 v20, vcc, v20, v24, vcc
	v_addc_co_u32_e32 v21, vcc, 0, v23, vcc
	v_mul_lo_u32 v19, v18, v19
	v_add_co_u32_e32 v19, vcc, v20, v19
	v_addc_co_u32_e32 v20, vcc, 0, v21, vcc
	v_add_co_u32_e32 v3, vcc, v3, v19
	v_addc_co_u32_e32 v18, vcc, v18, v20, vcc
	v_mul_lo_u32 v19, s6, v18
	v_mul_hi_u32 v20, s6, v3
	v_add_u32_e32 v19, v20, v19
	v_mul_lo_u32 v20, s7, v3
	v_add_u32_e32 v19, v19, v20
	v_mul_lo_u32 v21, s6, v3
	v_mul_hi_u32 v22, v18, v21
	v_mul_lo_u32 v23, v18, v21
	v_mul_lo_u32 v25, v3, v19
	v_mul_hi_u32 v21, v3, v21
	v_mul_hi_u32 v24, v3, v19
	v_add_co_u32_e32 v21, vcc, v21, v25
	v_addc_co_u32_e32 v24, vcc, 0, v24, vcc
	v_add_co_u32_e32 v21, vcc, v21, v23
	v_mul_hi_u32 v20, v18, v19
	v_addc_co_u32_e32 v21, vcc, v24, v22, vcc
	v_addc_co_u32_e32 v20, vcc, 0, v20, vcc
	v_mul_lo_u32 v19, v18, v19
	v_add_co_u32_e32 v19, vcc, v21, v19
	v_addc_co_u32_e32 v20, vcc, 0, v20, vcc
	v_add_co_u32_e32 v3, vcc, v3, v19
	v_addc_co_u32_e32 v20, vcc, v18, v20, vcc
	v_mad_u64_u32 v[18:19], s[6:7], v16, v20, 0
	v_mul_hi_u32 v21, v16, v3
	v_add_co_u32_e32 v22, vcc, v21, v18
	v_addc_co_u32_e32 v23, vcc, 0, v19, vcc
	v_mad_u64_u32 v[18:19], s[6:7], v17, v20, 0
	v_mad_u64_u32 v[20:21], s[6:7], v17, v3, 0
	v_add_co_u32_e32 v3, vcc, v22, v20
	v_addc_co_u32_e32 v3, vcc, v23, v21, vcc
	v_addc_co_u32_e32 v19, vcc, 0, v19, vcc
	v_add_co_u32_e32 v3, vcc, v3, v18
	v_addc_co_u32_e32 v20, vcc, 0, v19, vcc
	v_mul_lo_u32 v21, s57, v3
	v_mul_lo_u32 v22, s56, v20
	v_mad_u64_u32 v[18:19], s[6:7], s56, v3, 0
	v_add3_u32 v19, v19, v22, v21
	v_sub_u32_e32 v21, v17, v19
	v_mov_b32_e32 v22, s57
	v_sub_co_u32_e32 v18, vcc, v16, v18
	v_subb_co_u32_e64 v21, s[6:7], v21, v22, vcc
	v_subrev_co_u32_e64 v22, s[6:7], s56, v18
	v_subbrev_co_u32_e64 v21, s[6:7], 0, v21, s[6:7]
	v_cmp_le_u32_e64 s[6:7], s57, v21
	v_cndmask_b32_e64 v23, 0, -1, s[6:7]
	v_cmp_le_u32_e64 s[6:7], s56, v22
	v_cndmask_b32_e64 v22, 0, -1, s[6:7]
	v_cmp_eq_u32_e64 s[6:7], s57, v21
	v_cndmask_b32_e64 v21, v23, v22, s[6:7]
	v_add_co_u32_e64 v22, s[6:7], 2, v3
	v_addc_co_u32_e64 v23, s[6:7], 0, v20, s[6:7]
	v_add_co_u32_e64 v24, s[6:7], 1, v3
	v_addc_co_u32_e64 v25, s[6:7], 0, v20, s[6:7]
	v_subb_co_u32_e32 v19, vcc, v17, v19, vcc
	v_cmp_ne_u32_e64 s[6:7], 0, v21
	v_cmp_le_u32_e32 vcc, s57, v19
	v_cndmask_b32_e64 v21, v25, v23, s[6:7]
	v_cndmask_b32_e64 v23, 0, -1, vcc
	v_cmp_le_u32_e32 vcc, s56, v18
	v_cndmask_b32_e64 v18, 0, -1, vcc
	v_cmp_eq_u32_e32 vcc, s57, v19
	v_cndmask_b32_e32 v18, v23, v18, vcc
	v_cmp_ne_u32_e32 vcc, 0, v18
	v_cndmask_b32_e64 v18, v24, v22, s[6:7]
	v_cndmask_b32_e32 v19, v20, v21, vcc
	v_cndmask_b32_e32 v18, v3, v18, vcc
.LBB65_25:                              ;   in Loop: Header=BB65_23 Depth=2
	s_andn2_saveexec_b64 s[6:7], s[58:59]
	s_cbranch_execz .LBB65_27
; %bb.26:                               ;   in Loop: Header=BB65_23 Depth=2
	v_cvt_f32_u32_e32 v3, s56
	s_sub_i32 s58, 0, s56
	v_rcp_iflag_f32_e32 v3, v3
	v_mul_f32_e32 v3, 0x4f7ffffe, v3
	v_cvt_u32_f32_e32 v3, v3
	v_mul_lo_u32 v18, s58, v3
	v_mul_hi_u32 v18, v3, v18
	v_add_u32_e32 v3, v3, v18
	v_mul_hi_u32 v3, v16, v3
	v_mul_lo_u32 v18, v3, s56
	v_sub_u32_e32 v18, v16, v18
	v_add_u32_e32 v19, 1, v3
	v_subrev_u32_e32 v20, s56, v18
	v_cmp_le_u32_e32 vcc, s56, v18
	v_cndmask_b32_e32 v18, v18, v20, vcc
	v_cndmask_b32_e32 v3, v3, v19, vcc
	v_add_u32_e32 v19, 1, v3
	v_cmp_le_u32_e32 vcc, s56, v18
	v_cndmask_b32_e32 v18, v3, v19, vcc
	v_mov_b32_e32 v19, v2
.LBB65_27:                              ;   in Loop: Header=BB65_23 Depth=2
	s_or_b64 exec, exec, s[6:7]
	v_mad_u64_u32 v[20:21], s[6:7], v18, s56, 0
	s_load_dwordx2 s[6:7], s[54:55], 0xc8
	v_mul_lo_u32 v3, v19, s56
	v_mul_lo_u32 v22, v18, s57
	v_add3_u32 v3, v21, v22, v3
	v_sub_co_u32_e32 v16, vcc, v16, v20
	s_add_i32 s60, s60, -1
	v_subb_co_u32_e32 v3, vcc, v17, v3, vcc
	s_add_u32 s54, s54, -8
	s_waitcnt lgkmcnt(0)
	v_mul_lo_u32 v3, s6, v3
	v_mul_lo_u32 v17, s7, v16
	v_mad_u64_u32 v[10:11], s[6:7], s6, v16, v[10:11]
	s_addc_u32 s55, s55, -1
	s_cmp_gt_u32 s60, 2
	v_add3_u32 v11, v17, v11, v3
	s_cbranch_scc0 .LBB65_29
; %bb.28:                               ;   in Loop: Header=BB65_23 Depth=2
	v_pk_mov_b32 v[16:17], v[18:19], v[18:19] op_sel:[0,1]
	s_branch .LBB65_23
.LBB65_29:                              ;   in Loop: Header=BB65_3 Depth=1
	v_mad_u64_u32 v[10:11], s[6:7], s18, v18, v[10:11]
	v_mul_lo_u32 v3, s18, v19
	v_mul_lo_u32 v16, s19, v18
	v_add3_u32 v11, v16, v11, v3
.LBB65_30:                              ;   in Loop: Header=BB65_3 Depth=1
	s_or_b64 exec, exec, s[52:53]
	v_pk_mov_b32 v[16:17], 0, 0
	s_and_saveexec_b64 s[6:7], s[4:5]
	s_cbranch_execz .LBB65_33
; %bb.31:                               ;   in Loop: Header=BB65_3 Depth=1
	s_and_b64 vcc, exec, s[2:3]
	v_pk_mov_b32 v[16:17], 0, 0
	s_mov_b64 s[52:53], s[34:35]
	s_mov_b32 s58, s65
	s_cbranch_vccz .LBB65_42
.LBB65_32:                              ;   in Loop: Header=BB65_3 Depth=1
	v_mad_u64_u32 v[16:17], s[4:5], s20, v14, v[16:17]
	v_mul_lo_u32 v3, s20, v15
	v_mul_lo_u32 v14, s21, v14
	v_add3_u32 v17, v14, v17, v3
.LBB65_33:                              ;   in Loop: Header=BB65_3 Depth=1
	s_or_b64 exec, exec, s[6:7]
	v_or_b32_e32 v18, 2, v0
	v_mov_b32_e32 v19, v1
	v_cmp_lt_i32_e64 s[4:5], 2, v32
	v_pk_mov_b32 v[14:15], 0, 0
	s_and_saveexec_b64 s[52:53], s[4:5]
	s_cbranch_execz .LBB65_47
; %bb.34:                               ;   in Loop: Header=BB65_3 Depth=1
	s_and_b64 vcc, exec, s[0:1]
	v_pk_mov_b32 v[14:15], 0, 0
	s_mov_b64 s[54:55], s[30:31]
	s_mov_b32 s60, s64
	v_pk_mov_b32 v[20:21], v[18:19], v[18:19] op_sel:[0,1]
	v_pk_mov_b32 v[22:23], v[18:19], v[18:19] op_sel:[0,1]
	s_cbranch_vccnz .LBB65_46
.LBB65_35:                              ;   Parent Loop BB65_3 Depth=1
                                        ; =>  This Inner Loop Header: Depth=2
	s_load_dwordx2 s[56:57], s[54:55], 0x0
                                        ; implicit-def: $vgpr22_vgpr23
	s_waitcnt lgkmcnt(0)
	v_or_b32_e32 v3, s57, v21
	v_cmp_ne_u64_e32 vcc, 0, v[2:3]
	s_and_saveexec_b64 s[6:7], vcc
	s_xor_b64 s[58:59], exec, s[6:7]
	s_cbranch_execz .LBB65_37
; %bb.36:                               ;   in Loop: Header=BB65_35 Depth=2
	v_cvt_f32_u32_e32 v3, s56
	v_cvt_f32_u32_e32 v22, s57
	s_sub_u32 s6, 0, s56
	s_subb_u32 s7, 0, s57
	v_mac_f32_e32 v3, 0x4f800000, v22
	v_rcp_f32_e32 v3, v3
	v_mul_f32_e32 v3, 0x5f7ffffc, v3
	v_mul_f32_e32 v22, 0x2f800000, v3
	v_trunc_f32_e32 v22, v22
	v_mac_f32_e32 v3, 0xcf800000, v22
	v_cvt_u32_f32_e32 v22, v22
	v_cvt_u32_f32_e32 v3, v3
	v_mul_lo_u32 v23, s6, v22
	v_mul_hi_u32 v25, s6, v3
	v_mul_lo_u32 v24, s7, v3
	v_add_u32_e32 v23, v25, v23
	v_mul_lo_u32 v26, s6, v3
	v_add_u32_e32 v23, v23, v24
	v_mul_hi_u32 v25, v3, v26
	v_mul_lo_u32 v27, v3, v23
	v_mul_hi_u32 v24, v3, v23
	v_add_co_u32_e32 v25, vcc, v25, v27
	v_addc_co_u32_e32 v24, vcc, 0, v24, vcc
	v_mul_hi_u32 v28, v22, v26
	v_mul_lo_u32 v26, v22, v26
	v_add_co_u32_e32 v25, vcc, v25, v26
	v_mul_hi_u32 v27, v22, v23
	v_addc_co_u32_e32 v24, vcc, v24, v28, vcc
	v_addc_co_u32_e32 v25, vcc, 0, v27, vcc
	v_mul_lo_u32 v23, v22, v23
	v_add_co_u32_e32 v23, vcc, v24, v23
	v_addc_co_u32_e32 v24, vcc, 0, v25, vcc
	v_add_co_u32_e32 v3, vcc, v3, v23
	v_addc_co_u32_e32 v22, vcc, v22, v24, vcc
	v_mul_lo_u32 v23, s6, v22
	v_mul_hi_u32 v24, s6, v3
	v_add_u32_e32 v23, v24, v23
	v_mul_lo_u32 v24, s7, v3
	v_add_u32_e32 v23, v23, v24
	v_mul_lo_u32 v25, s6, v3
	v_mul_hi_u32 v26, v22, v25
	v_mul_lo_u32 v27, v22, v25
	v_mul_lo_u32 v29, v3, v23
	v_mul_hi_u32 v25, v3, v25
	v_mul_hi_u32 v28, v3, v23
	v_add_co_u32_e32 v25, vcc, v25, v29
	v_addc_co_u32_e32 v28, vcc, 0, v28, vcc
	v_add_co_u32_e32 v25, vcc, v25, v27
	v_mul_hi_u32 v24, v22, v23
	v_addc_co_u32_e32 v25, vcc, v28, v26, vcc
	v_addc_co_u32_e32 v24, vcc, 0, v24, vcc
	v_mul_lo_u32 v23, v22, v23
	v_add_co_u32_e32 v23, vcc, v25, v23
	v_addc_co_u32_e32 v24, vcc, 0, v24, vcc
	v_add_co_u32_e32 v3, vcc, v3, v23
	v_addc_co_u32_e32 v24, vcc, v22, v24, vcc
	v_mad_u64_u32 v[22:23], s[6:7], v20, v24, 0
	v_mul_hi_u32 v25, v20, v3
	v_add_co_u32_e32 v26, vcc, v25, v22
	v_addc_co_u32_e32 v27, vcc, 0, v23, vcc
	v_mad_u64_u32 v[22:23], s[6:7], v21, v24, 0
	v_mad_u64_u32 v[24:25], s[6:7], v21, v3, 0
	v_add_co_u32_e32 v3, vcc, v26, v24
	v_addc_co_u32_e32 v3, vcc, v27, v25, vcc
	v_addc_co_u32_e32 v23, vcc, 0, v23, vcc
	v_add_co_u32_e32 v3, vcc, v3, v22
	v_addc_co_u32_e32 v24, vcc, 0, v23, vcc
	v_mul_lo_u32 v25, s57, v3
	v_mul_lo_u32 v26, s56, v24
	v_mad_u64_u32 v[22:23], s[6:7], s56, v3, 0
	v_add3_u32 v23, v23, v26, v25
	v_sub_u32_e32 v25, v21, v23
	v_mov_b32_e32 v26, s57
	v_sub_co_u32_e32 v22, vcc, v20, v22
	v_subb_co_u32_e64 v25, s[6:7], v25, v26, vcc
	v_subrev_co_u32_e64 v26, s[6:7], s56, v22
	v_subbrev_co_u32_e64 v25, s[6:7], 0, v25, s[6:7]
	v_cmp_le_u32_e64 s[6:7], s57, v25
	v_cndmask_b32_e64 v27, 0, -1, s[6:7]
	v_cmp_le_u32_e64 s[6:7], s56, v26
	v_cndmask_b32_e64 v26, 0, -1, s[6:7]
	v_cmp_eq_u32_e64 s[6:7], s57, v25
	v_cndmask_b32_e64 v25, v27, v26, s[6:7]
	v_add_co_u32_e64 v26, s[6:7], 2, v3
	v_addc_co_u32_e64 v27, s[6:7], 0, v24, s[6:7]
	v_add_co_u32_e64 v28, s[6:7], 1, v3
	v_addc_co_u32_e64 v29, s[6:7], 0, v24, s[6:7]
	v_subb_co_u32_e32 v23, vcc, v21, v23, vcc
	v_cmp_ne_u32_e64 s[6:7], 0, v25
	v_cmp_le_u32_e32 vcc, s57, v23
	v_cndmask_b32_e64 v25, v29, v27, s[6:7]
	v_cndmask_b32_e64 v27, 0, -1, vcc
	v_cmp_le_u32_e32 vcc, s56, v22
	v_cndmask_b32_e64 v22, 0, -1, vcc
	v_cmp_eq_u32_e32 vcc, s57, v23
	v_cndmask_b32_e32 v22, v27, v22, vcc
	v_cmp_ne_u32_e32 vcc, 0, v22
	v_cndmask_b32_e64 v22, v28, v26, s[6:7]
	v_cndmask_b32_e32 v23, v24, v25, vcc
	v_cndmask_b32_e32 v22, v3, v22, vcc
.LBB65_37:                              ;   in Loop: Header=BB65_35 Depth=2
	s_andn2_saveexec_b64 s[6:7], s[58:59]
	s_cbranch_execz .LBB65_39
; %bb.38:                               ;   in Loop: Header=BB65_35 Depth=2
	v_cvt_f32_u32_e32 v3, s56
	s_sub_i32 s58, 0, s56
	v_rcp_iflag_f32_e32 v3, v3
	v_mul_f32_e32 v3, 0x4f7ffffe, v3
	v_cvt_u32_f32_e32 v3, v3
	v_mul_lo_u32 v22, s58, v3
	v_mul_hi_u32 v22, v3, v22
	v_add_u32_e32 v3, v3, v22
	v_mul_hi_u32 v3, v20, v3
	v_mul_lo_u32 v22, v3, s56
	v_sub_u32_e32 v22, v20, v22
	v_add_u32_e32 v23, 1, v3
	v_subrev_u32_e32 v24, s56, v22
	v_cmp_le_u32_e32 vcc, s56, v22
	v_cndmask_b32_e32 v22, v22, v24, vcc
	v_cndmask_b32_e32 v3, v3, v23, vcc
	v_add_u32_e32 v23, 1, v3
	v_cmp_le_u32_e32 vcc, s56, v22
	v_cndmask_b32_e32 v22, v3, v23, vcc
	v_mov_b32_e32 v23, v2
.LBB65_39:                              ;   in Loop: Header=BB65_35 Depth=2
	s_or_b64 exec, exec, s[6:7]
	v_mad_u64_u32 v[24:25], s[6:7], v22, s56, 0
	s_load_dwordx2 s[6:7], s[54:55], 0xc8
	v_mul_lo_u32 v3, v23, s56
	v_mul_lo_u32 v26, v22, s57
	v_add3_u32 v3, v25, v26, v3
	v_sub_co_u32_e32 v20, vcc, v20, v24
	s_add_i32 s60, s60, -1
	v_subb_co_u32_e32 v3, vcc, v21, v3, vcc
	s_add_u32 s54, s54, -8
	s_waitcnt lgkmcnt(0)
	v_mul_lo_u32 v3, s6, v3
	v_mul_lo_u32 v21, s7, v20
	v_mad_u64_u32 v[14:15], s[6:7], s6, v20, v[14:15]
	s_addc_u32 s55, s55, -1
	s_cmp_gt_u32 s60, 2
	v_add3_u32 v15, v21, v15, v3
	s_cbranch_scc0 .LBB65_46
; %bb.40:                               ;   in Loop: Header=BB65_35 Depth=2
	v_pk_mov_b32 v[20:21], v[22:23], v[22:23] op_sel:[0,1]
	s_branch .LBB65_35
.LBB65_41:                              ;   in Loop: Header=BB65_42 Depth=2
	s_or_b64 exec, exec, s[4:5]
	v_mad_u64_u32 v[20:21], s[4:5], v18, s54, 0
	s_load_dwordx2 s[4:5], s[52:53], 0xc8
	v_mul_lo_u32 v3, v19, s54
	v_mul_lo_u32 v22, v18, s55
	v_add3_u32 v3, v21, v22, v3
	v_sub_co_u32_e32 v14, vcc, v14, v20
	s_add_i32 s58, s58, -1
	v_subb_co_u32_e32 v3, vcc, v15, v3, vcc
	s_add_u32 s52, s52, -8
	s_waitcnt lgkmcnt(0)
	v_mul_lo_u32 v3, s4, v3
	v_mul_lo_u32 v15, s5, v14
	v_mad_u64_u32 v[16:17], s[4:5], s4, v14, v[16:17]
	s_addc_u32 s53, s53, -1
	s_cmp_gt_u32 s58, 2
	v_add3_u32 v17, v15, v17, v3
	v_pk_mov_b32 v[14:15], v[18:19], v[18:19] op_sel:[0,1]
	s_cbranch_scc0 .LBB65_32
.LBB65_42:                              ;   Parent Loop BB65_3 Depth=1
                                        ; =>  This Inner Loop Header: Depth=2
	s_load_dwordx2 s[54:55], s[52:53], 0x0
                                        ; implicit-def: $vgpr18_vgpr19
	s_waitcnt lgkmcnt(0)
	v_or_b32_e32 v3, s55, v15
	v_cmp_ne_u64_e32 vcc, 0, v[2:3]
	s_and_saveexec_b64 s[4:5], vcc
	s_xor_b64 s[56:57], exec, s[4:5]
	s_cbranch_execz .LBB65_44
; %bb.43:                               ;   in Loop: Header=BB65_42 Depth=2
	v_cvt_f32_u32_e32 v3, s54
	v_cvt_f32_u32_e32 v18, s55
	s_sub_u32 s4, 0, s54
	s_subb_u32 s5, 0, s55
	v_mac_f32_e32 v3, 0x4f800000, v18
	v_rcp_f32_e32 v3, v3
	v_mul_f32_e32 v3, 0x5f7ffffc, v3
	v_mul_f32_e32 v18, 0x2f800000, v3
	v_trunc_f32_e32 v18, v18
	v_mac_f32_e32 v3, 0xcf800000, v18
	v_cvt_u32_f32_e32 v18, v18
	v_cvt_u32_f32_e32 v3, v3
	v_mul_lo_u32 v19, s4, v18
	v_mul_hi_u32 v21, s4, v3
	v_mul_lo_u32 v20, s5, v3
	v_add_u32_e32 v19, v21, v19
	v_mul_lo_u32 v22, s4, v3
	v_add_u32_e32 v19, v19, v20
	v_mul_hi_u32 v21, v3, v22
	v_mul_lo_u32 v23, v3, v19
	v_mul_hi_u32 v20, v3, v19
	v_add_co_u32_e32 v21, vcc, v21, v23
	v_addc_co_u32_e32 v20, vcc, 0, v20, vcc
	v_mul_hi_u32 v24, v18, v22
	v_mul_lo_u32 v22, v18, v22
	v_add_co_u32_e32 v21, vcc, v21, v22
	v_mul_hi_u32 v23, v18, v19
	v_addc_co_u32_e32 v20, vcc, v20, v24, vcc
	v_addc_co_u32_e32 v21, vcc, 0, v23, vcc
	v_mul_lo_u32 v19, v18, v19
	v_add_co_u32_e32 v19, vcc, v20, v19
	v_addc_co_u32_e32 v20, vcc, 0, v21, vcc
	v_add_co_u32_e32 v3, vcc, v3, v19
	v_addc_co_u32_e32 v18, vcc, v18, v20, vcc
	v_mul_lo_u32 v19, s4, v18
	v_mul_hi_u32 v20, s4, v3
	v_add_u32_e32 v19, v20, v19
	v_mul_lo_u32 v20, s5, v3
	v_add_u32_e32 v19, v19, v20
	v_mul_lo_u32 v21, s4, v3
	v_mul_hi_u32 v22, v18, v21
	v_mul_lo_u32 v23, v18, v21
	v_mul_lo_u32 v25, v3, v19
	v_mul_hi_u32 v21, v3, v21
	v_mul_hi_u32 v24, v3, v19
	v_add_co_u32_e32 v21, vcc, v21, v25
	v_addc_co_u32_e32 v24, vcc, 0, v24, vcc
	v_add_co_u32_e32 v21, vcc, v21, v23
	v_mul_hi_u32 v20, v18, v19
	v_addc_co_u32_e32 v21, vcc, v24, v22, vcc
	v_addc_co_u32_e32 v20, vcc, 0, v20, vcc
	v_mul_lo_u32 v19, v18, v19
	v_add_co_u32_e32 v19, vcc, v21, v19
	v_addc_co_u32_e32 v20, vcc, 0, v20, vcc
	v_add_co_u32_e32 v3, vcc, v3, v19
	v_addc_co_u32_e32 v20, vcc, v18, v20, vcc
	v_mad_u64_u32 v[18:19], s[4:5], v14, v20, 0
	v_mul_hi_u32 v21, v14, v3
	v_add_co_u32_e32 v22, vcc, v21, v18
	v_addc_co_u32_e32 v23, vcc, 0, v19, vcc
	v_mad_u64_u32 v[18:19], s[4:5], v15, v20, 0
	v_mad_u64_u32 v[20:21], s[4:5], v15, v3, 0
	v_add_co_u32_e32 v3, vcc, v22, v20
	v_addc_co_u32_e32 v3, vcc, v23, v21, vcc
	v_addc_co_u32_e32 v19, vcc, 0, v19, vcc
	v_add_co_u32_e32 v3, vcc, v3, v18
	v_addc_co_u32_e32 v20, vcc, 0, v19, vcc
	v_mul_lo_u32 v21, s55, v3
	v_mul_lo_u32 v22, s54, v20
	v_mad_u64_u32 v[18:19], s[4:5], s54, v3, 0
	v_add3_u32 v19, v19, v22, v21
	v_sub_u32_e32 v21, v15, v19
	v_mov_b32_e32 v22, s55
	v_sub_co_u32_e32 v18, vcc, v14, v18
	v_subb_co_u32_e64 v21, s[4:5], v21, v22, vcc
	v_subrev_co_u32_e64 v22, s[4:5], s54, v18
	v_subbrev_co_u32_e64 v21, s[4:5], 0, v21, s[4:5]
	v_cmp_le_u32_e64 s[4:5], s55, v21
	v_cndmask_b32_e64 v23, 0, -1, s[4:5]
	v_cmp_le_u32_e64 s[4:5], s54, v22
	v_cndmask_b32_e64 v22, 0, -1, s[4:5]
	v_cmp_eq_u32_e64 s[4:5], s55, v21
	v_cndmask_b32_e64 v21, v23, v22, s[4:5]
	v_add_co_u32_e64 v22, s[4:5], 2, v3
	v_addc_co_u32_e64 v23, s[4:5], 0, v20, s[4:5]
	v_add_co_u32_e64 v24, s[4:5], 1, v3
	v_addc_co_u32_e64 v25, s[4:5], 0, v20, s[4:5]
	v_subb_co_u32_e32 v19, vcc, v15, v19, vcc
	v_cmp_ne_u32_e64 s[4:5], 0, v21
	v_cmp_le_u32_e32 vcc, s55, v19
	v_cndmask_b32_e64 v21, v25, v23, s[4:5]
	v_cndmask_b32_e64 v23, 0, -1, vcc
	v_cmp_le_u32_e32 vcc, s54, v18
	v_cndmask_b32_e64 v18, 0, -1, vcc
	v_cmp_eq_u32_e32 vcc, s55, v19
	v_cndmask_b32_e32 v18, v23, v18, vcc
	v_cmp_ne_u32_e32 vcc, 0, v18
	v_cndmask_b32_e64 v18, v24, v22, s[4:5]
	v_cndmask_b32_e32 v19, v20, v21, vcc
	v_cndmask_b32_e32 v18, v3, v18, vcc
.LBB65_44:                              ;   in Loop: Header=BB65_42 Depth=2
	s_andn2_saveexec_b64 s[4:5], s[56:57]
	s_cbranch_execz .LBB65_41
; %bb.45:                               ;   in Loop: Header=BB65_42 Depth=2
	v_cvt_f32_u32_e32 v3, s54
	s_sub_i32 s56, 0, s54
	v_rcp_iflag_f32_e32 v3, v3
	v_mul_f32_e32 v3, 0x4f7ffffe, v3
	v_cvt_u32_f32_e32 v3, v3
	v_mul_lo_u32 v18, s56, v3
	v_mul_hi_u32 v18, v3, v18
	v_add_u32_e32 v3, v3, v18
	v_mul_hi_u32 v3, v14, v3
	v_mul_lo_u32 v18, v3, s54
	v_sub_u32_e32 v18, v14, v18
	v_add_u32_e32 v19, 1, v3
	v_subrev_u32_e32 v20, s54, v18
	v_cmp_le_u32_e32 vcc, s54, v18
	v_cndmask_b32_e32 v18, v18, v20, vcc
	v_cndmask_b32_e32 v3, v3, v19, vcc
	v_add_u32_e32 v19, 1, v3
	v_cmp_le_u32_e32 vcc, s54, v18
	v_cndmask_b32_e32 v18, v3, v19, vcc
	v_mov_b32_e32 v19, v2
	s_branch .LBB65_41
.LBB65_46:                              ;   in Loop: Header=BB65_3 Depth=1
	v_mad_u64_u32 v[14:15], s[6:7], s18, v22, v[14:15]
	v_mul_lo_u32 v3, s18, v23
	v_mul_lo_u32 v20, s19, v22
	v_add3_u32 v15, v20, v15, v3
.LBB65_47:                              ;   in Loop: Header=BB65_3 Depth=1
	s_or_b64 exec, exec, s[52:53]
	v_pk_mov_b32 v[20:21], 0, 0
	s_and_saveexec_b64 s[6:7], s[4:5]
	s_cbranch_execz .LBB65_50
; %bb.48:                               ;   in Loop: Header=BB65_3 Depth=1
	s_and_b64 vcc, exec, s[2:3]
	v_pk_mov_b32 v[20:21], 0, 0
	s_mov_b64 s[52:53], s[34:35]
	s_mov_b32 s58, s65
	s_cbranch_vccz .LBB65_59
.LBB65_49:                              ;   in Loop: Header=BB65_3 Depth=1
	v_mad_u64_u32 v[20:21], s[4:5], s20, v18, v[20:21]
	v_mul_lo_u32 v3, s20, v19
	v_mul_lo_u32 v18, s21, v18
	v_add3_u32 v21, v18, v21, v3
.LBB65_50:                              ;   in Loop: Header=BB65_3 Depth=1
	s_or_b64 exec, exec, s[6:7]
	v_or_b32_e32 v22, 3, v0
	v_mov_b32_e32 v23, v1
	v_cmp_lt_i32_e64 s[4:5], 3, v32
	v_pk_mov_b32 v[18:19], 0, 0
	s_and_saveexec_b64 s[6:7], s[4:5]
	s_cbranch_execz .LBB65_64
; %bb.51:                               ;   in Loop: Header=BB65_3 Depth=1
	s_and_b64 vcc, exec, s[0:1]
	v_pk_mov_b32 v[18:19], 0, 0
	s_mov_b64 s[52:53], s[30:31]
	s_mov_b32 s58, s64
	v_pk_mov_b32 v[24:25], v[22:23], v[22:23] op_sel:[0,1]
	v_pk_mov_b32 v[26:27], v[22:23], v[22:23] op_sel:[0,1]
	s_cbranch_vccnz .LBB65_63
.LBB65_52:                              ;   Parent Loop BB65_3 Depth=1
                                        ; =>  This Inner Loop Header: Depth=2
	s_load_dwordx2 s[54:55], s[52:53], 0x0
                                        ; implicit-def: $vgpr26_vgpr27
	s_waitcnt lgkmcnt(0)
	v_or_b32_e32 v3, s55, v25
	v_cmp_ne_u64_e32 vcc, 0, v[2:3]
	s_and_saveexec_b64 s[0:1], vcc
	s_xor_b64 s[56:57], exec, s[0:1]
	s_cbranch_execz .LBB65_54
; %bb.53:                               ;   in Loop: Header=BB65_52 Depth=2
	v_cvt_f32_u32_e32 v3, s54
	v_cvt_f32_u32_e32 v26, s55
	s_sub_u32 s0, 0, s54
	s_subb_u32 s1, 0, s55
	v_mac_f32_e32 v3, 0x4f800000, v26
	v_rcp_f32_e32 v3, v3
	v_mul_f32_e32 v3, 0x5f7ffffc, v3
	v_mul_f32_e32 v26, 0x2f800000, v3
	v_trunc_f32_e32 v26, v26
	v_mac_f32_e32 v3, 0xcf800000, v26
	v_cvt_u32_f32_e32 v26, v26
	v_cvt_u32_f32_e32 v3, v3
	v_mul_lo_u32 v27, s0, v26
	v_mul_hi_u32 v29, s0, v3
	v_mul_lo_u32 v28, s1, v3
	v_add_u32_e32 v27, v29, v27
	v_mul_lo_u32 v30, s0, v3
	v_add_u32_e32 v27, v27, v28
	v_mul_hi_u32 v29, v3, v30
	v_mul_lo_u32 v31, v3, v27
	v_mul_hi_u32 v28, v3, v27
	v_add_co_u32_e32 v29, vcc, v29, v31
	v_addc_co_u32_e32 v28, vcc, 0, v28, vcc
	s_waitcnt vmcnt(2)
	v_mul_hi_u32 v33, v26, v30
	v_mul_lo_u32 v30, v26, v30
	v_add_co_u32_e32 v29, vcc, v29, v30
	v_mul_hi_u32 v31, v26, v27
	v_addc_co_u32_e32 v28, vcc, v28, v33, vcc
	v_addc_co_u32_e32 v29, vcc, 0, v31, vcc
	v_mul_lo_u32 v27, v26, v27
	v_add_co_u32_e32 v27, vcc, v28, v27
	v_addc_co_u32_e32 v28, vcc, 0, v29, vcc
	v_add_co_u32_e32 v3, vcc, v3, v27
	v_addc_co_u32_e32 v26, vcc, v26, v28, vcc
	v_mul_lo_u32 v27, s0, v26
	v_mul_hi_u32 v28, s0, v3
	v_add_u32_e32 v27, v28, v27
	v_mul_lo_u32 v28, s1, v3
	v_add_u32_e32 v27, v27, v28
	v_mul_lo_u32 v29, s0, v3
	v_mul_hi_u32 v30, v26, v29
	v_mul_lo_u32 v31, v26, v29
	s_waitcnt vmcnt(1)
	v_mul_lo_u32 v34, v3, v27
	v_mul_hi_u32 v29, v3, v29
	v_mul_hi_u32 v33, v3, v27
	v_add_co_u32_e32 v29, vcc, v29, v34
	v_addc_co_u32_e32 v33, vcc, 0, v33, vcc
	v_add_co_u32_e32 v29, vcc, v29, v31
	v_mul_hi_u32 v28, v26, v27
	v_addc_co_u32_e32 v29, vcc, v33, v30, vcc
	v_addc_co_u32_e32 v28, vcc, 0, v28, vcc
	v_mul_lo_u32 v27, v26, v27
	v_add_co_u32_e32 v27, vcc, v29, v27
	v_addc_co_u32_e32 v28, vcc, 0, v28, vcc
	v_add_co_u32_e32 v3, vcc, v3, v27
	v_addc_co_u32_e32 v28, vcc, v26, v28, vcc
	v_mad_u64_u32 v[26:27], s[0:1], v24, v28, 0
	v_mul_hi_u32 v29, v24, v3
	v_add_co_u32_e32 v30, vcc, v29, v26
	v_addc_co_u32_e32 v31, vcc, 0, v27, vcc
	v_mad_u64_u32 v[26:27], s[0:1], v25, v28, 0
	v_mad_u64_u32 v[28:29], s[0:1], v25, v3, 0
	v_add_co_u32_e32 v3, vcc, v30, v28
	v_addc_co_u32_e32 v3, vcc, v31, v29, vcc
	v_addc_co_u32_e32 v27, vcc, 0, v27, vcc
	v_add_co_u32_e32 v3, vcc, v3, v26
	v_addc_co_u32_e32 v28, vcc, 0, v27, vcc
	v_mul_lo_u32 v29, s55, v3
	v_mul_lo_u32 v30, s54, v28
	v_mad_u64_u32 v[26:27], s[0:1], s54, v3, 0
	v_add3_u32 v27, v27, v30, v29
	v_sub_u32_e32 v29, v25, v27
	v_mov_b32_e32 v30, s55
	v_sub_co_u32_e32 v26, vcc, v24, v26
	v_subb_co_u32_e64 v29, s[0:1], v29, v30, vcc
	v_subrev_co_u32_e64 v30, s[0:1], s54, v26
	v_subbrev_co_u32_e64 v29, s[0:1], 0, v29, s[0:1]
	v_cmp_le_u32_e64 s[0:1], s55, v29
	v_cndmask_b32_e64 v31, 0, -1, s[0:1]
	v_cmp_le_u32_e64 s[0:1], s54, v30
	v_cndmask_b32_e64 v30, 0, -1, s[0:1]
	v_cmp_eq_u32_e64 s[0:1], s55, v29
	v_cndmask_b32_e64 v29, v31, v30, s[0:1]
	v_add_co_u32_e64 v30, s[0:1], 2, v3
	v_addc_co_u32_e64 v31, s[0:1], 0, v28, s[0:1]
	v_add_co_u32_e64 v33, s[0:1], 1, v3
	v_addc_co_u32_e64 v34, s[0:1], 0, v28, s[0:1]
	v_subb_co_u32_e32 v27, vcc, v25, v27, vcc
	v_cmp_ne_u32_e64 s[0:1], 0, v29
	v_cmp_le_u32_e32 vcc, s55, v27
	v_cndmask_b32_e64 v29, v34, v31, s[0:1]
	v_cndmask_b32_e64 v31, 0, -1, vcc
	v_cmp_le_u32_e32 vcc, s54, v26
	v_cndmask_b32_e64 v26, 0, -1, vcc
	v_cmp_eq_u32_e32 vcc, s55, v27
	v_cndmask_b32_e32 v26, v31, v26, vcc
	v_cmp_ne_u32_e32 vcc, 0, v26
	v_cndmask_b32_e64 v26, v33, v30, s[0:1]
	v_cndmask_b32_e32 v27, v28, v29, vcc
	v_cndmask_b32_e32 v26, v3, v26, vcc
.LBB65_54:                              ;   in Loop: Header=BB65_52 Depth=2
	s_andn2_saveexec_b64 s[0:1], s[56:57]
	s_cbranch_execz .LBB65_56
; %bb.55:                               ;   in Loop: Header=BB65_52 Depth=2
	v_cvt_f32_u32_e32 v3, s54
	s_sub_i32 s56, 0, s54
	v_rcp_iflag_f32_e32 v3, v3
	v_mul_f32_e32 v3, 0x4f7ffffe, v3
	v_cvt_u32_f32_e32 v3, v3
	v_mul_lo_u32 v26, s56, v3
	v_mul_hi_u32 v26, v3, v26
	v_add_u32_e32 v3, v3, v26
	v_mul_hi_u32 v3, v24, v3
	v_mul_lo_u32 v26, v3, s54
	v_sub_u32_e32 v26, v24, v26
	v_add_u32_e32 v27, 1, v3
	v_subrev_u32_e32 v28, s54, v26
	v_cmp_le_u32_e32 vcc, s54, v26
	v_cndmask_b32_e32 v26, v26, v28, vcc
	v_cndmask_b32_e32 v3, v3, v27, vcc
	v_add_u32_e32 v27, 1, v3
	v_cmp_le_u32_e32 vcc, s54, v26
	v_cndmask_b32_e32 v26, v3, v27, vcc
	v_mov_b32_e32 v27, v2
.LBB65_56:                              ;   in Loop: Header=BB65_52 Depth=2
	s_or_b64 exec, exec, s[0:1]
	v_mad_u64_u32 v[28:29], s[0:1], v26, s54, 0
	s_load_dwordx2 s[0:1], s[52:53], 0xc8
	v_mul_lo_u32 v3, v27, s54
	v_mul_lo_u32 v30, v26, s55
	v_add3_u32 v3, v29, v30, v3
	v_sub_co_u32_e32 v24, vcc, v24, v28
	s_add_i32 s58, s58, -1
	v_subb_co_u32_e32 v3, vcc, v25, v3, vcc
	s_add_u32 s52, s52, -8
	s_waitcnt lgkmcnt(0)
	v_mul_lo_u32 v3, s0, v3
	v_mul_lo_u32 v25, s1, v24
	v_mad_u64_u32 v[18:19], s[0:1], s0, v24, v[18:19]
	s_addc_u32 s53, s53, -1
	s_cmp_gt_u32 s58, 2
	v_add3_u32 v19, v25, v19, v3
	s_cbranch_scc0 .LBB65_63
; %bb.57:                               ;   in Loop: Header=BB65_52 Depth=2
	v_pk_mov_b32 v[24:25], v[26:27], v[26:27] op_sel:[0,1]
	s_branch .LBB65_52
.LBB65_58:                              ;   in Loop: Header=BB65_59 Depth=2
	s_or_b64 exec, exec, s[4:5]
	v_mad_u64_u32 v[24:25], s[4:5], v22, s54, 0
	s_load_dwordx2 s[4:5], s[52:53], 0xc8
	v_mul_lo_u32 v3, v23, s54
	v_mul_lo_u32 v26, v22, s55
	v_add3_u32 v3, v25, v26, v3
	v_sub_co_u32_e32 v18, vcc, v18, v24
	s_add_i32 s58, s58, -1
	v_subb_co_u32_e32 v3, vcc, v19, v3, vcc
	s_add_u32 s52, s52, -8
	s_waitcnt lgkmcnt(0)
	v_mul_lo_u32 v3, s4, v3
	v_mul_lo_u32 v19, s5, v18
	v_mad_u64_u32 v[20:21], s[4:5], s4, v18, v[20:21]
	s_addc_u32 s53, s53, -1
	s_cmp_gt_u32 s58, 2
	v_add3_u32 v21, v19, v21, v3
	v_pk_mov_b32 v[18:19], v[22:23], v[22:23] op_sel:[0,1]
	s_cbranch_scc0 .LBB65_49
.LBB65_59:                              ;   Parent Loop BB65_3 Depth=1
                                        ; =>  This Inner Loop Header: Depth=2
	s_load_dwordx2 s[54:55], s[52:53], 0x0
                                        ; implicit-def: $vgpr22_vgpr23
	s_waitcnt lgkmcnt(0)
	v_or_b32_e32 v3, s55, v19
	v_cmp_ne_u64_e32 vcc, 0, v[2:3]
	s_and_saveexec_b64 s[4:5], vcc
	s_xor_b64 s[56:57], exec, s[4:5]
	s_cbranch_execz .LBB65_61
; %bb.60:                               ;   in Loop: Header=BB65_59 Depth=2
	v_cvt_f32_u32_e32 v3, s54
	v_cvt_f32_u32_e32 v22, s55
	s_sub_u32 s4, 0, s54
	s_subb_u32 s5, 0, s55
	v_mac_f32_e32 v3, 0x4f800000, v22
	v_rcp_f32_e32 v3, v3
	v_mul_f32_e32 v3, 0x5f7ffffc, v3
	v_mul_f32_e32 v22, 0x2f800000, v3
	v_trunc_f32_e32 v22, v22
	v_mac_f32_e32 v3, 0xcf800000, v22
	v_cvt_u32_f32_e32 v22, v22
	v_cvt_u32_f32_e32 v3, v3
	v_mul_lo_u32 v23, s4, v22
	v_mul_hi_u32 v25, s4, v3
	v_mul_lo_u32 v24, s5, v3
	v_add_u32_e32 v23, v25, v23
	v_mul_lo_u32 v26, s4, v3
	v_add_u32_e32 v23, v23, v24
	v_mul_hi_u32 v25, v3, v26
	v_mul_lo_u32 v27, v3, v23
	v_mul_hi_u32 v24, v3, v23
	v_add_co_u32_e32 v25, vcc, v25, v27
	v_addc_co_u32_e32 v24, vcc, 0, v24, vcc
	v_mul_hi_u32 v28, v22, v26
	v_mul_lo_u32 v26, v22, v26
	v_add_co_u32_e32 v25, vcc, v25, v26
	v_mul_hi_u32 v27, v22, v23
	v_addc_co_u32_e32 v24, vcc, v24, v28, vcc
	v_addc_co_u32_e32 v25, vcc, 0, v27, vcc
	v_mul_lo_u32 v23, v22, v23
	v_add_co_u32_e32 v23, vcc, v24, v23
	v_addc_co_u32_e32 v24, vcc, 0, v25, vcc
	v_add_co_u32_e32 v3, vcc, v3, v23
	v_addc_co_u32_e32 v22, vcc, v22, v24, vcc
	v_mul_lo_u32 v23, s4, v22
	v_mul_hi_u32 v24, s4, v3
	v_add_u32_e32 v23, v24, v23
	v_mul_lo_u32 v24, s5, v3
	v_add_u32_e32 v23, v23, v24
	v_mul_lo_u32 v25, s4, v3
	v_mul_hi_u32 v26, v22, v25
	v_mul_lo_u32 v27, v22, v25
	v_mul_lo_u32 v29, v3, v23
	v_mul_hi_u32 v25, v3, v25
	v_mul_hi_u32 v28, v3, v23
	v_add_co_u32_e32 v25, vcc, v25, v29
	v_addc_co_u32_e32 v28, vcc, 0, v28, vcc
	v_add_co_u32_e32 v25, vcc, v25, v27
	v_mul_hi_u32 v24, v22, v23
	v_addc_co_u32_e32 v25, vcc, v28, v26, vcc
	v_addc_co_u32_e32 v24, vcc, 0, v24, vcc
	v_mul_lo_u32 v23, v22, v23
	v_add_co_u32_e32 v23, vcc, v25, v23
	v_addc_co_u32_e32 v24, vcc, 0, v24, vcc
	v_add_co_u32_e32 v3, vcc, v3, v23
	v_addc_co_u32_e32 v24, vcc, v22, v24, vcc
	v_mad_u64_u32 v[22:23], s[4:5], v18, v24, 0
	v_mul_hi_u32 v25, v18, v3
	v_add_co_u32_e32 v26, vcc, v25, v22
	v_addc_co_u32_e32 v27, vcc, 0, v23, vcc
	v_mad_u64_u32 v[22:23], s[4:5], v19, v24, 0
	v_mad_u64_u32 v[24:25], s[4:5], v19, v3, 0
	v_add_co_u32_e32 v3, vcc, v26, v24
	v_addc_co_u32_e32 v3, vcc, v27, v25, vcc
	v_addc_co_u32_e32 v23, vcc, 0, v23, vcc
	v_add_co_u32_e32 v3, vcc, v3, v22
	v_addc_co_u32_e32 v24, vcc, 0, v23, vcc
	v_mul_lo_u32 v25, s55, v3
	v_mul_lo_u32 v26, s54, v24
	v_mad_u64_u32 v[22:23], s[4:5], s54, v3, 0
	v_add3_u32 v23, v23, v26, v25
	v_sub_u32_e32 v25, v19, v23
	v_mov_b32_e32 v26, s55
	v_sub_co_u32_e32 v22, vcc, v18, v22
	v_subb_co_u32_e64 v25, s[4:5], v25, v26, vcc
	v_subrev_co_u32_e64 v26, s[4:5], s54, v22
	v_subbrev_co_u32_e64 v25, s[4:5], 0, v25, s[4:5]
	v_cmp_le_u32_e64 s[4:5], s55, v25
	v_cndmask_b32_e64 v27, 0, -1, s[4:5]
	v_cmp_le_u32_e64 s[4:5], s54, v26
	v_cndmask_b32_e64 v26, 0, -1, s[4:5]
	v_cmp_eq_u32_e64 s[4:5], s55, v25
	v_cndmask_b32_e64 v25, v27, v26, s[4:5]
	v_add_co_u32_e64 v26, s[4:5], 2, v3
	v_addc_co_u32_e64 v27, s[4:5], 0, v24, s[4:5]
	v_add_co_u32_e64 v28, s[4:5], 1, v3
	v_addc_co_u32_e64 v29, s[4:5], 0, v24, s[4:5]
	v_subb_co_u32_e32 v23, vcc, v19, v23, vcc
	v_cmp_ne_u32_e64 s[4:5], 0, v25
	v_cmp_le_u32_e32 vcc, s55, v23
	v_cndmask_b32_e64 v25, v29, v27, s[4:5]
	v_cndmask_b32_e64 v27, 0, -1, vcc
	v_cmp_le_u32_e32 vcc, s54, v22
	v_cndmask_b32_e64 v22, 0, -1, vcc
	v_cmp_eq_u32_e32 vcc, s55, v23
	v_cndmask_b32_e32 v22, v27, v22, vcc
	v_cmp_ne_u32_e32 vcc, 0, v22
	v_cndmask_b32_e64 v22, v28, v26, s[4:5]
	v_cndmask_b32_e32 v23, v24, v25, vcc
	v_cndmask_b32_e32 v22, v3, v22, vcc
.LBB65_61:                              ;   in Loop: Header=BB65_59 Depth=2
	s_andn2_saveexec_b64 s[4:5], s[56:57]
	s_cbranch_execz .LBB65_58
; %bb.62:                               ;   in Loop: Header=BB65_59 Depth=2
	v_cvt_f32_u32_e32 v3, s54
	s_sub_i32 s56, 0, s54
	v_rcp_iflag_f32_e32 v3, v3
	v_mul_f32_e32 v3, 0x4f7ffffe, v3
	v_cvt_u32_f32_e32 v3, v3
	v_mul_lo_u32 v22, s56, v3
	v_mul_hi_u32 v22, v3, v22
	v_add_u32_e32 v3, v3, v22
	v_mul_hi_u32 v3, v18, v3
	v_mul_lo_u32 v22, v3, s54
	v_sub_u32_e32 v22, v18, v22
	v_add_u32_e32 v23, 1, v3
	v_subrev_u32_e32 v24, s54, v22
	v_cmp_le_u32_e32 vcc, s54, v22
	v_cndmask_b32_e32 v22, v22, v24, vcc
	v_cndmask_b32_e32 v3, v3, v23, vcc
	v_add_u32_e32 v23, 1, v3
	v_cmp_le_u32_e32 vcc, s54, v22
	v_cndmask_b32_e32 v22, v3, v23, vcc
	v_mov_b32_e32 v23, v2
	s_branch .LBB65_58
.LBB65_63:                              ;   in Loop: Header=BB65_3 Depth=1
	v_mad_u64_u32 v[18:19], s[0:1], s18, v26, v[18:19]
	v_mul_lo_u32 v3, s18, v27
	v_mul_lo_u32 v24, s19, v26
	v_add3_u32 v19, v24, v19, v3
.LBB65_64:                              ;   in Loop: Header=BB65_3 Depth=1
	s_or_b64 exec, exec, s[6:7]
	v_pk_mov_b32 v[24:25], 0, 0
	s_and_saveexec_b64 s[6:7], s[4:5]
	s_cbranch_execz .LBB65_67
; %bb.65:                               ;   in Loop: Header=BB65_3 Depth=1
	s_and_b64 vcc, exec, s[2:3]
	v_pk_mov_b32 v[24:25], 0, 0
	s_mov_b64 s[2:3], s[34:35]
	s_mov_b32 s54, s65
	s_cbranch_vccz .LBB65_97
.LBB65_66:                              ;   in Loop: Header=BB65_3 Depth=1
	v_mad_u64_u32 v[24:25], s[0:1], s20, v22, v[24:25]
	v_mul_lo_u32 v3, s20, v23
	v_mul_lo_u32 v22, s21, v22
	v_add3_u32 v25, v22, v25, v3
.LBB65_67:                              ;   in Loop: Header=BB65_3 Depth=1
	s_or_b64 exec, exec, s[6:7]
	v_lshlrev_b64 v[12:13], 2, v[12:13]
	v_mov_b32_e32 v3, s17
	v_add_co_u32_e32 v12, vcc, s16, v12
	v_addc_co_u32_e32 v13, vcc, v3, v13, vcc
	v_lshlrev_b64 v[16:17], 2, v[16:17]
	v_add_co_u32_e32 v16, vcc, s16, v16
	v_addc_co_u32_e32 v17, vcc, v3, v17, vcc
	v_lshlrev_b64 v[20:21], 2, v[20:21]
	;; [unrolled: 3-line block ×3, first 2 shown]
	v_add_co_u32_e32 v22, vcc, s16, v22
	v_addc_co_u32_e32 v23, vcc, v3, v23, vcc
	global_load_dword v3, v[12:13], off
	global_load_dword v33, v[16:17], off
	;; [unrolled: 1-line block ×4, first 2 shown]
	s_andn2_b64 vcc, exec, s[26:27]
	v_pk_mov_b32 v[12:13], s[12:13], s[12:13] op_sel:[0,1]
	v_pk_mov_b32 v[16:17], s[10:11], s[10:11] op_sel:[0,1]
	s_cbranch_vccnz .LBB65_69
; %bb.68:                               ;   in Loop: Header=BB65_3 Depth=1
	v_pk_mov_b32 v[12:13], s[12:13], s[12:13] op_sel:[0,1]
	flat_load_dwordx2 v[12:13], v[12:13]
	v_pk_mov_b32 v[16:17], s[10:11], s[10:11] op_sel:[0,1]
	flat_load_dwordx2 v[16:17], v[16:17]
	v_mov_b32_e32 v20, s15
	s_waitcnt vmcnt(0) lgkmcnt(0)
	v_add_co_u32_e32 v12, vcc, s14, v12
	v_addc_co_u32_e32 v13, vcc, v13, v20, vcc
.LBB65_69:                              ;   in Loop: Header=BB65_3 Depth=1
	v_alignbit_b32 v28, v13, v12, 2
	v_lshrrev_b32_e32 v29, 2, v13
	v_xor_b32_e32 v20, v6, v16
	v_and_b32_e32 v36, 3, v12
	v_mad_u64_u32 v[12:13], s[0:1], v28, s66, 0
	v_xor_b32_e32 v20, v20, v29
	v_xor_b32_e32 v13, v13, v17
	v_add_u32_e32 v41, 0xbb67ae85, v17
	v_mad_u64_u32 v[20:21], s[0:1], v20, s66, 0
	v_mad_u64_u32 v[22:23], s[0:1], v13, s33, 0
	v_xor_b32_e32 v21, v41, v21
	v_add_u32_e32 v40, 0x9e3779b9, v16
	v_xor_b32_e32 v13, v4, v23
	v_xor_b32_e32 v21, v21, v12
	v_xor_b32_e32 v13, v13, v40
	v_add_u32_e32 v42, 0x3c6ef372, v16
	v_mad_u64_u32 v[24:25], s[0:1], v21, s33, 0
	v_add_u32_e32 v43, 0x76cf5d0a, v17
	v_mad_u64_u32 v[12:13], s[0:1], v13, s66, 0
	v_xor_b32_e32 v21, v42, v25
	v_xor_b32_e32 v21, v21, v22
	v_xor_b32_e32 v13, v43, v13
	v_xor_b32_e32 v13, v13, v20
	v_add_u32_e32 v45, 0x32370b8f, v17
	v_mad_u64_u32 v[20:21], s[0:1], v21, s66, 0
	v_add_u32_e32 v44, 0xdaa66d2b, v16
	v_mad_u64_u32 v[22:23], s[0:1], v13, s33, 0
	v_xor_b32_e32 v21, v45, v21
	;; [unrolled: 8-line block ×5, first 2 shown]
	v_xor_b32_e32 v21, v21, v22
	v_xor_b32_e32 v13, v51, v13
	v_xor_b32_e32 v13, v13, v20
	v_add_u32_e32 v53, 0x1fd5c5a3, v17
	v_mad_u64_u32 v[20:21], s[0:1], v21, s66, 0
	v_xor_b32_e32 v21, v53, v21
	v_xor_b32_e32 v12, v21, v12
	v_add_u32_e32 v52, 0x5384540f, v16
	v_mad_u64_u32 v[26:27], s[0:1], v13, s33, 0
	v_add_co_u32_e32 v38, vcc, s67, v16
	v_mad_u64_u32 v[22:23], s[0:1], v12, s33, 0
	v_xor_b32_e32 v13, v52, v27
	v_xor_b32_e32 v12, v38, v23
	;; [unrolled: 1-line block ×4, first 2 shown]
	v_mad_u64_u32 v[24:25], s[0:1], v13, s66, 0
	v_mad_u64_u32 v[12:13], s[0:1], v12, s66, 0
	v_add_u32_e32 v39, 0x96a522ad, v17
	v_xor_b32_e32 v13, v13, v24
	v_xor_b32_e32 v37, v39, v13
	v_add_co_u32_e32 v13, vcc, 1, v28
	v_cndmask_b32_e64 v24, 0, 1, vcc
	v_addc_co_u32_e32 v30, vcc, 0, v29, vcc
	v_cmp_eq_u32_e32 vcc, 0, v30
	v_cndmask_b32_e32 v24, 0, v24, vcc
	v_add_u32_e32 v28, v24, v7
	v_cmp_eq_u32_e32 vcc, 0, v28
	v_mad_u64_u32 v[26:27], s[0:1], v13, s66, 0
	v_mad_u64_u32 v[28:29], s[0:1], v28, s33, 0
	v_add_u32_e32 v23, 0x8ff34781, v16
	v_cndmask_b32_e32 v24, 0, v24, vcc
	v_xor_b32_e32 v13, v29, v16
	v_xor_b32_e32 v16, v27, v17
	;; [unrolled: 1-line block ×4, first 2 shown]
	v_mad_u64_u32 v[30:31], s[0:1], v24, s33, 0
	v_add_u32_e32 v21, 0xdb3d7428, v17
	v_mad_u64_u32 v[16:17], s[0:1], v13, s66, 0
	v_xor_b32_e32 v13, v40, v31
	v_xor_b32_e32 v13, v13, v28
	v_xor_b32_e32 v17, v41, v17
	v_xor_b32_e32 v17, v17, v26
	v_mad_u64_u32 v[26:27], s[0:1], v13, s66, 0
	v_mad_u64_u32 v[28:29], s[0:1], v17, s33, 0
	v_xor_b32_e32 v17, v43, v27
	v_xor_b32_e32 v13, v42, v29
	v_xor_b32_e32 v24, v17, v16
	v_xor_b32_e32 v13, v13, v30
	v_mad_u64_u32 v[30:31], s[0:1], v24, s33, 0
	v_mad_u64_u32 v[16:17], s[0:1], v13, s66, 0
	v_xor_b32_e32 v13, v44, v31
	v_xor_b32_e32 v13, v13, v28
	v_xor_b32_e32 v17, v45, v17
	v_xor_b32_e32 v17, v17, v26
	v_mad_u64_u32 v[26:27], s[0:1], v13, s66, 0
	v_mad_u64_u32 v[28:29], s[0:1], v17, s33, 0
	v_xor_b32_e32 v17, v47, v27
	v_xor_b32_e32 v13, v46, v29
	v_xor_b32_e32 v24, v17, v16
	v_xor_b32_e32 v13, v13, v30
	v_mad_u64_u32 v[30:31], s[0:1], v24, s33, 0
	v_mad_u64_u32 v[16:17], s[0:1], v13, s66, 0
	v_xor_b32_e32 v13, v48, v31
	v_xor_b32_e32 v13, v13, v28
	v_xor_b32_e32 v17, v49, v17
	v_xor_b32_e32 v17, v17, v26
	v_mad_u64_u32 v[28:29], s[0:1], v13, s66, 0
	v_mad_u64_u32 v[40:41], s[0:1], v17, s33, 0
	v_xor_b32_e32 v17, v51, v29
	v_xor_b32_e32 v13, v50, v41
	v_xor_b32_e32 v24, v17, v16
	v_xor_b32_e32 v13, v13, v30
	v_mad_u64_u32 v[26:27], s[0:1], v24, s33, 0
	v_mad_u64_u32 v[16:17], s[0:1], v13, s66, 0
	v_xor_b32_e32 v13, v52, v27
	v_xor_b32_e32 v13, v13, v40
	v_xor_b32_e32 v17, v53, v17
	v_xor_b32_e32 v17, v17, v28
	v_mad_u64_u32 v[28:29], s[0:1], v13, s66, 0
	v_xor_b32_e32 v13, v21, v29
	v_xor_b32_e32 v13, v13, v16
	v_mad_u64_u32 v[30:31], s[0:1], v17, s33, 0
	v_mad_u64_u32 v[16:17], s[0:1], v13, s33, 0
	v_xor_b32_e32 v13, v17, v30
	v_xor_b32_e32 v13, v23, v13
	v_cmp_lt_i32_e32 vcc, 1, v36
                                        ; implicit-def: $vgpr27
	s_and_saveexec_b64 s[0:1], vcc
	s_xor_b64 s[0:1], exec, s[0:1]
	s_cbranch_execz .LBB65_75
; %bb.70:                               ;   in Loop: Header=BB65_3 Depth=1
	v_cmp_lt_i32_e32 vcc, 2, v36
                                        ; implicit-def: $vgpr27
	s_and_saveexec_b64 s[2:3], vcc
	s_xor_b64 s[2:3], exec, s[2:3]
; %bb.71:                               ;   in Loop: Header=BB65_3 Depth=1
	v_xor_b32_e32 v17, v38, v31
	v_xor_b32_e32 v17, v17, v26
	v_mul_hi_u32 v17, v17, s66
	v_xor_b32_e32 v17, v17, v28
	v_xor_b32_e32 v27, v39, v17
                                        ; implicit-def: $vgpr37
; %bb.72:                               ;   in Loop: Header=BB65_3 Depth=1
	s_andn2_saveexec_b64 s[2:3], s[2:3]
; %bb.73:                               ;   in Loop: Header=BB65_3 Depth=1
	v_mov_b32_e32 v27, v16
	v_mov_b32_e32 v16, v13
	v_mov_b32_e32 v13, v12
	v_mov_b32_e32 v12, v37
; %bb.74:                               ;   in Loop: Header=BB65_3 Depth=1
	s_or_b64 exec, exec, s[2:3]
                                        ; implicit-def: $vgpr20_vgpr21
                                        ; implicit-def: $vgpr22_vgpr23
                                        ; implicit-def: $vgpr36
                                        ; implicit-def: $vgpr37
                                        ; implicit-def: $vgpr24_vgpr25
                                        ; implicit-def: $vgpr21
                                        ; implicit-def: $vgpr23
.LBB65_75:                              ;   in Loop: Header=BB65_3 Depth=1
	s_andn2_saveexec_b64 s[0:1], s[0:1]
	s_cbranch_execz .LBB65_79
; %bb.76:                               ;   in Loop: Header=BB65_3 Depth=1
	v_xor_b32_e32 v16, v21, v25
	v_xor_b32_e32 v16, v16, v20
	v_mad_u64_u32 v[20:21], s[2:3], v16, s33, 0
	v_xor_b32_e32 v16, v21, v22
	v_xor_b32_e32 v17, v23, v16
	v_cmp_eq_u32_e32 vcc, 1, v36
	v_mov_b32_e32 v27, v12
	v_mov_b32_e32 v16, v37
	v_mov_b32_e32 v21, v20
	s_and_saveexec_b64 s[2:3], vcc
; %bb.77:                               ;   in Loop: Header=BB65_3 Depth=1
	v_mov_b32_e32 v27, v13
	v_mov_b32_e32 v16, v12
	;; [unrolled: 1-line block ×4, first 2 shown]
; %bb.78:                               ;   in Loop: Header=BB65_3 Depth=1
	s_or_b64 exec, exec, s[2:3]
	v_mov_b32_e32 v12, v17
	v_mov_b32_e32 v13, v21
.LBB65_79:                              ;   in Loop: Header=BB65_3 Depth=1
	s_or_b64 exec, exec, s[0:1]
	v_min_i32_e32 v17, 4, v32
	v_cmp_lt_i32_e32 vcc, 2, v17
	s_mov_b64 s[2:3], 0
	s_mov_b64 s[58:59], 0
	;; [unrolled: 1-line block ×3, first 2 shown]
                                        ; implicit-def: $sgpr6_sgpr7
                                        ; implicit-def: $sgpr52_sgpr53
                                        ; implicit-def: $sgpr54_sgpr55
	s_and_saveexec_b64 s[0:1], vcc
	s_xor_b64 s[56:57], exec, s[0:1]
	s_cbranch_execz .LBB65_91
; %bb.80:                               ;   in Loop: Header=BB65_3 Depth=1
	v_cmp_lt_i32_e32 vcc, 3, v17
	s_mov_b64 s[0:1], -1
	s_mov_b64 s[60:61], 0
                                        ; implicit-def: $sgpr4_sgpr5
                                        ; implicit-def: $sgpr6_sgpr7
	s_and_saveexec_b64 s[52:53], vcc
	s_cbranch_execz .LBB65_86
; %bb.81:                               ;   in Loop: Header=BB65_3 Depth=1
	v_cmp_eq_u32_e32 vcc, 4, v17
	s_mov_b64 s[0:1], 0
	s_mov_b64 s[60:61], -1
                                        ; implicit-def: $sgpr4_sgpr5
                                        ; implicit-def: $sgpr6_sgpr7
	s_and_saveexec_b64 s[54:55], vcc
	s_cbranch_execz .LBB65_85
; %bb.82:                               ;   in Loop: Header=BB65_3 Depth=1
	s_waitcnt vmcnt(0)
	v_cmp_le_f32_e32 vcc, 0, v35
	v_cmp_ge_f32_e64 s[0:1], 1.0, v35
	s_and_b64 s[60:61], vcc, s[0:1]
	s_mov_b64 s[4:5], 0
	s_mov_b64 s[0:1], 0
	s_and_saveexec_b64 s[6:7], s[60:61]
	s_cbranch_execz .LBB65_84
; %bb.83:                               ;   in Loop: Header=BB65_3 Depth=1
	v_cvt_f32_u32_e32 v20, v27
	v_mov_b32_e32 v21, 0x2f800000
	v_lshlrev_b64 v[18:19], 1, v[18:19]
	v_add_co_u32_e32 v18, vcc, s24, v18
	v_fmac_f32_e32 v21, 0x2f800000, v20
	v_mov_b32_e32 v20, s25
	v_addc_co_u32_e32 v19, vcc, v20, v19, vcc
	v_cmp_le_f32_e32 vcc, v21, v35
	s_mov_b64 s[0:1], exec
	v_cndmask_b32_e64 v20, 0, 1, vcc
	global_store_short v[18:19], v20, off
.LBB65_84:                              ;   in Loop: Header=BB65_3 Depth=1
	s_or_b64 exec, exec, s[6:7]
	s_mov_b64 s[6:7], -1
	s_xor_b64 s[60:61], exec, -1
	s_and_b64 s[0:1], s[0:1], exec
.LBB65_85:                              ;   in Loop: Header=BB65_3 Depth=1
	s_or_b64 exec, exec, s[54:55]
	s_and_b64 s[60:61], s[60:61], exec
	s_orn2_b64 s[0:1], s[0:1], exec
.LBB65_86:                              ;   in Loop: Header=BB65_3 Depth=1
	s_or_b64 exec, exec, s[52:53]
	s_mov_b64 s[54:55], s[4:5]
	s_and_saveexec_b64 s[52:53], s[0:1]
	s_cbranch_execz .LBB65_90
; %bb.87:                               ;   in Loop: Header=BB65_3 Depth=1
	s_waitcnt vmcnt(1)
	v_cmp_le_f32_e32 vcc, 0, v34
	v_cmp_ge_f32_e64 s[0:1], 1.0, v34
	s_and_b64 s[54:55], vcc, s[0:1]
	s_mov_b64 s[0:1], 0
	s_and_saveexec_b64 s[58:59], s[54:55]
	s_xor_b64 s[54:55], exec, s[58:59]
	s_cbranch_execz .LBB65_89
; %bb.88:                               ;   in Loop: Header=BB65_3 Depth=1
	v_cvt_f32_u32_e32 v16, v16
	v_mov_b32_e32 v18, 0x2f800000
	v_lshlrev_b64 v[14:15], 1, v[14:15]
	v_add_co_u32_e32 v14, vcc, s24, v14
	v_fmac_f32_e32 v18, 0x2f800000, v16
	v_mov_b32_e32 v16, s25
	v_addc_co_u32_e32 v15, vcc, v16, v15, vcc
	v_cmp_le_f32_e32 vcc, v18, v34
	v_cndmask_b32_e64 v16, 0, 1, vcc
	s_mov_b64 s[0:1], exec
	global_store_short v[14:15], v16, off
.LBB65_89:                              ;   in Loop: Header=BB65_3 Depth=1
	s_or_b64 exec, exec, s[54:55]
	s_andn2_b64 s[54:55], s[4:5], exec
	s_or_b64 s[4:5], s[4:5], exec
	s_andn2_b64 s[6:7], s[6:7], exec
	s_and_b64 s[58:59], s[0:1], exec
.LBB65_90:                              ;   in Loop: Header=BB65_3 Depth=1
	s_or_b64 exec, exec, s[52:53]
	s_and_b64 s[54:55], s[54:55], exec
	s_and_b64 s[52:53], s[4:5], exec
	;; [unrolled: 1-line block ×5, first 2 shown]
.LBB65_91:                              ;   in Loop: Header=BB65_3 Depth=1
	s_andn2_saveexec_b64 s[0:1], s[56:57]
; %bb.92:                               ;   in Loop: Header=BB65_3 Depth=1
	v_cmp_lt_i32_e32 vcc, 1, v17
	s_andn2_b64 s[56:57], s[58:59], exec
	s_and_b64 s[58:59], vcc, exec
	s_mov_b64 s[2:3], exec
	s_andn2_b64 s[54:55], s[54:55], exec
	s_andn2_b64 s[52:53], s[52:53], exec
	;; [unrolled: 1-line block ×3, first 2 shown]
	s_or_b64 s[58:59], s[56:57], s[58:59]
; %bb.93:                               ;   in Loop: Header=BB65_3 Depth=1
	s_or_b64 exec, exec, s[0:1]
	s_mov_b64 s[0:1], 0
	s_mov_b64 s[56:57], s[54:55]
	s_and_saveexec_b64 s[60:61], s[58:59]
	s_cbranch_execnz .LBB65_101
; %bb.94:                               ;   in Loop: Header=BB65_3 Depth=1
	s_or_b64 exec, exec, s[60:61]
	s_and_saveexec_b64 s[58:59], s[2:3]
	s_cbranch_execnz .LBB65_104
.LBB65_95:                              ;   in Loop: Header=BB65_3 Depth=1
	s_or_b64 exec, exec, s[58:59]
	s_and_saveexec_b64 s[2:3], s[0:1]
	s_cbranch_execnz .LBB65_105
	s_branch .LBB65_108
.LBB65_96:                              ;   in Loop: Header=BB65_97 Depth=2
	s_or_b64 exec, exec, s[0:1]
	v_mad_u64_u32 v[28:29], s[0:1], v26, s4, 0
	s_load_dwordx2 s[0:1], s[2:3], 0xc8
	v_mul_lo_u32 v3, v27, s4
	v_mul_lo_u32 v30, v26, s5
	v_add3_u32 v3, v29, v30, v3
	v_sub_co_u32_e32 v22, vcc, v22, v28
	s_add_i32 s54, s54, -1
	v_subb_co_u32_e32 v3, vcc, v23, v3, vcc
	s_add_u32 s2, s2, -8
	s_waitcnt lgkmcnt(0)
	v_mul_lo_u32 v3, s0, v3
	v_mul_lo_u32 v23, s1, v22
	v_mad_u64_u32 v[24:25], s[0:1], s0, v22, v[24:25]
	s_addc_u32 s3, s3, -1
	s_cmp_gt_u32 s54, 2
	v_add3_u32 v25, v23, v25, v3
	v_pk_mov_b32 v[22:23], v[26:27], v[26:27] op_sel:[0,1]
	s_cbranch_scc0 .LBB65_66
.LBB65_97:                              ;   Parent Loop BB65_3 Depth=1
                                        ; =>  This Inner Loop Header: Depth=2
	s_load_dwordx2 s[4:5], s[2:3], 0x0
                                        ; implicit-def: $vgpr26_vgpr27
	s_waitcnt lgkmcnt(0)
	v_or_b32_e32 v3, s5, v23
	v_cmp_ne_u64_e32 vcc, 0, v[2:3]
	s_and_saveexec_b64 s[0:1], vcc
	s_xor_b64 s[52:53], exec, s[0:1]
	s_cbranch_execz .LBB65_99
; %bb.98:                               ;   in Loop: Header=BB65_97 Depth=2
	v_cvt_f32_u32_e32 v3, s4
	v_cvt_f32_u32_e32 v26, s5
	s_sub_u32 s0, 0, s4
	s_subb_u32 s1, 0, s5
	v_mac_f32_e32 v3, 0x4f800000, v26
	v_rcp_f32_e32 v3, v3
	v_mul_f32_e32 v3, 0x5f7ffffc, v3
	v_mul_f32_e32 v26, 0x2f800000, v3
	v_trunc_f32_e32 v26, v26
	v_mac_f32_e32 v3, 0xcf800000, v26
	v_cvt_u32_f32_e32 v26, v26
	v_cvt_u32_f32_e32 v3, v3
	v_mul_lo_u32 v27, s0, v26
	v_mul_hi_u32 v29, s0, v3
	v_mul_lo_u32 v28, s1, v3
	v_add_u32_e32 v27, v29, v27
	v_mul_lo_u32 v30, s0, v3
	v_add_u32_e32 v27, v27, v28
	v_mul_hi_u32 v29, v3, v30
	v_mul_lo_u32 v31, v3, v27
	v_mul_hi_u32 v28, v3, v27
	v_add_co_u32_e32 v29, vcc, v29, v31
	v_addc_co_u32_e32 v28, vcc, 0, v28, vcc
	s_waitcnt vmcnt(2)
	v_mul_hi_u32 v33, v26, v30
	v_mul_lo_u32 v30, v26, v30
	v_add_co_u32_e32 v29, vcc, v29, v30
	v_mul_hi_u32 v31, v26, v27
	v_addc_co_u32_e32 v28, vcc, v28, v33, vcc
	v_addc_co_u32_e32 v29, vcc, 0, v31, vcc
	v_mul_lo_u32 v27, v26, v27
	v_add_co_u32_e32 v27, vcc, v28, v27
	v_addc_co_u32_e32 v28, vcc, 0, v29, vcc
	v_add_co_u32_e32 v3, vcc, v3, v27
	v_addc_co_u32_e32 v26, vcc, v26, v28, vcc
	v_mul_lo_u32 v27, s0, v26
	v_mul_hi_u32 v28, s0, v3
	v_add_u32_e32 v27, v28, v27
	v_mul_lo_u32 v28, s1, v3
	v_add_u32_e32 v27, v27, v28
	v_mul_lo_u32 v29, s0, v3
	v_mul_hi_u32 v30, v26, v29
	v_mul_lo_u32 v31, v26, v29
	s_waitcnt vmcnt(1)
	v_mul_lo_u32 v34, v3, v27
	v_mul_hi_u32 v29, v3, v29
	v_mul_hi_u32 v33, v3, v27
	v_add_co_u32_e32 v29, vcc, v29, v34
	v_addc_co_u32_e32 v33, vcc, 0, v33, vcc
	v_add_co_u32_e32 v29, vcc, v29, v31
	v_mul_hi_u32 v28, v26, v27
	v_addc_co_u32_e32 v29, vcc, v33, v30, vcc
	v_addc_co_u32_e32 v28, vcc, 0, v28, vcc
	v_mul_lo_u32 v27, v26, v27
	v_add_co_u32_e32 v27, vcc, v29, v27
	v_addc_co_u32_e32 v28, vcc, 0, v28, vcc
	v_add_co_u32_e32 v3, vcc, v3, v27
	v_addc_co_u32_e32 v28, vcc, v26, v28, vcc
	v_mad_u64_u32 v[26:27], s[0:1], v22, v28, 0
	v_mul_hi_u32 v29, v22, v3
	v_add_co_u32_e32 v30, vcc, v29, v26
	v_addc_co_u32_e32 v31, vcc, 0, v27, vcc
	v_mad_u64_u32 v[26:27], s[0:1], v23, v28, 0
	v_mad_u64_u32 v[28:29], s[0:1], v23, v3, 0
	v_add_co_u32_e32 v3, vcc, v30, v28
	v_addc_co_u32_e32 v3, vcc, v31, v29, vcc
	v_addc_co_u32_e32 v27, vcc, 0, v27, vcc
	v_add_co_u32_e32 v3, vcc, v3, v26
	v_addc_co_u32_e32 v28, vcc, 0, v27, vcc
	v_mul_lo_u32 v29, s5, v3
	v_mul_lo_u32 v30, s4, v28
	v_mad_u64_u32 v[26:27], s[0:1], s4, v3, 0
	v_add3_u32 v27, v27, v30, v29
	v_sub_u32_e32 v29, v23, v27
	v_mov_b32_e32 v30, s5
	v_sub_co_u32_e32 v26, vcc, v22, v26
	v_subb_co_u32_e64 v29, s[0:1], v29, v30, vcc
	v_subrev_co_u32_e64 v30, s[0:1], s4, v26
	v_subbrev_co_u32_e64 v29, s[0:1], 0, v29, s[0:1]
	v_cmp_le_u32_e64 s[0:1], s5, v29
	v_cndmask_b32_e64 v31, 0, -1, s[0:1]
	v_cmp_le_u32_e64 s[0:1], s4, v30
	v_cndmask_b32_e64 v30, 0, -1, s[0:1]
	v_cmp_eq_u32_e64 s[0:1], s5, v29
	v_cndmask_b32_e64 v29, v31, v30, s[0:1]
	v_add_co_u32_e64 v30, s[0:1], 2, v3
	v_addc_co_u32_e64 v31, s[0:1], 0, v28, s[0:1]
	v_add_co_u32_e64 v33, s[0:1], 1, v3
	v_addc_co_u32_e64 v34, s[0:1], 0, v28, s[0:1]
	v_subb_co_u32_e32 v27, vcc, v23, v27, vcc
	v_cmp_ne_u32_e64 s[0:1], 0, v29
	v_cmp_le_u32_e32 vcc, s5, v27
	v_cndmask_b32_e64 v29, v34, v31, s[0:1]
	v_cndmask_b32_e64 v31, 0, -1, vcc
	v_cmp_le_u32_e32 vcc, s4, v26
	v_cndmask_b32_e64 v26, 0, -1, vcc
	v_cmp_eq_u32_e32 vcc, s5, v27
	v_cndmask_b32_e32 v26, v31, v26, vcc
	v_cmp_ne_u32_e32 vcc, 0, v26
	v_cndmask_b32_e64 v26, v33, v30, s[0:1]
	v_cndmask_b32_e32 v27, v28, v29, vcc
	v_cndmask_b32_e32 v26, v3, v26, vcc
.LBB65_99:                              ;   in Loop: Header=BB65_97 Depth=2
	s_andn2_saveexec_b64 s[0:1], s[52:53]
	s_cbranch_execz .LBB65_96
; %bb.100:                              ;   in Loop: Header=BB65_97 Depth=2
	v_cvt_f32_u32_e32 v3, s4
	s_sub_i32 s52, 0, s4
	v_rcp_iflag_f32_e32 v3, v3
	v_mul_f32_e32 v3, 0x4f7ffffe, v3
	v_cvt_u32_f32_e32 v3, v3
	v_mul_lo_u32 v26, s52, v3
	v_mul_hi_u32 v26, v3, v26
	v_add_u32_e32 v3, v3, v26
	v_mul_hi_u32 v3, v22, v3
	v_mul_lo_u32 v26, v3, s4
	v_sub_u32_e32 v26, v22, v26
	v_add_u32_e32 v27, 1, v3
	v_subrev_u32_e32 v28, s4, v26
	v_cmp_le_u32_e32 vcc, s4, v26
	v_cndmask_b32_e32 v26, v26, v28, vcc
	v_cndmask_b32_e32 v3, v3, v27, vcc
	v_add_u32_e32 v27, 1, v3
	v_cmp_le_u32_e32 vcc, s4, v26
	v_cndmask_b32_e32 v26, v3, v27, vcc
	v_mov_b32_e32 v27, v2
	s_branch .LBB65_96
.LBB65_101:                             ;   in Loop: Header=BB65_3 Depth=1
	s_waitcnt vmcnt(2)
	v_cmp_le_f32_e32 vcc, 0, v33
	v_cmp_ge_f32_e64 s[0:1], 1.0, v33
	s_and_b64 s[56:57], vcc, s[0:1]
	s_mov_b64 s[0:1], 0
	s_and_saveexec_b64 s[58:59], s[56:57]
	s_xor_b64 s[56:57], exec, s[58:59]
	s_cbranch_execz .LBB65_103
; %bb.102:                              ;   in Loop: Header=BB65_3 Depth=1
	v_cvt_f32_u32_e32 v13, v13
	v_mov_b32_e32 v14, 0x2f800000
	v_lshlrev_b64 v[10:11], 1, v[10:11]
	v_add_co_u32_e32 v10, vcc, s24, v10
	v_fmac_f32_e32 v14, 0x2f800000, v13
	v_mov_b32_e32 v13, s25
	v_addc_co_u32_e32 v11, vcc, v13, v11, vcc
	v_cmp_le_f32_e32 vcc, v14, v33
	v_cndmask_b32_e64 v13, 0, 1, vcc
	s_mov_b64 s[0:1], exec
	global_store_short v[10:11], v13, off
.LBB65_103:                             ;   in Loop: Header=BB65_3 Depth=1
	s_or_b64 exec, exec, s[56:57]
	s_andn2_b64 s[56:57], s[54:55], exec
	s_or_b64 s[54:55], s[54:55], exec
	s_andn2_b64 s[52:53], s[52:53], exec
	s_andn2_b64 s[6:7], s[6:7], exec
	s_and_b64 s[0:1], s[0:1], exec
	s_andn2_b64 s[2:3], s[2:3], exec
	s_or_b64 exec, exec, s[60:61]
	s_and_saveexec_b64 s[58:59], s[2:3]
	s_cbranch_execz .LBB65_95
.LBB65_104:                             ;   in Loop: Header=BB65_3 Depth=1
	v_cmp_eq_u32_e32 vcc, 1, v17
	s_andn2_b64 s[0:1], s[0:1], exec
	s_and_b64 s[2:3], vcc, exec
	s_andn2_b64 s[56:57], s[56:57], exec
	s_andn2_b64 s[54:55], s[54:55], exec
	;; [unrolled: 1-line block ×4, first 2 shown]
	s_or_b64 s[4:5], s[4:5], exec
	s_or_b64 s[0:1], s[0:1], s[2:3]
	s_or_b64 exec, exec, s[58:59]
	s_and_saveexec_b64 s[2:3], s[0:1]
	s_cbranch_execz .LBB65_108
.LBB65_105:                             ;   in Loop: Header=BB65_3 Depth=1
	s_waitcnt vmcnt(3)
	v_cmp_le_f32_e32 vcc, 0, v3
	v_cmp_ge_f32_e64 s[0:1], 1.0, v3
	s_and_b64 s[60:61], vcc, s[0:1]
	s_mov_b64 s[0:1], 0
	s_and_saveexec_b64 s[58:59], s[60:61]
	s_cbranch_execz .LBB65_107
; %bb.106:                              ;   in Loop: Header=BB65_3 Depth=1
	v_cvt_f32_u32_e32 v10, v12
	v_mov_b32_e32 v11, 0x2f800000
	v_lshlrev_b64 v[8:9], 1, v[8:9]
	v_add_co_u32_e32 v8, vcc, s24, v8
	v_fmac_f32_e32 v11, 0x2f800000, v10
	v_mov_b32_e32 v10, s25
	v_addc_co_u32_e32 v9, vcc, v10, v9, vcc
	v_cmp_le_f32_e32 vcc, v11, v3
	s_mov_b64 s[0:1], exec
	v_cndmask_b32_e64 v3, 0, 1, vcc
	global_store_short v[8:9], v3, off
.LBB65_107:                             ;   in Loop: Header=BB65_3 Depth=1
	s_or_b64 exec, exec, s[58:59]
	s_andn2_b64 s[4:5], s[4:5], exec
	s_and_b64 s[0:1], s[0:1], exec
	s_or_b64 s[56:57], s[56:57], exec
	s_andn2_b64 s[54:55], s[54:55], exec
	s_andn2_b64 s[52:53], s[52:53], exec
	;; [unrolled: 1-line block ×3, first 2 shown]
	s_or_b64 s[4:5], s[4:5], s[0:1]
.LBB65_108:                             ;   in Loop: Header=BB65_3 Depth=1
	s_or_b64 exec, exec, s[2:3]
	s_andn2_b64 s[2:3], s[50:51], exec
	s_and_b64 s[50:51], s[56:57], exec
	s_or_b64 s[50:51], s[2:3], s[50:51]
	s_andn2_b64 s[2:3], s[48:49], exec
	s_and_b64 s[48:49], s[54:55], exec
	s_or_b64 s[48:49], s[2:3], s[48:49]
	;; [unrolled: 3-line block ×3, first 2 shown]
	s_andn2_b64 s[2:3], s[44:45], exec
	s_and_b64 s[6:7], s[6:7], exec
	s_mov_b64 s[0:1], -1
	s_or_b64 s[44:45], s[2:3], s[6:7]
	s_and_saveexec_b64 s[2:3], s[4:5]
	s_cbranch_execz .LBB65_2
; %bb.109:                              ;   in Loop: Header=BB65_3 Depth=1
	s_waitcnt vmcnt(3)
	v_mov_b32_e32 v3, s63
	v_add_co_u32_e32 v0, vcc, s62, v0
	v_addc_co_u32_e32 v1, vcc, v1, v3, vcc
	v_cmp_le_u64_e32 vcc, s[8:9], v[0:1]
	s_andn2_b64 s[50:51], s[50:51], exec
	s_andn2_b64 s[48:49], s[48:49], exec
	;; [unrolled: 1-line block ×4, first 2 shown]
	s_orn2_b64 s[0:1], vcc, exec
	s_branch .LBB65_2
.LBB65_110:
	s_or_b64 exec, exec, s[36:37]
	s_xor_b64 s[6:7], s[42:43], -1
	s_xor_b64 s[8:9], s[40:41], -1
	;; [unrolled: 1-line block ×3, first 2 shown]
	s_mov_b64 s[2:3], 0
	s_and_saveexec_b64 s[4:5], s[0:1]
	s_xor_b64 s[0:1], exec, s[4:5]
	s_cbranch_execnz .LBB65_115
; %bb.111:
	s_andn2_saveexec_b64 s[0:1], s[0:1]
	s_cbranch_execnz .LBB65_123
.LBB65_112:
	s_or_b64 exec, exec, s[0:1]
	s_and_b64 exec, exec, s[2:3]
.LBB65_113:
	; divergent unreachable
.LBB65_114:
	s_endpgm
.LBB65_115:
	s_mov_b64 s[4:5], 0
	s_and_saveexec_b64 s[2:3], s[8:9]
	s_xor_b64 s[2:3], exec, s[2:3]
	s_cbranch_execz .LBB65_121
; %bb.116:
	s_and_saveexec_b64 s[8:9], s[6:7]
	s_xor_b64 s[6:7], exec, s[8:9]
	s_cbranch_execz .LBB65_119
; %bb.117:
	s_and_saveexec_b64 s[8:9], s[28:29]
	s_xor_b64 s[8:9], exec, s[8:9]
	s_cbranch_execnz .LBB65_126
.LBB65_118:
	s_or_b64 exec, exec, s[8:9]
	s_and_b64 s[4:5], s[4:5], exec
.LBB65_119:
	s_andn2_saveexec_b64 s[6:7], s[6:7]
	s_cbranch_execnz .LBB65_125
.LBB65_120:
	s_or_b64 exec, exec, s[6:7]
	s_and_b64 s[4:5], s[4:5], exec
.LBB65_121:
	s_andn2_saveexec_b64 s[2:3], s[2:3]
	s_cbranch_execnz .LBB65_124
.LBB65_122:
	s_or_b64 exec, exec, s[2:3]
	s_and_b64 s[2:3], s[4:5], exec
	s_andn2_saveexec_b64 s[0:1], s[0:1]
	s_cbranch_execz .LBB65_112
.LBB65_123:
	s_or_b64 s[2:3], s[2:3], exec
	s_trap 2
	s_or_b64 exec, exec, s[0:1]
	s_and_b64 exec, exec, s[2:3]
	s_cbranch_execnz .LBB65_113
	s_branch .LBB65_114
.LBB65_124:
	s_or_b64 s[4:5], s[4:5], exec
	s_trap 2
	s_branch .LBB65_122
.LBB65_125:
	s_trap 2
	s_or_b64 s[4:5], s[4:5], exec
	s_branch .LBB65_120
.LBB65_126:
	s_mov_b64 s[4:5], exec
	s_trap 2
	s_branch .LBB65_118
	.section	.rodata,"a",@progbits
	.p2align	6, 0x0
	.amdhsa_kernel _ZN2at4cuda12_GLOBAL__N_121kernelPointwiseApply2IZNS_6native9templates4cuda28bernoulli_tensor_cuda_kernelIsfEEvRKNS_10TensorBaseES9_NS_15PhiloxCudaStateEEUliRsSB_SB_SB_RKfSD_SD_SD_E_sSC_mLin1ELin1ELi4ELi512ELi2EEEvNS0_6detail10TensorInfoIT0_T2_EENSG_IT1_SI_EESI_T_
		.amdhsa_group_segment_fixed_size 0
		.amdhsa_private_segment_fixed_size 0
		.amdhsa_kernarg_size 1128
		.amdhsa_user_sgpr_count 6
		.amdhsa_user_sgpr_private_segment_buffer 1
		.amdhsa_user_sgpr_dispatch_ptr 0
		.amdhsa_user_sgpr_queue_ptr 0
		.amdhsa_user_sgpr_kernarg_segment_ptr 1
		.amdhsa_user_sgpr_dispatch_id 0
		.amdhsa_user_sgpr_flat_scratch_init 0
		.amdhsa_user_sgpr_kernarg_preload_length 0
		.amdhsa_user_sgpr_kernarg_preload_offset 0
		.amdhsa_user_sgpr_private_segment_size 0
		.amdhsa_uses_dynamic_stack 0
		.amdhsa_system_sgpr_private_segment_wavefront_offset 0
		.amdhsa_system_sgpr_workgroup_id_x 1
		.amdhsa_system_sgpr_workgroup_id_y 0
		.amdhsa_system_sgpr_workgroup_id_z 0
		.amdhsa_system_sgpr_workgroup_info 0
		.amdhsa_system_vgpr_workitem_id 0
		.amdhsa_next_free_vgpr 54
		.amdhsa_next_free_sgpr 68
		.amdhsa_accum_offset 56
		.amdhsa_reserve_vcc 1
		.amdhsa_reserve_flat_scratch 0
		.amdhsa_float_round_mode_32 0
		.amdhsa_float_round_mode_16_64 0
		.amdhsa_float_denorm_mode_32 3
		.amdhsa_float_denorm_mode_16_64 3
		.amdhsa_dx10_clamp 1
		.amdhsa_ieee_mode 1
		.amdhsa_fp16_overflow 0
		.amdhsa_tg_split 0
		.amdhsa_exception_fp_ieee_invalid_op 0
		.amdhsa_exception_fp_denorm_src 0
		.amdhsa_exception_fp_ieee_div_zero 0
		.amdhsa_exception_fp_ieee_overflow 0
		.amdhsa_exception_fp_ieee_underflow 0
		.amdhsa_exception_fp_ieee_inexact 0
		.amdhsa_exception_int_div_zero 0
	.end_amdhsa_kernel
	.section	.text._ZN2at4cuda12_GLOBAL__N_121kernelPointwiseApply2IZNS_6native9templates4cuda28bernoulli_tensor_cuda_kernelIsfEEvRKNS_10TensorBaseES9_NS_15PhiloxCudaStateEEUliRsSB_SB_SB_RKfSD_SD_SD_E_sSC_mLin1ELin1ELi4ELi512ELi2EEEvNS0_6detail10TensorInfoIT0_T2_EENSG_IT1_SI_EESI_T_,"axG",@progbits,_ZN2at4cuda12_GLOBAL__N_121kernelPointwiseApply2IZNS_6native9templates4cuda28bernoulli_tensor_cuda_kernelIsfEEvRKNS_10TensorBaseES9_NS_15PhiloxCudaStateEEUliRsSB_SB_SB_RKfSD_SD_SD_E_sSC_mLin1ELin1ELi4ELi512ELi2EEEvNS0_6detail10TensorInfoIT0_T2_EENSG_IT1_SI_EESI_T_,comdat
.Lfunc_end65:
	.size	_ZN2at4cuda12_GLOBAL__N_121kernelPointwiseApply2IZNS_6native9templates4cuda28bernoulli_tensor_cuda_kernelIsfEEvRKNS_10TensorBaseES9_NS_15PhiloxCudaStateEEUliRsSB_SB_SB_RKfSD_SD_SD_E_sSC_mLin1ELin1ELi4ELi512ELi2EEEvNS0_6detail10TensorInfoIT0_T2_EENSG_IT1_SI_EESI_T_, .Lfunc_end65-_ZN2at4cuda12_GLOBAL__N_121kernelPointwiseApply2IZNS_6native9templates4cuda28bernoulli_tensor_cuda_kernelIsfEEvRKNS_10TensorBaseES9_NS_15PhiloxCudaStateEEUliRsSB_SB_SB_RKfSD_SD_SD_E_sSC_mLin1ELin1ELi4ELi512ELi2EEEvNS0_6detail10TensorInfoIT0_T2_EENSG_IT1_SI_EESI_T_
                                        ; -- End function
	.section	.AMDGPU.csdata,"",@progbits
; Kernel info:
; codeLenInByte = 10288
; NumSgprs: 72
; NumVgprs: 54
; NumAgprs: 0
; TotalNumVgprs: 54
; ScratchSize: 0
; MemoryBound: 0
; FloatMode: 240
; IeeeMode: 1
; LDSByteSize: 0 bytes/workgroup (compile time only)
; SGPRBlocks: 8
; VGPRBlocks: 6
; NumSGPRsForWavesPerEU: 72
; NumVGPRsForWavesPerEU: 54
; AccumOffset: 56
; Occupancy: 8
; WaveLimiterHint : 1
; COMPUTE_PGM_RSRC2:SCRATCH_EN: 0
; COMPUTE_PGM_RSRC2:USER_SGPR: 6
; COMPUTE_PGM_RSRC2:TRAP_HANDLER: 0
; COMPUTE_PGM_RSRC2:TGID_X_EN: 1
; COMPUTE_PGM_RSRC2:TGID_Y_EN: 0
; COMPUTE_PGM_RSRC2:TGID_Z_EN: 0
; COMPUTE_PGM_RSRC2:TIDIG_COMP_CNT: 0
; COMPUTE_PGM_RSRC3_GFX90A:ACCUM_OFFSET: 13
; COMPUTE_PGM_RSRC3_GFX90A:TG_SPLIT: 0
	.section	.text._ZN2at4cuda12_GLOBAL__N_121kernelPointwiseApply2IZNS_6native9templates4cuda28bernoulli_tensor_cuda_kernelIdfEEvRKNS_10TensorBaseES9_NS_15PhiloxCudaStateEEUliRdSB_SB_SB_RKfSD_SD_SD_E_dSC_jLi1ELi1ELi4ELi512ELi2EEEvNS0_6detail10TensorInfoIT0_T2_EENSG_IT1_SI_EESI_T_,"axG",@progbits,_ZN2at4cuda12_GLOBAL__N_121kernelPointwiseApply2IZNS_6native9templates4cuda28bernoulli_tensor_cuda_kernelIdfEEvRKNS_10TensorBaseES9_NS_15PhiloxCudaStateEEUliRdSB_SB_SB_RKfSD_SD_SD_E_dSC_jLi1ELi1ELi4ELi512ELi2EEEvNS0_6detail10TensorInfoIT0_T2_EENSG_IT1_SI_EESI_T_,comdat
	.globl	_ZN2at4cuda12_GLOBAL__N_121kernelPointwiseApply2IZNS_6native9templates4cuda28bernoulli_tensor_cuda_kernelIdfEEvRKNS_10TensorBaseES9_NS_15PhiloxCudaStateEEUliRdSB_SB_SB_RKfSD_SD_SD_E_dSC_jLi1ELi1ELi4ELi512ELi2EEEvNS0_6detail10TensorInfoIT0_T2_EENSG_IT1_SI_EESI_T_ ; -- Begin function _ZN2at4cuda12_GLOBAL__N_121kernelPointwiseApply2IZNS_6native9templates4cuda28bernoulli_tensor_cuda_kernelIdfEEvRKNS_10TensorBaseES9_NS_15PhiloxCudaStateEEUliRdSB_SB_SB_RKfSD_SD_SD_E_dSC_jLi1ELi1ELi4ELi512ELi2EEEvNS0_6detail10TensorInfoIT0_T2_EENSG_IT1_SI_EESI_T_
	.p2align	8
	.type	_ZN2at4cuda12_GLOBAL__N_121kernelPointwiseApply2IZNS_6native9templates4cuda28bernoulli_tensor_cuda_kernelIdfEEvRKNS_10TensorBaseES9_NS_15PhiloxCudaStateEEUliRdSB_SB_SB_RKfSD_SD_SD_E_dSC_jLi1ELi1ELi4ELi512ELi2EEEvNS0_6detail10TensorInfoIT0_T2_EENSG_IT1_SI_EESI_T_,@function
_ZN2at4cuda12_GLOBAL__N_121kernelPointwiseApply2IZNS_6native9templates4cuda28bernoulli_tensor_cuda_kernelIdfEEvRKNS_10TensorBaseES9_NS_15PhiloxCudaStateEEUliRdSB_SB_SB_RKfSD_SD_SD_E_dSC_jLi1ELi1ELi4ELi512ELi2EEEvNS0_6detail10TensorInfoIT0_T2_EENSG_IT1_SI_EESI_T_: ; @_ZN2at4cuda12_GLOBAL__N_121kernelPointwiseApply2IZNS_6native9templates4cuda28bernoulli_tensor_cuda_kernelIdfEEvRKNS_10TensorBaseES9_NS_15PhiloxCudaStateEEUliRdSB_SB_SB_RKfSD_SD_SD_E_dSC_jLi1ELi1ELi4ELi512ELi2EEEvNS0_6detail10TensorInfoIT0_T2_EENSG_IT1_SI_EESI_T_
; %bb.0:
	s_load_dword s2, s[4:5], 0x1e4
	s_load_dword s33, s[4:5], 0x1b0
	s_add_u32 s0, s4, 0x1d8
	s_addc_u32 s1, s5, 0
	s_waitcnt lgkmcnt(0)
	s_and_b32 s2, s2, 0xffff
	s_mul_i32 s6, s6, s2
	v_add_u32_e32 v5, s6, v0
	v_lshlrev_b32_e32 v22, 2, v5
	v_cmp_gt_u32_e32 vcc, s33, v22
	s_and_saveexec_b64 s[6:7], vcc
	s_cbranch_execz .LBB66_43
; %bb.1:
	s_load_dword s3, s[0:1], 0x0
	s_load_dword s6, s[4:5], 0x1d0
	s_load_dwordx2 s[16:17], s[4:5], 0x0
	s_load_dword s7, s[4:5], 0x6c
	s_load_dwordx2 s[18:19], s[4:5], 0xd8
	;; [unrolled: 2-line block ×3, first 2 shown]
	s_load_dwordx4 s[12:15], s[4:5], 0x1b8
	s_mov_b32 s54, 0xcd9e8d57
	s_waitcnt lgkmcnt(0)
	v_mul_lo_u32 v2, s7, v22
	s_bitcmp1_b32 s6, 0
	v_mad_u64_u32 v[0:1], s[0:1], v5, s54, 0
	v_add_u32_e32 v23, s7, v2
	v_add_u32_e32 v2, 2, v22
	s_mul_i32 s2, s3, s2
	s_cselect_b64 s[0:1], -1, 0
	v_mul_lo_u32 v24, s7, v2
	v_mul_lo_u32 v7, s7, v5
	;; [unrolled: 1-line block ×4, first 2 shown]
	s_lshl_b32 s56, s2, 2
	s_mul_i32 s3, s2, s7
	v_add_u32_e32 v6, 3, v22
	v_lshlrev_b32_e32 v26, 2, v7
	v_mul_lo_u32 v7, s8, v22
	s_mul_i32 s2, s2, s8
	v_lshlrev_b32_e32 v30, 2, v2
	v_cndmask_b32_e64 v2, 0, 1, s[0:1]
	s_mov_b32 s55, 0
	v_mov_b32_e32 v3, 0
	v_mov_b32_e32 v4, v1
	v_sub_u32_e32 v1, s33, v22
	s_lshl_b32 s57, s3, 2
	v_mul_lo_u32 v25, s7, v6
	v_add_u32_e32 v27, s8, v7
	s_lshl_b32 s58, s2, 2
	v_mul_lo_u32 v29, s8, v6
	s_mov_b64 s[24:25], 0
	v_mov_b32_e32 v31, s19
	v_cmp_ne_u32_e64 s[0:1], 1, v2
	s_mov_b32 s19, 0xd2511f53
	s_mov_b32 s59, 0xf1bbcdc8
	v_mov_b32_e32 v32, 0x3ff00000
	s_mov_b32 s60, 0
                                        ; implicit-def: $sgpr26_sgpr27
                                        ; implicit-def: $sgpr28_sgpr29
                                        ; implicit-def: $sgpr30_sgpr31
                                        ; implicit-def: $sgpr22_sgpr23
                                        ; implicit-def: $sgpr34_sgpr35
                                        ; implicit-def: $sgpr36_sgpr37
                                        ; implicit-def: $sgpr38_sgpr39
                                        ; implicit-def: $sgpr40_sgpr41
	s_branch .LBB66_3
.LBB66_2:                               ;   in Loop: Header=BB66_3 Depth=1
	s_or_b64 exec, exec, s[4:5]
	s_and_b64 s[2:3], exec, s[2:3]
	s_or_b64 s[24:25], s[2:3], s[24:25]
	s_andn2_b64 s[2:3], s[22:23], exec
	s_and_b64 s[4:5], s[40:41], exec
	s_or_b64 s[22:23], s[2:3], s[4:5]
	s_andn2_b64 s[2:3], s[30:31], exec
	s_and_b64 s[4:5], s[38:39], exec
	;; [unrolled: 3-line block ×4, first 2 shown]
	s_or_b64 s[26:27], s[2:3], s[4:5]
	s_andn2_b64 exec, exec, s[24:25]
	s_cbranch_execz .LBB66_39
.LBB66_3:                               ; =>This Inner Loop Header: Depth=1
	v_add_u32_e32 v2, s55, v30
	v_cmp_lt_i32_e64 s[2:3], 0, v1
	v_cndmask_b32_e64 v2, 0, v2, s[2:3]
	v_add_u32_e32 v8, s55, v27
	v_lshlrev_b64 v[6:7], 2, v[2:3]
	v_cmp_lt_i32_e64 s[4:5], 1, v1
	v_add_co_u32_e32 v6, vcc, s18, v6
	v_cndmask_b32_e64 v2, 0, v8, s[4:5]
	v_add_u32_e32 v10, s55, v28
	v_addc_co_u32_e32 v7, vcc, v31, v7, vcc
	v_lshlrev_b64 v[8:9], 2, v[2:3]
	v_cmp_lt_i32_e64 s[6:7], 2, v1
	v_add_co_u32_e32 v8, vcc, s18, v8
	v_cndmask_b32_e64 v2, 0, v10, s[6:7]
	v_add_u32_e32 v12, s55, v29
	v_addc_co_u32_e32 v9, vcc, v31, v9, vcc
	v_lshlrev_b64 v[10:11], 2, v[2:3]
	v_cmp_lt_i32_e64 s[8:9], 3, v1
	v_add_co_u32_e32 v10, vcc, s18, v10
	v_cndmask_b32_e64 v2, 0, v12, s[8:9]
	v_addc_co_u32_e32 v11, vcc, v31, v11, vcc
	v_lshlrev_b64 v[12:13], 2, v[2:3]
	v_add_co_u32_e32 v12, vcc, s18, v12
	v_addc_co_u32_e32 v13, vcc, v31, v13, vcc
	global_load_dword v33, v[6:7], off
	global_load_dword v34, v[8:9], off
	;; [unrolled: 1-line block ×4, first 2 shown]
	s_and_b64 vcc, exec, s[0:1]
	v_pk_mov_b32 v[6:7], s[14:15], s[14:15] op_sel:[0,1]
	v_pk_mov_b32 v[8:9], s[12:13], s[12:13] op_sel:[0,1]
	s_cbranch_vccnz .LBB66_5
; %bb.4:                                ;   in Loop: Header=BB66_3 Depth=1
	v_pk_mov_b32 v[6:7], s[14:15], s[14:15] op_sel:[0,1]
	flat_load_dwordx2 v[6:7], v[6:7]
	v_pk_mov_b32 v[8:9], s[12:13], s[12:13] op_sel:[0,1]
	flat_load_dwordx2 v[8:9], v[8:9]
	v_mov_b32_e32 v2, s21
	s_waitcnt vmcnt(0) lgkmcnt(0)
	v_add_co_u32_e32 v6, vcc, s20, v6
	v_addc_co_u32_e32 v7, vcc, v7, v2, vcc
.LBB66_5:                               ;   in Loop: Header=BB66_3 Depth=1
	v_alignbit_b32 v18, v7, v6, 2
	v_lshrrev_b32_e32 v19, 2, v7
	v_xor_b32_e32 v10, v4, v8
	v_and_b32_e32 v2, 3, v6
	v_mad_u64_u32 v[6:7], s[10:11], v18, s19, 0
	v_xor_b32_e32 v10, v10, v19
	v_xor_b32_e32 v7, v7, v9
	v_add_u32_e32 v41, 0xbb67ae85, v9
	v_mad_u64_u32 v[10:11], s[10:11], v10, s19, 0
	v_mad_u64_u32 v[12:13], s[10:11], v7, s54, 0
	v_xor_b32_e32 v11, v41, v11
	v_add_u32_e32 v40, 0x9e3779b9, v8
	v_xor_b32_e32 v7, v0, v13
	v_xor_b32_e32 v11, v11, v6
	v_xor_b32_e32 v7, v7, v40
	v_add_u32_e32 v42, 0x3c6ef372, v8
	v_mad_u64_u32 v[14:15], s[10:11], v11, s54, 0
	v_add_u32_e32 v43, 0x76cf5d0a, v9
	v_mad_u64_u32 v[6:7], s[10:11], v7, s19, 0
	v_xor_b32_e32 v11, v42, v15
	v_xor_b32_e32 v11, v11, v12
	v_xor_b32_e32 v7, v43, v7
	v_xor_b32_e32 v7, v7, v10
	v_add_u32_e32 v45, 0x32370b8f, v9
	v_mad_u64_u32 v[10:11], s[10:11], v11, s19, 0
	v_add_u32_e32 v44, 0xdaa66d2b, v8
	v_mad_u64_u32 v[12:13], s[10:11], v7, s54, 0
	v_xor_b32_e32 v11, v45, v11
	;; [unrolled: 8-line block ×5, first 2 shown]
	v_xor_b32_e32 v11, v11, v12
	v_xor_b32_e32 v7, v51, v7
	v_xor_b32_e32 v7, v7, v10
	v_add_u32_e32 v53, 0x1fd5c5a3, v9
	v_mad_u64_u32 v[10:11], s[10:11], v11, s19, 0
	v_xor_b32_e32 v11, v53, v11
	v_xor_b32_e32 v6, v11, v6
	v_add_u32_e32 v52, 0x5384540f, v8
	v_mad_u64_u32 v[16:17], s[10:11], v7, s54, 0
	v_add_co_u32_e32 v38, vcc, s59, v8
	v_mad_u64_u32 v[12:13], s[10:11], v6, s54, 0
	v_xor_b32_e32 v7, v52, v17
	v_xor_b32_e32 v6, v38, v13
	;; [unrolled: 1-line block ×4, first 2 shown]
	v_mad_u64_u32 v[14:15], s[10:11], v7, s19, 0
	v_mad_u64_u32 v[6:7], s[10:11], v6, s19, 0
	v_add_u32_e32 v39, 0x96a522ad, v9
	v_xor_b32_e32 v7, v7, v14
	v_xor_b32_e32 v37, v39, v7
	v_add_co_u32_e32 v7, vcc, 1, v18
	v_cndmask_b32_e64 v14, 0, 1, vcc
	v_addc_co_u32_e32 v20, vcc, 0, v19, vcc
	v_cmp_eq_u32_e32 vcc, 0, v20
	v_cndmask_b32_e32 v14, 0, v14, vcc
	v_add_u32_e32 v18, v14, v5
	v_cmp_eq_u32_e32 vcc, 0, v18
	v_mad_u64_u32 v[16:17], s[10:11], v7, s19, 0
	v_mad_u64_u32 v[18:19], s[10:11], v18, s54, 0
	v_add_u32_e32 v13, 0x8ff34781, v8
	v_cndmask_b32_e32 v14, 0, v14, vcc
	v_xor_b32_e32 v7, v19, v8
	v_xor_b32_e32 v8, v17, v9
	;; [unrolled: 1-line block ×4, first 2 shown]
	v_mad_u64_u32 v[20:21], s[10:11], v14, s54, 0
	v_add_u32_e32 v11, 0xdb3d7428, v9
	v_mad_u64_u32 v[8:9], s[10:11], v7, s19, 0
	v_xor_b32_e32 v7, v40, v21
	v_xor_b32_e32 v7, v7, v18
	v_xor_b32_e32 v9, v41, v9
	v_xor_b32_e32 v9, v9, v16
	v_mad_u64_u32 v[16:17], s[10:11], v7, s19, 0
	v_mad_u64_u32 v[18:19], s[10:11], v9, s54, 0
	v_xor_b32_e32 v9, v43, v17
	v_xor_b32_e32 v7, v42, v19
	v_xor_b32_e32 v14, v9, v8
	v_xor_b32_e32 v7, v7, v20
	v_mad_u64_u32 v[20:21], s[10:11], v14, s54, 0
	;; [unrolled: 6-line block ×7, first 2 shown]
	v_xor_b32_e32 v7, v11, v19
	v_xor_b32_e32 v7, v7, v8
	v_mad_u64_u32 v[20:21], s[10:11], v9, s54, 0
	v_mad_u64_u32 v[8:9], s[10:11], v7, s54, 0
	v_xor_b32_e32 v7, v9, v20
	v_xor_b32_e32 v7, v13, v7
	v_cmp_lt_i32_e32 vcc, 1, v2
                                        ; implicit-def: $vgpr17
	s_and_saveexec_b64 s[10:11], vcc
	s_xor_b64 s[10:11], exec, s[10:11]
	s_cbranch_execz .LBB66_11
; %bb.6:                                ;   in Loop: Header=BB66_3 Depth=1
	v_cmp_lt_i32_e32 vcc, 2, v2
                                        ; implicit-def: $vgpr17
	s_and_saveexec_b64 s[42:43], vcc
	s_xor_b64 s[42:43], exec, s[42:43]
; %bb.7:                                ;   in Loop: Header=BB66_3 Depth=1
	v_xor_b32_e32 v2, v38, v21
	v_xor_b32_e32 v2, v2, v16
	v_mul_hi_u32 v2, v2, s19
	v_xor_b32_e32 v2, v2, v18
	v_xor_b32_e32 v17, v39, v2
                                        ; implicit-def: $vgpr37
; %bb.8:                                ;   in Loop: Header=BB66_3 Depth=1
	s_andn2_saveexec_b64 s[42:43], s[42:43]
; %bb.9:                                ;   in Loop: Header=BB66_3 Depth=1
	v_mov_b32_e32 v17, v8
	v_mov_b32_e32 v8, v7
	;; [unrolled: 1-line block ×4, first 2 shown]
; %bb.10:                               ;   in Loop: Header=BB66_3 Depth=1
	s_or_b64 exec, exec, s[42:43]
                                        ; implicit-def: $vgpr10_vgpr11
                                        ; implicit-def: $vgpr12_vgpr13
                                        ; implicit-def: $vgpr2
                                        ; implicit-def: $vgpr37
                                        ; implicit-def: $vgpr14_vgpr15
                                        ; implicit-def: $vgpr11
                                        ; implicit-def: $vgpr13
.LBB66_11:                              ;   in Loop: Header=BB66_3 Depth=1
	s_andn2_saveexec_b64 s[10:11], s[10:11]
	s_cbranch_execz .LBB66_15
; %bb.12:                               ;   in Loop: Header=BB66_3 Depth=1
	v_xor_b32_e32 v8, v11, v15
	v_xor_b32_e32 v8, v8, v10
	v_mad_u64_u32 v[10:11], s[42:43], v8, s54, 0
	v_xor_b32_e32 v8, v11, v12
	v_xor_b32_e32 v9, v13, v8
	v_cmp_eq_u32_e32 vcc, 1, v2
	v_mov_b32_e32 v17, v6
	v_mov_b32_e32 v8, v37
	;; [unrolled: 1-line block ×3, first 2 shown]
	s_and_saveexec_b64 s[42:43], vcc
; %bb.13:                               ;   in Loop: Header=BB66_3 Depth=1
	v_mov_b32_e32 v17, v7
	v_mov_b32_e32 v8, v6
	;; [unrolled: 1-line block ×4, first 2 shown]
; %bb.14:                               ;   in Loop: Header=BB66_3 Depth=1
	s_or_b64 exec, exec, s[42:43]
	v_mov_b32_e32 v6, v9
	v_mov_b32_e32 v7, v2
.LBB66_15:                              ;   in Loop: Header=BB66_3 Depth=1
	s_or_b64 exec, exec, s[10:11]
	v_min_i32_e32 v9, 4, v1
	v_cmp_lt_i32_e32 vcc, 2, v9
	s_mov_b64 s[42:43], 0
	s_mov_b64 s[52:53], 0
                                        ; implicit-def: $sgpr10_sgpr11
                                        ; implicit-def: $sgpr44_sgpr45
                                        ; implicit-def: $sgpr46_sgpr47
	s_and_saveexec_b64 s[48:49], vcc
	s_xor_b64 s[48:49], exec, s[48:49]
	s_cbranch_execz .LBB66_25
; %bb.16:                               ;   in Loop: Header=BB66_3 Depth=1
	v_cmp_lt_i32_e32 vcc, 3, v9
	s_mov_b64 s[46:47], -1
                                        ; implicit-def: $sgpr10_sgpr11
                                        ; implicit-def: $sgpr50_sgpr51
	s_and_saveexec_b64 s[44:45], vcc
	s_cbranch_execz .LBB66_20
; %bb.17:                               ;   in Loop: Header=BB66_3 Depth=1
	s_waitcnt vmcnt(0)
	v_cmp_le_f32_e32 vcc, 0, v36
	v_cmp_ge_f32_e64 s[10:11], 1.0, v36
	s_and_b64 s[52:53], vcc, s[10:11]
	s_mov_b64 s[10:11], 0
	s_mov_b64 s[46:47], 0
	s_and_saveexec_b64 s[50:51], s[52:53]
	s_cbranch_execz .LBB66_19
; %bb.18:                               ;   in Loop: Header=BB66_3 Depth=1
	v_cvt_f32_u32_e32 v2, v17
	v_mov_b32_e32 v12, 0x2f800000
	v_add_u32_e32 v10, s60, v25
	s_mov_b64 s[46:47], exec
	v_fmac_f32_e32 v12, 0x2f800000, v2
	v_cndmask_b32_e64 v2, 0, v10, s[8:9]
	v_lshlrev_b64 v[10:11], 3, v[2:3]
	v_mov_b32_e32 v2, s17
	v_add_co_u32_e32 v10, vcc, s16, v10
	v_addc_co_u32_e32 v11, vcc, v2, v11, vcc
	v_cmp_le_f32_e32 vcc, v12, v36
	v_cndmask_b32_e32 v13, 0, v32, vcc
	v_mov_b32_e32 v12, v3
	global_store_dwordx2 v[10:11], v[12:13], off
.LBB66_19:                              ;   in Loop: Header=BB66_3 Depth=1
	s_or_b64 exec, exec, s[50:51]
	s_mov_b64 s[50:51], -1
	s_orn2_b64 s[46:47], s[46:47], exec
.LBB66_20:                              ;   in Loop: Header=BB66_3 Depth=1
	s_or_b64 exec, exec, s[44:45]
	s_mov_b64 s[8:9], 0
	s_mov_b64 s[52:53], s[10:11]
	s_and_saveexec_b64 s[44:45], s[46:47]
	s_cbranch_execz .LBB66_24
; %bb.21:                               ;   in Loop: Header=BB66_3 Depth=1
	s_waitcnt vmcnt(1)
	v_cmp_le_f32_e32 vcc, 0, v35
	v_cmp_ge_f32_e64 s[8:9], 1.0, v35
	s_and_b64 s[46:47], vcc, s[8:9]
	s_mov_b64 s[8:9], 0
	s_and_saveexec_b64 s[52:53], s[46:47]
	s_xor_b64 s[46:47], exec, s[52:53]
	s_cbranch_execz .LBB66_23
; %bb.22:                               ;   in Loop: Header=BB66_3 Depth=1
	v_cvt_f32_u32_e32 v2, v8
	v_mov_b32_e32 v8, 0x2f800000
	v_add_u32_e32 v10, s60, v24
	v_mov_b32_e32 v12, v3
	v_fmac_f32_e32 v8, 0x2f800000, v2
	v_cndmask_b32_e64 v2, 0, v10, s[6:7]
	v_lshlrev_b64 v[10:11], 3, v[2:3]
	v_mov_b32_e32 v2, s17
	v_add_co_u32_e32 v10, vcc, s16, v10
	v_addc_co_u32_e32 v11, vcc, v2, v11, vcc
	v_cmp_le_f32_e32 vcc, v8, v35
	v_cndmask_b32_e32 v13, 0, v32, vcc
	s_mov_b64 s[8:9], exec
	global_store_dwordx2 v[10:11], v[12:13], off
.LBB66_23:                              ;   in Loop: Header=BB66_3 Depth=1
	s_or_b64 exec, exec, s[46:47]
	s_andn2_b64 s[52:53], s[10:11], exec
	s_or_b64 s[10:11], s[10:11], exec
	s_andn2_b64 s[50:51], s[50:51], exec
	s_and_b64 s[8:9], s[8:9], exec
.LBB66_24:                              ;   in Loop: Header=BB66_3 Depth=1
	s_or_b64 exec, exec, s[44:45]
	s_and_b64 s[46:47], s[52:53], exec
	s_and_b64 s[44:45], s[10:11], exec
	;; [unrolled: 1-line block ×4, first 2 shown]
.LBB66_25:                              ;   in Loop: Header=BB66_3 Depth=1
	s_andn2_saveexec_b64 s[6:7], s[48:49]
; %bb.26:                               ;   in Loop: Header=BB66_3 Depth=1
	v_cmp_lt_i32_e32 vcc, 1, v9
	s_andn2_b64 s[8:9], s[52:53], exec
	s_and_b64 s[48:49], vcc, exec
	s_mov_b64 s[42:43], exec
	s_andn2_b64 s[46:47], s[46:47], exec
	s_andn2_b64 s[44:45], s[44:45], exec
	;; [unrolled: 1-line block ×3, first 2 shown]
	s_or_b64 s[52:53], s[8:9], s[48:49]
; %bb.27:                               ;   in Loop: Header=BB66_3 Depth=1
	s_or_b64 exec, exec, s[6:7]
	s_mov_b64 s[8:9], 0
	s_mov_b64 s[48:49], 0
	;; [unrolled: 1-line block ×3, first 2 shown]
	s_and_saveexec_b64 s[50:51], s[52:53]
	s_cbranch_execnz .LBB66_30
; %bb.28:                               ;   in Loop: Header=BB66_3 Depth=1
	s_or_b64 exec, exec, s[50:51]
	s_and_saveexec_b64 s[4:5], s[42:43]
	s_cbranch_execnz .LBB66_33
.LBB66_29:                              ;   in Loop: Header=BB66_3 Depth=1
	s_or_b64 exec, exec, s[4:5]
	s_and_saveexec_b64 s[42:43], s[48:49]
	s_cbranch_execnz .LBB66_34
	s_branch .LBB66_37
.LBB66_30:                              ;   in Loop: Header=BB66_3 Depth=1
	s_waitcnt vmcnt(2)
	v_cmp_le_f32_e32 vcc, 0, v34
	v_cmp_ge_f32_e64 s[6:7], 1.0, v34
	s_and_b64 s[6:7], vcc, s[6:7]
	s_and_saveexec_b64 s[52:53], s[6:7]
	s_xor_b64 s[6:7], exec, s[52:53]
	s_cbranch_execz .LBB66_32
; %bb.31:                               ;   in Loop: Header=BB66_3 Depth=1
	v_cvt_f32_u32_e32 v2, v7
	v_mov_b32_e32 v7, 0x2f800000
	v_add_u32_e32 v8, s60, v23
	v_mov_b32_e32 v12, v3
	v_fmac_f32_e32 v7, 0x2f800000, v2
	v_cndmask_b32_e64 v2, 0, v8, s[4:5]
	v_lshlrev_b64 v[10:11], 3, v[2:3]
	v_mov_b32_e32 v2, s17
	v_add_co_u32_e32 v10, vcc, s16, v10
	v_addc_co_u32_e32 v11, vcc, v2, v11, vcc
	v_cmp_le_f32_e32 vcc, v7, v34
	v_cndmask_b32_e32 v13, 0, v32, vcc
	s_mov_b64 s[48:49], exec
	global_store_dwordx2 v[10:11], v[12:13], off
.LBB66_32:                              ;   in Loop: Header=BB66_3 Depth=1
	s_or_b64 exec, exec, s[6:7]
	s_andn2_b64 s[6:7], s[46:47], exec
	s_or_b64 s[46:47], s[46:47], exec
	s_andn2_b64 s[44:45], s[44:45], exec
	s_andn2_b64 s[10:11], s[10:11], exec
	s_and_b64 s[48:49], s[48:49], exec
	s_andn2_b64 s[42:43], s[42:43], exec
	s_or_b64 exec, exec, s[50:51]
	s_and_saveexec_b64 s[4:5], s[42:43]
	s_cbranch_execz .LBB66_29
.LBB66_33:                              ;   in Loop: Header=BB66_3 Depth=1
	v_cmp_eq_u32_e32 vcc, 1, v9
	s_andn2_b64 s[42:43], s[48:49], exec
	s_and_b64 s[48:49], vcc, exec
	s_mov_b64 s[8:9], exec
	s_andn2_b64 s[6:7], s[6:7], exec
	s_andn2_b64 s[46:47], s[46:47], exec
	;; [unrolled: 1-line block ×4, first 2 shown]
	s_or_b64 s[48:49], s[42:43], s[48:49]
	s_or_b64 exec, exec, s[4:5]
	s_and_saveexec_b64 s[42:43], s[48:49]
	s_cbranch_execz .LBB66_37
.LBB66_34:                              ;   in Loop: Header=BB66_3 Depth=1
	s_waitcnt vmcnt(3)
	v_cmp_le_f32_e32 vcc, 0, v33
	v_cmp_ge_f32_e64 s[4:5], 1.0, v33
	s_and_b64 s[50:51], vcc, s[4:5]
	s_mov_b64 s[4:5], 0
	s_and_saveexec_b64 s[48:49], s[50:51]
	s_cbranch_execz .LBB66_36
; %bb.35:                               ;   in Loop: Header=BB66_3 Depth=1
	v_cvt_f32_u32_e32 v2, v6
	v_mov_b32_e32 v8, 0x2f800000
	v_add_u32_e32 v6, s60, v26
	s_mov_b64 s[4:5], exec
	v_fmac_f32_e32 v8, 0x2f800000, v2
	v_cndmask_b32_e64 v2, 0, v6, s[2:3]
	v_lshlrev_b64 v[6:7], 3, v[2:3]
	v_mov_b32_e32 v2, s17
	v_add_co_u32_e32 v6, vcc, s16, v6
	v_addc_co_u32_e32 v7, vcc, v2, v7, vcc
	v_cmp_le_f32_e32 vcc, v8, v33
	v_cndmask_b32_e32 v9, 0, v32, vcc
	v_mov_b32_e32 v8, v3
	global_store_dwordx2 v[6:7], v[8:9], off
.LBB66_36:                              ;   in Loop: Header=BB66_3 Depth=1
	s_or_b64 exec, exec, s[48:49]
	s_andn2_b64 s[2:3], s[8:9], exec
	s_and_b64 s[4:5], s[4:5], exec
	s_or_b64 s[6:7], s[6:7], exec
	s_andn2_b64 s[46:47], s[46:47], exec
	s_andn2_b64 s[44:45], s[44:45], exec
	;; [unrolled: 1-line block ×3, first 2 shown]
	s_or_b64 s[8:9], s[2:3], s[4:5]
.LBB66_37:                              ;   in Loop: Header=BB66_3 Depth=1
	s_or_b64 exec, exec, s[42:43]
	s_andn2_b64 s[4:5], s[40:41], exec
	s_and_b64 s[6:7], s[6:7], exec
	s_or_b64 s[40:41], s[4:5], s[6:7]
	s_andn2_b64 s[4:5], s[38:39], exec
	s_and_b64 s[6:7], s[46:47], exec
	s_or_b64 s[38:39], s[4:5], s[6:7]
	;; [unrolled: 3-line block ×3, first 2 shown]
	s_andn2_b64 s[4:5], s[34:35], exec
	s_and_b64 s[6:7], s[10:11], exec
	s_mov_b64 s[2:3], -1
	s_or_b64 s[34:35], s[4:5], s[6:7]
	s_and_saveexec_b64 s[4:5], s[8:9]
	s_cbranch_execz .LBB66_2
; %bb.38:                               ;   in Loop: Header=BB66_3 Depth=1
	v_add_u32_e32 v22, s56, v22
	v_cmp_le_u32_e32 vcc, s33, v22
	v_subrev_u32_e32 v1, s56, v1
	s_add_i32 s60, s60, s57
	s_add_i32 s55, s55, s58
	s_andn2_b64 s[40:41], s[40:41], exec
	s_andn2_b64 s[38:39], s[38:39], exec
	;; [unrolled: 1-line block ×4, first 2 shown]
	s_orn2_b64 s[2:3], vcc, exec
	s_branch .LBB66_2
.LBB66_39:
	s_or_b64 exec, exec, s[24:25]
	s_xor_b64 s[6:7], s[30:31], -1
	s_xor_b64 s[8:9], s[28:29], -1
	;; [unrolled: 1-line block ×3, first 2 shown]
	s_mov_b64 s[2:3], 0
	s_and_saveexec_b64 s[4:5], s[0:1]
	s_xor_b64 s[0:1], exec, s[4:5]
	s_cbranch_execnz .LBB66_44
; %bb.40:
	s_andn2_saveexec_b64 s[0:1], s[0:1]
	s_cbranch_execnz .LBB66_52
.LBB66_41:
	s_or_b64 exec, exec, s[0:1]
	s_and_b64 exec, exec, s[2:3]
.LBB66_42:
	; divergent unreachable
.LBB66_43:
	s_endpgm
.LBB66_44:
	s_mov_b64 s[4:5], 0
	s_and_saveexec_b64 s[2:3], s[8:9]
	s_xor_b64 s[2:3], exec, s[2:3]
	s_cbranch_execz .LBB66_50
; %bb.45:
	s_and_saveexec_b64 s[8:9], s[6:7]
	s_xor_b64 s[6:7], exec, s[8:9]
	s_cbranch_execz .LBB66_48
; %bb.46:
	s_and_saveexec_b64 s[8:9], s[22:23]
	s_xor_b64 s[8:9], exec, s[8:9]
	s_cbranch_execnz .LBB66_55
.LBB66_47:
	s_or_b64 exec, exec, s[8:9]
	s_and_b64 s[4:5], s[4:5], exec
.LBB66_48:
	s_andn2_saveexec_b64 s[6:7], s[6:7]
	s_cbranch_execnz .LBB66_54
.LBB66_49:
	s_or_b64 exec, exec, s[6:7]
	s_and_b64 s[4:5], s[4:5], exec
.LBB66_50:
	s_andn2_saveexec_b64 s[2:3], s[2:3]
	s_cbranch_execnz .LBB66_53
.LBB66_51:
	s_or_b64 exec, exec, s[2:3]
	s_and_b64 s[2:3], s[4:5], exec
	s_andn2_saveexec_b64 s[0:1], s[0:1]
	s_cbranch_execz .LBB66_41
.LBB66_52:
	s_or_b64 s[2:3], s[2:3], exec
	s_trap 2
	s_or_b64 exec, exec, s[0:1]
	s_and_b64 exec, exec, s[2:3]
	s_cbranch_execnz .LBB66_42
	s_branch .LBB66_43
.LBB66_53:
	s_or_b64 s[4:5], s[4:5], exec
	s_trap 2
	s_branch .LBB66_51
.LBB66_54:
	s_trap 2
	s_or_b64 s[4:5], s[4:5], exec
	s_branch .LBB66_49
.LBB66_55:
	s_mov_b64 s[4:5], exec
	s_trap 2
	s_branch .LBB66_47
	.section	.rodata,"a",@progbits
	.p2align	6, 0x0
	.amdhsa_kernel _ZN2at4cuda12_GLOBAL__N_121kernelPointwiseApply2IZNS_6native9templates4cuda28bernoulli_tensor_cuda_kernelIdfEEvRKNS_10TensorBaseES9_NS_15PhiloxCudaStateEEUliRdSB_SB_SB_RKfSD_SD_SD_E_dSC_jLi1ELi1ELi4ELi512ELi2EEEvNS0_6detail10TensorInfoIT0_T2_EENSG_IT1_SI_EESI_T_
		.amdhsa_group_segment_fixed_size 0
		.amdhsa_private_segment_fixed_size 0
		.amdhsa_kernarg_size 728
		.amdhsa_user_sgpr_count 6
		.amdhsa_user_sgpr_private_segment_buffer 1
		.amdhsa_user_sgpr_dispatch_ptr 0
		.amdhsa_user_sgpr_queue_ptr 0
		.amdhsa_user_sgpr_kernarg_segment_ptr 1
		.amdhsa_user_sgpr_dispatch_id 0
		.amdhsa_user_sgpr_flat_scratch_init 0
		.amdhsa_user_sgpr_kernarg_preload_length 0
		.amdhsa_user_sgpr_kernarg_preload_offset 0
		.amdhsa_user_sgpr_private_segment_size 0
		.amdhsa_uses_dynamic_stack 0
		.amdhsa_system_sgpr_private_segment_wavefront_offset 0
		.amdhsa_system_sgpr_workgroup_id_x 1
		.amdhsa_system_sgpr_workgroup_id_y 0
		.amdhsa_system_sgpr_workgroup_id_z 0
		.amdhsa_system_sgpr_workgroup_info 0
		.amdhsa_system_vgpr_workitem_id 0
		.amdhsa_next_free_vgpr 54
		.amdhsa_next_free_sgpr 61
		.amdhsa_accum_offset 56
		.amdhsa_reserve_vcc 1
		.amdhsa_reserve_flat_scratch 0
		.amdhsa_float_round_mode_32 0
		.amdhsa_float_round_mode_16_64 0
		.amdhsa_float_denorm_mode_32 3
		.amdhsa_float_denorm_mode_16_64 3
		.amdhsa_dx10_clamp 1
		.amdhsa_ieee_mode 1
		.amdhsa_fp16_overflow 0
		.amdhsa_tg_split 0
		.amdhsa_exception_fp_ieee_invalid_op 0
		.amdhsa_exception_fp_denorm_src 0
		.amdhsa_exception_fp_ieee_div_zero 0
		.amdhsa_exception_fp_ieee_overflow 0
		.amdhsa_exception_fp_ieee_underflow 0
		.amdhsa_exception_fp_ieee_inexact 0
		.amdhsa_exception_int_div_zero 0
	.end_amdhsa_kernel
	.section	.text._ZN2at4cuda12_GLOBAL__N_121kernelPointwiseApply2IZNS_6native9templates4cuda28bernoulli_tensor_cuda_kernelIdfEEvRKNS_10TensorBaseES9_NS_15PhiloxCudaStateEEUliRdSB_SB_SB_RKfSD_SD_SD_E_dSC_jLi1ELi1ELi4ELi512ELi2EEEvNS0_6detail10TensorInfoIT0_T2_EENSG_IT1_SI_EESI_T_,"axG",@progbits,_ZN2at4cuda12_GLOBAL__N_121kernelPointwiseApply2IZNS_6native9templates4cuda28bernoulli_tensor_cuda_kernelIdfEEvRKNS_10TensorBaseES9_NS_15PhiloxCudaStateEEUliRdSB_SB_SB_RKfSD_SD_SD_E_dSC_jLi1ELi1ELi4ELi512ELi2EEEvNS0_6detail10TensorInfoIT0_T2_EENSG_IT1_SI_EESI_T_,comdat
.Lfunc_end66:
	.size	_ZN2at4cuda12_GLOBAL__N_121kernelPointwiseApply2IZNS_6native9templates4cuda28bernoulli_tensor_cuda_kernelIdfEEvRKNS_10TensorBaseES9_NS_15PhiloxCudaStateEEUliRdSB_SB_SB_RKfSD_SD_SD_E_dSC_jLi1ELi1ELi4ELi512ELi2EEEvNS0_6detail10TensorInfoIT0_T2_EENSG_IT1_SI_EESI_T_, .Lfunc_end66-_ZN2at4cuda12_GLOBAL__N_121kernelPointwiseApply2IZNS_6native9templates4cuda28bernoulli_tensor_cuda_kernelIdfEEvRKNS_10TensorBaseES9_NS_15PhiloxCudaStateEEUliRdSB_SB_SB_RKfSD_SD_SD_E_dSC_jLi1ELi1ELi4ELi512ELi2EEEvNS0_6detail10TensorInfoIT0_T2_EENSG_IT1_SI_EESI_T_
                                        ; -- End function
	.section	.AMDGPU.csdata,"",@progbits
; Kernel info:
; codeLenInByte = 2660
; NumSgprs: 65
; NumVgprs: 54
; NumAgprs: 0
; TotalNumVgprs: 54
; ScratchSize: 0
; MemoryBound: 0
; FloatMode: 240
; IeeeMode: 1
; LDSByteSize: 0 bytes/workgroup (compile time only)
; SGPRBlocks: 8
; VGPRBlocks: 6
; NumSGPRsForWavesPerEU: 65
; NumVGPRsForWavesPerEU: 54
; AccumOffset: 56
; Occupancy: 8
; WaveLimiterHint : 1
; COMPUTE_PGM_RSRC2:SCRATCH_EN: 0
; COMPUTE_PGM_RSRC2:USER_SGPR: 6
; COMPUTE_PGM_RSRC2:TRAP_HANDLER: 0
; COMPUTE_PGM_RSRC2:TGID_X_EN: 1
; COMPUTE_PGM_RSRC2:TGID_Y_EN: 0
; COMPUTE_PGM_RSRC2:TGID_Z_EN: 0
; COMPUTE_PGM_RSRC2:TIDIG_COMP_CNT: 0
; COMPUTE_PGM_RSRC3_GFX90A:ACCUM_OFFSET: 13
; COMPUTE_PGM_RSRC3_GFX90A:TG_SPLIT: 0
	.section	.text._ZN2at4cuda12_GLOBAL__N_121kernelPointwiseApply2IZNS_6native9templates4cuda28bernoulli_tensor_cuda_kernelIdfEEvRKNS_10TensorBaseES9_NS_15PhiloxCudaStateEEUliRdSB_SB_SB_RKfSD_SD_SD_E_dSC_jLi1ELi2ELi4ELi512ELi2EEEvNS0_6detail10TensorInfoIT0_T2_EENSG_IT1_SI_EESI_T_,"axG",@progbits,_ZN2at4cuda12_GLOBAL__N_121kernelPointwiseApply2IZNS_6native9templates4cuda28bernoulli_tensor_cuda_kernelIdfEEvRKNS_10TensorBaseES9_NS_15PhiloxCudaStateEEUliRdSB_SB_SB_RKfSD_SD_SD_E_dSC_jLi1ELi2ELi4ELi512ELi2EEEvNS0_6detail10TensorInfoIT0_T2_EENSG_IT1_SI_EESI_T_,comdat
	.globl	_ZN2at4cuda12_GLOBAL__N_121kernelPointwiseApply2IZNS_6native9templates4cuda28bernoulli_tensor_cuda_kernelIdfEEvRKNS_10TensorBaseES9_NS_15PhiloxCudaStateEEUliRdSB_SB_SB_RKfSD_SD_SD_E_dSC_jLi1ELi2ELi4ELi512ELi2EEEvNS0_6detail10TensorInfoIT0_T2_EENSG_IT1_SI_EESI_T_ ; -- Begin function _ZN2at4cuda12_GLOBAL__N_121kernelPointwiseApply2IZNS_6native9templates4cuda28bernoulli_tensor_cuda_kernelIdfEEvRKNS_10TensorBaseES9_NS_15PhiloxCudaStateEEUliRdSB_SB_SB_RKfSD_SD_SD_E_dSC_jLi1ELi2ELi4ELi512ELi2EEEvNS0_6detail10TensorInfoIT0_T2_EENSG_IT1_SI_EESI_T_
	.p2align	8
	.type	_ZN2at4cuda12_GLOBAL__N_121kernelPointwiseApply2IZNS_6native9templates4cuda28bernoulli_tensor_cuda_kernelIdfEEvRKNS_10TensorBaseES9_NS_15PhiloxCudaStateEEUliRdSB_SB_SB_RKfSD_SD_SD_E_dSC_jLi1ELi2ELi4ELi512ELi2EEEvNS0_6detail10TensorInfoIT0_T2_EENSG_IT1_SI_EESI_T_,@function
_ZN2at4cuda12_GLOBAL__N_121kernelPointwiseApply2IZNS_6native9templates4cuda28bernoulli_tensor_cuda_kernelIdfEEvRKNS_10TensorBaseES9_NS_15PhiloxCudaStateEEUliRdSB_SB_SB_RKfSD_SD_SD_E_dSC_jLi1ELi2ELi4ELi512ELi2EEEvNS0_6detail10TensorInfoIT0_T2_EENSG_IT1_SI_EESI_T_: ; @_ZN2at4cuda12_GLOBAL__N_121kernelPointwiseApply2IZNS_6native9templates4cuda28bernoulli_tensor_cuda_kernelIdfEEvRKNS_10TensorBaseES9_NS_15PhiloxCudaStateEEUliRdSB_SB_SB_RKfSD_SD_SD_E_dSC_jLi1ELi2ELi4ELi512ELi2EEEvNS0_6detail10TensorInfoIT0_T2_EENSG_IT1_SI_EESI_T_
; %bb.0:
	s_load_dword s2, s[4:5], 0x1e4
	s_load_dword s33, s[4:5], 0x1b0
	s_add_u32 s0, s4, 0x1d8
	s_addc_u32 s1, s5, 0
	s_waitcnt lgkmcnt(0)
	s_and_b32 s2, s2, 0xffff
	s_mul_i32 s6, s6, s2
	v_add_u32_e32 v1, s6, v0
	v_lshlrev_b32_e32 v0, 2, v1
	v_cmp_gt_u32_e32 vcc, s33, v0
	s_and_saveexec_b64 s[6:7], vcc
	s_cbranch_execz .LBB67_51
; %bb.1:
	s_load_dwordx2 s[12:13], s[4:5], 0x0
	s_load_dword s3, s[4:5], 0x6c
	s_load_dwordx2 s[14:15], s[4:5], 0xd8
	s_load_dword s56, s[4:5], 0xe4
	s_load_dword s6, s[0:1], 0x0
	s_load_dwordx2 s[16:17], s[4:5], 0x1c8
	s_load_dword s7, s[4:5], 0x1d0
	s_load_dwordx2 s[18:19], s[4:5], 0x144
	s_load_dwordx4 s[8:11], s[4:5], 0x1b8
	s_waitcnt lgkmcnt(0)
	v_cvt_f32_u32_e32 v2, s56
	s_mov_b32 s57, 0xcd9e8d57
	s_bitcmp1_b32 s7, 0
	s_cselect_b64 s[22:23], -1, 0
	v_rcp_iflag_f32_e32 v4, v2
	v_mad_u64_u32 v[2:3], s[0:1], v1, s57, 0
	s_sub_i32 s60, 0, s56
	v_mul_f32_e32 v4, 0x4f7ffffe, v4
	v_cvt_u32_f32_e32 v4, v4
	v_mov_b32_e32 v6, v3
	s_mul_i32 s6, s6, s2
	s_lshl_b32 s59, s6, 2
	v_mul_lo_u32 v3, s60, v4
	v_mul_hi_u32 v3, v4, v3
	v_add_u32_e32 v3, v4, v3
	v_add_u32_e32 v4, 2, v0
	v_mul_lo_u32 v26, v0, s3
	v_mul_lo_u32 v28, s3, v4
	v_add_u32_e32 v4, 3, v0
	s_mov_b32 s58, 0
	v_mov_b32_e32 v5, 0
	v_sub_u32_e32 v7, s33, v0
	v_add_u32_e32 v27, s3, v26
	s_mul_i32 s61, s59, s3
	v_mul_lo_u32 v29, s3, v4
	s_mov_b64 s[24:25], 0
	s_mov_b32 s62, 0xd2511f53
	s_mov_b32 s63, 0xf1bbcdc8
	v_mov_b32_e32 v30, 0x3ff00000
                                        ; implicit-def: $sgpr26_sgpr27
                                        ; implicit-def: $sgpr28_sgpr29
                                        ; implicit-def: $sgpr30_sgpr31
                                        ; implicit-def: $sgpr20_sgpr21
                                        ; implicit-def: $sgpr34_sgpr35
                                        ; implicit-def: $sgpr36_sgpr37
                                        ; implicit-def: $sgpr38_sgpr39
                                        ; implicit-def: $sgpr40_sgpr41
	s_branch .LBB67_3
.LBB67_2:                               ;   in Loop: Header=BB67_3 Depth=1
	s_or_b64 exec, exec, s[2:3]
	s_and_b64 s[0:1], exec, s[0:1]
	s_or_b64 s[24:25], s[0:1], s[24:25]
	s_andn2_b64 s[0:1], s[20:21], exec
	s_and_b64 s[2:3], s[40:41], exec
	s_or_b64 s[20:21], s[0:1], s[2:3]
	s_andn2_b64 s[0:1], s[30:31], exec
	s_and_b64 s[2:3], s[38:39], exec
	;; [unrolled: 3-line block ×4, first 2 shown]
	s_or_b64 s[26:27], s[0:1], s[2:3]
	s_andn2_b64 exec, exec, s[24:25]
	s_cbranch_execz .LBB67_47
.LBB67_3:                               ; =>This Inner Loop Header: Depth=1
	v_pk_mov_b32 v[8:9], 0, 0
	v_cmp_lt_i32_e64 s[0:1], 0, v7
	v_pk_mov_b32 v[12:13], v[8:9], v[8:9] op_sel:[0,1]
	s_and_saveexec_b64 s[2:3], s[0:1]
	s_cbranch_execz .LBB67_5
; %bb.4:                                ;   in Loop: Header=BB67_3 Depth=1
	s_waitcnt vmcnt(0)
	v_mul_hi_u32 v4, v3, v0
	v_not_b32_e32 v12, v4
	v_mad_u64_u32 v[10:11], s[4:5], s60, v4, v[0:1]
	v_add_u32_e32 v11, 1, v4
	v_cmp_le_u32_e32 vcc, s56, v10
	v_mad_u64_u32 v[12:13], s[4:5], s56, v12, v[0:1]
	v_cndmask_b32_e32 v4, v4, v11, vcc
	v_cndmask_b32_e32 v10, v10, v12, vcc
	v_add_u32_e32 v11, 1, v4
	v_cmp_le_u32_e32 vcc, s56, v10
	v_cndmask_b32_e32 v12, v4, v11, vcc
	v_mad_u64_u32 v[10:11], s[4:5], s60, v12, v[0:1]
	v_mul_lo_u32 v4, v10, s19
	v_mad_u64_u32 v[12:13], s[4:5], v12, s18, v[4:5]
	v_mov_b32_e32 v13, v5
.LBB67_5:                               ;   in Loop: Header=BB67_3 Depth=1
	s_or_b64 exec, exec, s[2:3]
	v_cmp_lt_i32_e64 s[2:3], 1, v7
	s_and_saveexec_b64 s[4:5], s[2:3]
	s_cbranch_execz .LBB67_7
; %bb.6:                                ;   in Loop: Header=BB67_3 Depth=1
	s_waitcnt vmcnt(0)
	v_add_u32_e32 v4, 1, v0
	v_mul_hi_u32 v8, v4, v3
	v_mul_lo_u32 v9, v8, s56
	v_sub_u32_e32 v9, v4, v9
	v_add_u32_e32 v10, 1, v8
	v_cmp_le_u32_e32 vcc, s56, v9
	v_cndmask_b32_e32 v8, v8, v10, vcc
	v_subrev_u32_e32 v10, s56, v9
	v_cndmask_b32_e32 v9, v9, v10, vcc
	v_add_u32_e32 v10, 1, v8
	v_cmp_le_u32_e32 vcc, s56, v9
	v_cndmask_b32_e32 v8, v8, v10, vcc
	v_mul_lo_u32 v9, v8, s56
	v_sub_u32_e32 v4, v4, v9
	v_mul_lo_u32 v4, v4, s19
	v_mad_u64_u32 v[8:9], s[6:7], v8, s18, v[4:5]
	v_mov_b32_e32 v9, v5
.LBB67_7:                               ;   in Loop: Header=BB67_3 Depth=1
	s_or_b64 exec, exec, s[4:5]
	v_pk_mov_b32 v[10:11], 0, 0
	v_cmp_lt_i32_e64 s[4:5], 2, v7
	v_pk_mov_b32 v[14:15], v[10:11], v[10:11] op_sel:[0,1]
	s_and_saveexec_b64 s[6:7], s[4:5]
	s_cbranch_execz .LBB67_9
; %bb.8:                                ;   in Loop: Header=BB67_3 Depth=1
	s_waitcnt vmcnt(0)
	v_add_u32_e32 v4, 2, v0
	v_mul_hi_u32 v14, v4, v3
	v_mul_lo_u32 v15, v14, s56
	v_sub_u32_e32 v15, v4, v15
	v_add_u32_e32 v16, 1, v14
	v_cmp_le_u32_e32 vcc, s56, v15
	v_cndmask_b32_e32 v14, v14, v16, vcc
	v_subrev_u32_e32 v16, s56, v15
	v_cndmask_b32_e32 v15, v15, v16, vcc
	v_add_u32_e32 v16, 1, v14
	v_cmp_le_u32_e32 vcc, s56, v15
	v_cndmask_b32_e32 v14, v14, v16, vcc
	v_mul_lo_u32 v15, v14, s56
	v_sub_u32_e32 v4, v4, v15
	v_mul_lo_u32 v4, v4, s19
	v_mad_u64_u32 v[14:15], s[42:43], v14, s18, v[4:5]
	v_mov_b32_e32 v15, v5
.LBB67_9:                               ;   in Loop: Header=BB67_3 Depth=1
	s_or_b64 exec, exec, s[6:7]
	v_cmp_lt_i32_e32 vcc, 3, v7
	v_pk_mov_b32 v[16:17], v[10:11], v[10:11] op_sel:[0,1]
	s_and_saveexec_b64 s[6:7], vcc
	s_cbranch_execz .LBB67_11
; %bb.10:                               ;   in Loop: Header=BB67_3 Depth=1
	v_add_u32_e32 v10, 3, v0
	v_mul_hi_u32 v11, v10, v3
	v_mul_lo_u32 v16, v11, s56
	v_sub_u32_e32 v16, v10, v16
	v_add_u32_e32 v17, 1, v11
	v_cmp_le_u32_e32 vcc, s56, v16
	v_cndmask_b32_e32 v11, v11, v17, vcc
	v_subrev_u32_e32 v17, s56, v16
	v_cndmask_b32_e32 v16, v16, v17, vcc
	v_add_u32_e32 v17, 1, v11
	v_cmp_le_u32_e32 vcc, s56, v16
	v_cndmask_b32_e32 v11, v11, v17, vcc
	v_mul_lo_u32 v16, v11, s56
	v_sub_u32_e32 v10, v10, v16
	v_mul_lo_u32 v10, v10, s19
	s_waitcnt vmcnt(0)
	v_add_u32_e32 v4, s58, v29
	v_mad_u64_u32 v[16:17], s[42:43], v11, s18, v[10:11]
	v_mov_b32_e32 v17, v5
	v_pk_mov_b32 v[10:11], v[4:5], v[4:5] op_sel:[0,1]
.LBB67_11:                              ;   in Loop: Header=BB67_3 Depth=1
	s_or_b64 exec, exec, s[6:7]
	v_lshlrev_b64 v[12:13], 2, v[12:13]
	s_waitcnt vmcnt(0)
	v_mov_b32_e32 v4, s15
	v_add_co_u32_e32 v12, vcc, s14, v12
	v_addc_co_u32_e32 v13, vcc, v4, v13, vcc
	v_lshlrev_b64 v[8:9], 2, v[8:9]
	v_add_co_u32_e32 v8, vcc, s14, v8
	v_addc_co_u32_e32 v9, vcc, v4, v9, vcc
	v_lshlrev_b64 v[14:15], 2, v[14:15]
	;; [unrolled: 3-line block ×3, first 2 shown]
	v_add_co_u32_e32 v16, vcc, s14, v16
	v_addc_co_u32_e32 v17, vcc, v4, v17, vcc
	global_load_dword v31, v[12:13], off
	global_load_dword v32, v[8:9], off
	;; [unrolled: 1-line block ×4, first 2 shown]
	s_andn2_b64 vcc, exec, s[22:23]
	v_pk_mov_b32 v[8:9], s[10:11], s[10:11] op_sel:[0,1]
	v_pk_mov_b32 v[12:13], s[8:9], s[8:9] op_sel:[0,1]
	s_cbranch_vccnz .LBB67_13
; %bb.12:                               ;   in Loop: Header=BB67_3 Depth=1
	v_pk_mov_b32 v[8:9], s[10:11], s[10:11] op_sel:[0,1]
	flat_load_dwordx2 v[8:9], v[8:9]
	v_pk_mov_b32 v[12:13], s[8:9], s[8:9] op_sel:[0,1]
	flat_load_dwordx2 v[12:13], v[12:13]
	v_mov_b32_e32 v14, s17
	s_waitcnt vmcnt(0) lgkmcnt(0)
	v_add_co_u32_e32 v8, vcc, s16, v8
	v_addc_co_u32_e32 v9, vcc, v9, v14, vcc
.LBB67_13:                              ;   in Loop: Header=BB67_3 Depth=1
	v_alignbit_b32 v22, v9, v8, 2
	v_lshrrev_b32_e32 v23, 2, v9
	v_xor_b32_e32 v14, v6, v12
	v_and_b32_e32 v34, 3, v8
	v_mad_u64_u32 v[8:9], s[6:7], v22, s62, 0
	v_xor_b32_e32 v14, v14, v23
	v_xor_b32_e32 v9, v9, v13
	v_add_u32_e32 v39, 0xbb67ae85, v13
	v_mad_u64_u32 v[14:15], s[6:7], v14, s62, 0
	v_mad_u64_u32 v[16:17], s[6:7], v9, s57, 0
	v_xor_b32_e32 v15, v39, v15
	v_add_u32_e32 v38, 0x9e3779b9, v12
	v_xor_b32_e32 v9, v2, v17
	v_xor_b32_e32 v15, v15, v8
	v_xor_b32_e32 v9, v9, v38
	v_add_u32_e32 v40, 0x3c6ef372, v12
	v_mad_u64_u32 v[18:19], s[6:7], v15, s57, 0
	v_add_u32_e32 v41, 0x76cf5d0a, v13
	v_mad_u64_u32 v[8:9], s[6:7], v9, s62, 0
	v_xor_b32_e32 v15, v40, v19
	v_xor_b32_e32 v15, v15, v16
	v_xor_b32_e32 v9, v41, v9
	v_xor_b32_e32 v9, v9, v14
	v_add_u32_e32 v43, 0x32370b8f, v13
	v_mad_u64_u32 v[14:15], s[6:7], v15, s62, 0
	v_add_u32_e32 v42, 0xdaa66d2b, v12
	v_mad_u64_u32 v[16:17], s[6:7], v9, s57, 0
	v_xor_b32_e32 v15, v43, v15
	;; [unrolled: 8-line block ×5, first 2 shown]
	v_xor_b32_e32 v15, v15, v16
	v_xor_b32_e32 v9, v49, v9
	;; [unrolled: 1-line block ×3, first 2 shown]
	v_add_u32_e32 v51, 0x1fd5c5a3, v13
	v_mad_u64_u32 v[14:15], s[6:7], v15, s62, 0
	v_xor_b32_e32 v15, v51, v15
	v_xor_b32_e32 v8, v15, v8
	v_add_u32_e32 v50, 0x5384540f, v12
	v_mad_u64_u32 v[20:21], s[6:7], v9, s57, 0
	v_add_co_u32_e32 v36, vcc, s63, v12
	v_mad_u64_u32 v[16:17], s[6:7], v8, s57, 0
	v_xor_b32_e32 v9, v50, v21
	v_xor_b32_e32 v8, v36, v17
	;; [unrolled: 1-line block ×4, first 2 shown]
	v_mad_u64_u32 v[18:19], s[6:7], v9, s62, 0
	v_mad_u64_u32 v[8:9], s[6:7], v8, s62, 0
	v_add_u32_e32 v37, 0x96a522ad, v13
	v_xor_b32_e32 v9, v9, v18
	v_xor_b32_e32 v35, v37, v9
	v_add_co_u32_e32 v9, vcc, 1, v22
	v_cndmask_b32_e64 v18, 0, 1, vcc
	v_addc_co_u32_e32 v24, vcc, 0, v23, vcc
	v_cmp_eq_u32_e32 vcc, 0, v24
	v_cndmask_b32_e32 v18, 0, v18, vcc
	v_add_u32_e32 v22, v18, v1
	v_cmp_eq_u32_e32 vcc, 0, v22
	v_mad_u64_u32 v[20:21], s[6:7], v9, s62, 0
	v_mad_u64_u32 v[22:23], s[6:7], v22, s57, 0
	v_add_u32_e32 v17, 0x8ff34781, v12
	v_cndmask_b32_e32 v18, 0, v18, vcc
	v_xor_b32_e32 v9, v23, v12
	v_xor_b32_e32 v12, v21, v13
	;; [unrolled: 1-line block ×4, first 2 shown]
	v_mad_u64_u32 v[24:25], s[6:7], v18, s57, 0
	v_add_u32_e32 v15, 0xdb3d7428, v13
	v_mad_u64_u32 v[12:13], s[6:7], v9, s62, 0
	v_xor_b32_e32 v9, v38, v25
	v_xor_b32_e32 v9, v9, v22
	v_xor_b32_e32 v13, v39, v13
	v_xor_b32_e32 v13, v13, v20
	v_mad_u64_u32 v[20:21], s[6:7], v9, s62, 0
	v_mad_u64_u32 v[22:23], s[6:7], v13, s57, 0
	v_xor_b32_e32 v13, v41, v21
	v_xor_b32_e32 v9, v40, v23
	v_xor_b32_e32 v18, v13, v12
	v_xor_b32_e32 v9, v9, v24
	v_mad_u64_u32 v[24:25], s[6:7], v18, s57, 0
	;; [unrolled: 6-line block ×7, first 2 shown]
	v_xor_b32_e32 v9, v15, v23
	v_xor_b32_e32 v9, v9, v12
	v_mad_u64_u32 v[24:25], s[6:7], v13, s57, 0
	v_mad_u64_u32 v[12:13], s[6:7], v9, s57, 0
	v_xor_b32_e32 v9, v13, v24
	v_xor_b32_e32 v9, v17, v9
	v_cmp_lt_i32_e32 vcc, 1, v34
                                        ; implicit-def: $vgpr21
	s_and_saveexec_b64 s[6:7], vcc
	s_xor_b64 s[6:7], exec, s[6:7]
	s_cbranch_execz .LBB67_19
; %bb.14:                               ;   in Loop: Header=BB67_3 Depth=1
	v_cmp_lt_i32_e32 vcc, 2, v34
                                        ; implicit-def: $vgpr21
	s_and_saveexec_b64 s[42:43], vcc
	s_xor_b64 s[42:43], exec, s[42:43]
; %bb.15:                               ;   in Loop: Header=BB67_3 Depth=1
	v_xor_b32_e32 v13, v36, v25
	v_xor_b32_e32 v13, v13, v20
	v_mul_hi_u32 v13, v13, s62
	v_xor_b32_e32 v13, v13, v22
	v_xor_b32_e32 v21, v37, v13
                                        ; implicit-def: $vgpr35
; %bb.16:                               ;   in Loop: Header=BB67_3 Depth=1
	s_andn2_saveexec_b64 s[42:43], s[42:43]
; %bb.17:                               ;   in Loop: Header=BB67_3 Depth=1
	v_mov_b32_e32 v21, v12
	v_mov_b32_e32 v12, v9
	;; [unrolled: 1-line block ×4, first 2 shown]
; %bb.18:                               ;   in Loop: Header=BB67_3 Depth=1
	s_or_b64 exec, exec, s[42:43]
                                        ; implicit-def: $vgpr14_vgpr15
                                        ; implicit-def: $vgpr16_vgpr17
                                        ; implicit-def: $vgpr34
                                        ; implicit-def: $vgpr35
                                        ; implicit-def: $vgpr18_vgpr19
                                        ; implicit-def: $vgpr15
                                        ; implicit-def: $vgpr17
.LBB67_19:                              ;   in Loop: Header=BB67_3 Depth=1
	s_andn2_saveexec_b64 s[6:7], s[6:7]
	s_cbranch_execz .LBB67_23
; %bb.20:                               ;   in Loop: Header=BB67_3 Depth=1
	v_xor_b32_e32 v12, v15, v19
	v_xor_b32_e32 v12, v12, v14
	v_mad_u64_u32 v[14:15], s[42:43], v12, s57, 0
	v_xor_b32_e32 v12, v15, v16
	v_xor_b32_e32 v13, v17, v12
	v_cmp_eq_u32_e32 vcc, 1, v34
	v_mov_b32_e32 v21, v8
	v_mov_b32_e32 v12, v35
	;; [unrolled: 1-line block ×3, first 2 shown]
	s_and_saveexec_b64 s[42:43], vcc
; %bb.21:                               ;   in Loop: Header=BB67_3 Depth=1
	v_mov_b32_e32 v21, v9
	v_mov_b32_e32 v12, v8
	;; [unrolled: 1-line block ×4, first 2 shown]
; %bb.22:                               ;   in Loop: Header=BB67_3 Depth=1
	s_or_b64 exec, exec, s[42:43]
	v_mov_b32_e32 v8, v13
	v_mov_b32_e32 v9, v15
.LBB67_23:                              ;   in Loop: Header=BB67_3 Depth=1
	s_or_b64 exec, exec, s[6:7]
	v_min_i32_e32 v13, 4, v7
	v_cmp_lt_i32_e32 vcc, 2, v13
	s_mov_b64 s[42:43], 0
	s_mov_b64 s[54:55], 0
                                        ; implicit-def: $sgpr6_sgpr7
                                        ; implicit-def: $sgpr44_sgpr45
                                        ; implicit-def: $sgpr46_sgpr47
	s_and_saveexec_b64 s[48:49], vcc
	s_xor_b64 s[48:49], exec, s[48:49]
	s_cbranch_execz .LBB67_33
; %bb.24:                               ;   in Loop: Header=BB67_3 Depth=1
	v_cmp_lt_i32_e32 vcc, 3, v13
	s_mov_b64 s[6:7], -1
                                        ; implicit-def: $sgpr44_sgpr45
                                        ; implicit-def: $sgpr50_sgpr51
	s_and_saveexec_b64 s[46:47], vcc
	s_cbranch_execz .LBB67_28
; %bb.25:                               ;   in Loop: Header=BB67_3 Depth=1
	s_waitcnt vmcnt(0)
	v_cmp_le_f32_e32 vcc, 0, v4
	v_cmp_ge_f32_e64 s[6:7], 1.0, v4
	s_and_b64 s[52:53], vcc, s[6:7]
	s_mov_b64 s[44:45], 0
	s_mov_b64 s[6:7], 0
	s_and_saveexec_b64 s[50:51], s[52:53]
	s_cbranch_execz .LBB67_27
; %bb.26:                               ;   in Loop: Header=BB67_3 Depth=1
	v_cvt_f32_u32_e32 v14, v21
	v_mov_b32_e32 v15, 0x2f800000
	v_lshlrev_b64 v[10:11], 3, v[10:11]
	v_add_co_u32_e32 v10, vcc, s12, v10
	v_fmac_f32_e32 v15, 0x2f800000, v14
	v_mov_b32_e32 v14, s13
	v_addc_co_u32_e32 v11, vcc, v14, v11, vcc
	v_cmp_le_f32_e32 vcc, v15, v4
	s_mov_b64 s[6:7], exec
	v_cndmask_b32_e32 v15, 0, v30, vcc
	v_mov_b32_e32 v14, v5
	global_store_dwordx2 v[10:11], v[14:15], off
.LBB67_27:                              ;   in Loop: Header=BB67_3 Depth=1
	s_or_b64 exec, exec, s[50:51]
	s_mov_b64 s[50:51], -1
	s_orn2_b64 s[6:7], s[6:7], exec
.LBB67_28:                              ;   in Loop: Header=BB67_3 Depth=1
	s_or_b64 exec, exec, s[46:47]
	s_mov_b64 s[52:53], 0
	s_mov_b64 s[54:55], s[44:45]
	s_and_saveexec_b64 s[46:47], s[6:7]
	s_cbranch_execz .LBB67_32
; %bb.29:                               ;   in Loop: Header=BB67_3 Depth=1
	s_waitcnt vmcnt(1)
	v_cmp_le_f32_e32 vcc, 0, v33
	v_cmp_ge_f32_e64 s[6:7], 1.0, v33
	s_and_b64 s[52:53], vcc, s[6:7]
	s_mov_b64 s[6:7], 0
	s_and_saveexec_b64 s[54:55], s[52:53]
	s_xor_b64 s[52:53], exec, s[54:55]
	s_cbranch_execz .LBB67_31
; %bb.30:                               ;   in Loop: Header=BB67_3 Depth=1
	s_waitcnt vmcnt(0)
	v_cvt_f32_u32_e32 v4, v12
	v_mov_b32_e32 v12, 0x2f800000
	v_add_u32_e32 v10, s58, v28
	v_mov_b32_e32 v14, v5
	v_fmac_f32_e32 v12, 0x2f800000, v4
	v_cndmask_b32_e64 v4, 0, v10, s[4:5]
	v_lshlrev_b64 v[10:11], 3, v[4:5]
	v_mov_b32_e32 v4, s13
	v_add_co_u32_e32 v10, vcc, s12, v10
	v_addc_co_u32_e32 v11, vcc, v4, v11, vcc
	v_cmp_le_f32_e32 vcc, v12, v33
	v_cndmask_b32_e32 v15, 0, v30, vcc
	s_mov_b64 s[6:7], exec
	global_store_dwordx2 v[10:11], v[14:15], off
.LBB67_31:                              ;   in Loop: Header=BB67_3 Depth=1
	s_or_b64 exec, exec, s[52:53]
	s_andn2_b64 s[54:55], s[44:45], exec
	s_or_b64 s[44:45], s[44:45], exec
	s_andn2_b64 s[50:51], s[50:51], exec
	s_and_b64 s[52:53], s[6:7], exec
.LBB67_32:                              ;   in Loop: Header=BB67_3 Depth=1
	s_or_b64 exec, exec, s[46:47]
	s_and_b64 s[46:47], s[54:55], exec
	s_and_b64 s[44:45], s[44:45], exec
	;; [unrolled: 1-line block ×4, first 2 shown]
.LBB67_33:                              ;   in Loop: Header=BB67_3 Depth=1
	s_andn2_saveexec_b64 s[4:5], s[48:49]
; %bb.34:                               ;   in Loop: Header=BB67_3 Depth=1
	v_cmp_lt_i32_e32 vcc, 1, v13
	s_andn2_b64 s[48:49], s[54:55], exec
	s_and_b64 s[50:51], vcc, exec
	s_mov_b64 s[42:43], exec
	s_andn2_b64 s[46:47], s[46:47], exec
	s_andn2_b64 s[44:45], s[44:45], exec
	;; [unrolled: 1-line block ×3, first 2 shown]
	s_or_b64 s[54:55], s[48:49], s[50:51]
; %bb.35:                               ;   in Loop: Header=BB67_3 Depth=1
	s_or_b64 exec, exec, s[4:5]
	s_mov_b64 s[48:49], 0
	s_mov_b64 s[50:51], 0
	;; [unrolled: 1-line block ×3, first 2 shown]
	s_and_saveexec_b64 s[52:53], s[54:55]
	s_cbranch_execnz .LBB67_38
; %bb.36:                               ;   in Loop: Header=BB67_3 Depth=1
	s_or_b64 exec, exec, s[52:53]
	s_and_saveexec_b64 s[2:3], s[42:43]
	s_cbranch_execnz .LBB67_41
.LBB67_37:                              ;   in Loop: Header=BB67_3 Depth=1
	s_or_b64 exec, exec, s[2:3]
	s_and_saveexec_b64 s[42:43], s[50:51]
	s_cbranch_execnz .LBB67_42
	s_branch .LBB67_45
.LBB67_38:                              ;   in Loop: Header=BB67_3 Depth=1
	s_waitcnt vmcnt(2)
	v_cmp_le_f32_e32 vcc, 0, v32
	v_cmp_ge_f32_e64 s[4:5], 1.0, v32
	s_and_b64 s[4:5], vcc, s[4:5]
	s_and_saveexec_b64 s[54:55], s[4:5]
	s_xor_b64 s[4:5], exec, s[54:55]
	s_cbranch_execz .LBB67_40
; %bb.39:                               ;   in Loop: Header=BB67_3 Depth=1
	s_waitcnt vmcnt(0)
	v_cvt_f32_u32_e32 v4, v9
	v_mov_b32_e32 v9, 0x2f800000
	v_add_u32_e32 v10, s58, v27
	v_mov_b32_e32 v14, v5
	v_fmac_f32_e32 v9, 0x2f800000, v4
	v_cndmask_b32_e64 v4, 0, v10, s[2:3]
	v_lshlrev_b64 v[10:11], 3, v[4:5]
	v_mov_b32_e32 v4, s13
	v_add_co_u32_e32 v10, vcc, s12, v10
	v_addc_co_u32_e32 v11, vcc, v4, v11, vcc
	v_cmp_le_f32_e32 vcc, v9, v32
	v_cndmask_b32_e32 v15, 0, v30, vcc
	s_mov_b64 s[50:51], exec
	global_store_dwordx2 v[10:11], v[14:15], off
.LBB67_40:                              ;   in Loop: Header=BB67_3 Depth=1
	s_or_b64 exec, exec, s[4:5]
	s_andn2_b64 s[4:5], s[46:47], exec
	s_or_b64 s[46:47], s[46:47], exec
	s_andn2_b64 s[44:45], s[44:45], exec
	s_andn2_b64 s[6:7], s[6:7], exec
	s_and_b64 s[50:51], s[50:51], exec
	s_andn2_b64 s[42:43], s[42:43], exec
	s_or_b64 exec, exec, s[52:53]
	s_and_saveexec_b64 s[2:3], s[42:43]
	s_cbranch_execz .LBB67_37
.LBB67_41:                              ;   in Loop: Header=BB67_3 Depth=1
	v_cmp_eq_u32_e32 vcc, 1, v13
	s_andn2_b64 s[42:43], s[50:51], exec
	s_and_b64 s[50:51], vcc, exec
	s_mov_b64 s[48:49], exec
	s_andn2_b64 s[4:5], s[4:5], exec
	s_andn2_b64 s[46:47], s[46:47], exec
	s_andn2_b64 s[44:45], s[44:45], exec
	s_andn2_b64 s[6:7], s[6:7], exec
	s_or_b64 s[50:51], s[42:43], s[50:51]
	s_or_b64 exec, exec, s[2:3]
	s_and_saveexec_b64 s[42:43], s[50:51]
	s_cbranch_execz .LBB67_45
.LBB67_42:                              ;   in Loop: Header=BB67_3 Depth=1
	s_waitcnt vmcnt(3)
	v_cmp_le_f32_e32 vcc, 0, v31
	v_cmp_ge_f32_e64 s[2:3], 1.0, v31
	s_and_b64 s[52:53], vcc, s[2:3]
	s_mov_b64 s[2:3], 0
	s_and_saveexec_b64 s[50:51], s[52:53]
	s_cbranch_execz .LBB67_44
; %bb.43:                               ;   in Loop: Header=BB67_3 Depth=1
	s_waitcnt vmcnt(0)
	v_cvt_f32_u32_e32 v4, v8
	v_mov_b32_e32 v10, 0x2f800000
	v_add_u32_e32 v8, s58, v26
	s_mov_b64 s[2:3], exec
	v_fmac_f32_e32 v10, 0x2f800000, v4
	v_cndmask_b32_e64 v4, 0, v8, s[0:1]
	v_lshlrev_b64 v[8:9], 3, v[4:5]
	v_mov_b32_e32 v4, s13
	v_add_co_u32_e32 v8, vcc, s12, v8
	v_addc_co_u32_e32 v9, vcc, v4, v9, vcc
	v_cmp_le_f32_e32 vcc, v10, v31
	v_cndmask_b32_e32 v11, 0, v30, vcc
	v_mov_b32_e32 v10, v5
	global_store_dwordx2 v[8:9], v[10:11], off
.LBB67_44:                              ;   in Loop: Header=BB67_3 Depth=1
	s_or_b64 exec, exec, s[50:51]
	s_andn2_b64 s[0:1], s[48:49], exec
	s_and_b64 s[2:3], s[2:3], exec
	s_or_b64 s[4:5], s[4:5], exec
	s_andn2_b64 s[46:47], s[46:47], exec
	s_andn2_b64 s[44:45], s[44:45], exec
	;; [unrolled: 1-line block ×3, first 2 shown]
	s_or_b64 s[48:49], s[0:1], s[2:3]
.LBB67_45:                              ;   in Loop: Header=BB67_3 Depth=1
	s_or_b64 exec, exec, s[42:43]
	s_andn2_b64 s[2:3], s[40:41], exec
	s_and_b64 s[4:5], s[4:5], exec
	s_or_b64 s[40:41], s[2:3], s[4:5]
	s_andn2_b64 s[2:3], s[38:39], exec
	s_and_b64 s[4:5], s[46:47], exec
	s_or_b64 s[38:39], s[2:3], s[4:5]
	;; [unrolled: 3-line block ×3, first 2 shown]
	s_andn2_b64 s[2:3], s[34:35], exec
	s_and_b64 s[4:5], s[6:7], exec
	s_mov_b64 s[0:1], -1
	s_or_b64 s[34:35], s[2:3], s[4:5]
	s_and_saveexec_b64 s[2:3], s[48:49]
	s_cbranch_execz .LBB67_2
; %bb.46:                               ;   in Loop: Header=BB67_3 Depth=1
	v_add_u32_e32 v0, s59, v0
	v_cmp_le_u32_e32 vcc, s33, v0
	v_subrev_u32_e32 v7, s59, v7
	s_add_i32 s58, s58, s61
	s_andn2_b64 s[40:41], s[40:41], exec
	s_andn2_b64 s[38:39], s[38:39], exec
	;; [unrolled: 1-line block ×4, first 2 shown]
	s_orn2_b64 s[0:1], vcc, exec
	s_branch .LBB67_2
.LBB67_47:
	s_or_b64 exec, exec, s[24:25]
	s_xor_b64 s[6:7], s[30:31], -1
	s_xor_b64 s[8:9], s[28:29], -1
	s_xor_b64 s[0:1], s[26:27], -1
	s_mov_b64 s[2:3], 0
	s_and_saveexec_b64 s[4:5], s[0:1]
	s_xor_b64 s[0:1], exec, s[4:5]
	s_cbranch_execnz .LBB67_52
; %bb.48:
	s_andn2_saveexec_b64 s[0:1], s[0:1]
	s_cbranch_execnz .LBB67_60
.LBB67_49:
	s_or_b64 exec, exec, s[0:1]
	s_and_b64 exec, exec, s[2:3]
.LBB67_50:
	; divergent unreachable
.LBB67_51:
	s_endpgm
.LBB67_52:
	s_mov_b64 s[4:5], 0
	s_and_saveexec_b64 s[2:3], s[8:9]
	s_xor_b64 s[2:3], exec, s[2:3]
	s_cbranch_execz .LBB67_58
; %bb.53:
	s_and_saveexec_b64 s[8:9], s[6:7]
	s_xor_b64 s[6:7], exec, s[8:9]
	s_cbranch_execz .LBB67_56
; %bb.54:
	s_and_saveexec_b64 s[8:9], s[20:21]
	s_xor_b64 s[8:9], exec, s[8:9]
	s_cbranch_execnz .LBB67_63
.LBB67_55:
	s_or_b64 exec, exec, s[8:9]
	s_and_b64 s[4:5], s[4:5], exec
.LBB67_56:
	s_andn2_saveexec_b64 s[6:7], s[6:7]
	s_cbranch_execnz .LBB67_62
.LBB67_57:
	s_or_b64 exec, exec, s[6:7]
	s_and_b64 s[4:5], s[4:5], exec
.LBB67_58:
	s_andn2_saveexec_b64 s[2:3], s[2:3]
	s_cbranch_execnz .LBB67_61
.LBB67_59:
	s_or_b64 exec, exec, s[2:3]
	s_and_b64 s[2:3], s[4:5], exec
	s_andn2_saveexec_b64 s[0:1], s[0:1]
	s_cbranch_execz .LBB67_49
.LBB67_60:
	s_or_b64 s[2:3], s[2:3], exec
	s_trap 2
	s_or_b64 exec, exec, s[0:1]
	s_and_b64 exec, exec, s[2:3]
	s_cbranch_execnz .LBB67_50
	s_branch .LBB67_51
.LBB67_61:
	s_or_b64 s[4:5], s[4:5], exec
	s_trap 2
	s_branch .LBB67_59
.LBB67_62:
	s_trap 2
	s_or_b64 s[4:5], s[4:5], exec
	s_branch .LBB67_57
.LBB67_63:
	s_mov_b64 s[4:5], exec
	s_trap 2
	s_branch .LBB67_55
	.section	.rodata,"a",@progbits
	.p2align	6, 0x0
	.amdhsa_kernel _ZN2at4cuda12_GLOBAL__N_121kernelPointwiseApply2IZNS_6native9templates4cuda28bernoulli_tensor_cuda_kernelIdfEEvRKNS_10TensorBaseES9_NS_15PhiloxCudaStateEEUliRdSB_SB_SB_RKfSD_SD_SD_E_dSC_jLi1ELi2ELi4ELi512ELi2EEEvNS0_6detail10TensorInfoIT0_T2_EENSG_IT1_SI_EESI_T_
		.amdhsa_group_segment_fixed_size 0
		.amdhsa_private_segment_fixed_size 0
		.amdhsa_kernarg_size 728
		.amdhsa_user_sgpr_count 6
		.amdhsa_user_sgpr_private_segment_buffer 1
		.amdhsa_user_sgpr_dispatch_ptr 0
		.amdhsa_user_sgpr_queue_ptr 0
		.amdhsa_user_sgpr_kernarg_segment_ptr 1
		.amdhsa_user_sgpr_dispatch_id 0
		.amdhsa_user_sgpr_flat_scratch_init 0
		.amdhsa_user_sgpr_kernarg_preload_length 0
		.amdhsa_user_sgpr_kernarg_preload_offset 0
		.amdhsa_user_sgpr_private_segment_size 0
		.amdhsa_uses_dynamic_stack 0
		.amdhsa_system_sgpr_private_segment_wavefront_offset 0
		.amdhsa_system_sgpr_workgroup_id_x 1
		.amdhsa_system_sgpr_workgroup_id_y 0
		.amdhsa_system_sgpr_workgroup_id_z 0
		.amdhsa_system_sgpr_workgroup_info 0
		.amdhsa_system_vgpr_workitem_id 0
		.amdhsa_next_free_vgpr 52
		.amdhsa_next_free_sgpr 64
		.amdhsa_accum_offset 52
		.amdhsa_reserve_vcc 1
		.amdhsa_reserve_flat_scratch 0
		.amdhsa_float_round_mode_32 0
		.amdhsa_float_round_mode_16_64 0
		.amdhsa_float_denorm_mode_32 3
		.amdhsa_float_denorm_mode_16_64 3
		.amdhsa_dx10_clamp 1
		.amdhsa_ieee_mode 1
		.amdhsa_fp16_overflow 0
		.amdhsa_tg_split 0
		.amdhsa_exception_fp_ieee_invalid_op 0
		.amdhsa_exception_fp_denorm_src 0
		.amdhsa_exception_fp_ieee_div_zero 0
		.amdhsa_exception_fp_ieee_overflow 0
		.amdhsa_exception_fp_ieee_underflow 0
		.amdhsa_exception_fp_ieee_inexact 0
		.amdhsa_exception_int_div_zero 0
	.end_amdhsa_kernel
	.section	.text._ZN2at4cuda12_GLOBAL__N_121kernelPointwiseApply2IZNS_6native9templates4cuda28bernoulli_tensor_cuda_kernelIdfEEvRKNS_10TensorBaseES9_NS_15PhiloxCudaStateEEUliRdSB_SB_SB_RKfSD_SD_SD_E_dSC_jLi1ELi2ELi4ELi512ELi2EEEvNS0_6detail10TensorInfoIT0_T2_EENSG_IT1_SI_EESI_T_,"axG",@progbits,_ZN2at4cuda12_GLOBAL__N_121kernelPointwiseApply2IZNS_6native9templates4cuda28bernoulli_tensor_cuda_kernelIdfEEvRKNS_10TensorBaseES9_NS_15PhiloxCudaStateEEUliRdSB_SB_SB_RKfSD_SD_SD_E_dSC_jLi1ELi2ELi4ELi512ELi2EEEvNS0_6detail10TensorInfoIT0_T2_EENSG_IT1_SI_EESI_T_,comdat
.Lfunc_end67:
	.size	_ZN2at4cuda12_GLOBAL__N_121kernelPointwiseApply2IZNS_6native9templates4cuda28bernoulli_tensor_cuda_kernelIdfEEvRKNS_10TensorBaseES9_NS_15PhiloxCudaStateEEUliRdSB_SB_SB_RKfSD_SD_SD_E_dSC_jLi1ELi2ELi4ELi512ELi2EEEvNS0_6detail10TensorInfoIT0_T2_EENSG_IT1_SI_EESI_T_, .Lfunc_end67-_ZN2at4cuda12_GLOBAL__N_121kernelPointwiseApply2IZNS_6native9templates4cuda28bernoulli_tensor_cuda_kernelIdfEEvRKNS_10TensorBaseES9_NS_15PhiloxCudaStateEEUliRdSB_SB_SB_RKfSD_SD_SD_E_dSC_jLi1ELi2ELi4ELi512ELi2EEEvNS0_6detail10TensorInfoIT0_T2_EENSG_IT1_SI_EESI_T_
                                        ; -- End function
	.section	.AMDGPU.csdata,"",@progbits
; Kernel info:
; codeLenInByte = 3040
; NumSgprs: 68
; NumVgprs: 52
; NumAgprs: 0
; TotalNumVgprs: 52
; ScratchSize: 0
; MemoryBound: 0
; FloatMode: 240
; IeeeMode: 1
; LDSByteSize: 0 bytes/workgroup (compile time only)
; SGPRBlocks: 8
; VGPRBlocks: 6
; NumSGPRsForWavesPerEU: 68
; NumVGPRsForWavesPerEU: 52
; AccumOffset: 52
; Occupancy: 8
; WaveLimiterHint : 1
; COMPUTE_PGM_RSRC2:SCRATCH_EN: 0
; COMPUTE_PGM_RSRC2:USER_SGPR: 6
; COMPUTE_PGM_RSRC2:TRAP_HANDLER: 0
; COMPUTE_PGM_RSRC2:TGID_X_EN: 1
; COMPUTE_PGM_RSRC2:TGID_Y_EN: 0
; COMPUTE_PGM_RSRC2:TGID_Z_EN: 0
; COMPUTE_PGM_RSRC2:TIDIG_COMP_CNT: 0
; COMPUTE_PGM_RSRC3_GFX90A:ACCUM_OFFSET: 12
; COMPUTE_PGM_RSRC3_GFX90A:TG_SPLIT: 0
	.section	.text._ZN2at4cuda12_GLOBAL__N_121kernelPointwiseApply2IZNS_6native9templates4cuda28bernoulli_tensor_cuda_kernelIdfEEvRKNS_10TensorBaseES9_NS_15PhiloxCudaStateEEUliRdSB_SB_SB_RKfSD_SD_SD_E_dSC_jLi1ELin1ELi4ELi512ELi2EEEvNS0_6detail10TensorInfoIT0_T2_EENSG_IT1_SI_EESI_T_,"axG",@progbits,_ZN2at4cuda12_GLOBAL__N_121kernelPointwiseApply2IZNS_6native9templates4cuda28bernoulli_tensor_cuda_kernelIdfEEvRKNS_10TensorBaseES9_NS_15PhiloxCudaStateEEUliRdSB_SB_SB_RKfSD_SD_SD_E_dSC_jLi1ELin1ELi4ELi512ELi2EEEvNS0_6detail10TensorInfoIT0_T2_EENSG_IT1_SI_EESI_T_,comdat
	.globl	_ZN2at4cuda12_GLOBAL__N_121kernelPointwiseApply2IZNS_6native9templates4cuda28bernoulli_tensor_cuda_kernelIdfEEvRKNS_10TensorBaseES9_NS_15PhiloxCudaStateEEUliRdSB_SB_SB_RKfSD_SD_SD_E_dSC_jLi1ELin1ELi4ELi512ELi2EEEvNS0_6detail10TensorInfoIT0_T2_EENSG_IT1_SI_EESI_T_ ; -- Begin function _ZN2at4cuda12_GLOBAL__N_121kernelPointwiseApply2IZNS_6native9templates4cuda28bernoulli_tensor_cuda_kernelIdfEEvRKNS_10TensorBaseES9_NS_15PhiloxCudaStateEEUliRdSB_SB_SB_RKfSD_SD_SD_E_dSC_jLi1ELin1ELi4ELi512ELi2EEEvNS0_6detail10TensorInfoIT0_T2_EENSG_IT1_SI_EESI_T_
	.p2align	8
	.type	_ZN2at4cuda12_GLOBAL__N_121kernelPointwiseApply2IZNS_6native9templates4cuda28bernoulli_tensor_cuda_kernelIdfEEvRKNS_10TensorBaseES9_NS_15PhiloxCudaStateEEUliRdSB_SB_SB_RKfSD_SD_SD_E_dSC_jLi1ELin1ELi4ELi512ELi2EEEvNS0_6detail10TensorInfoIT0_T2_EENSG_IT1_SI_EESI_T_,@function
_ZN2at4cuda12_GLOBAL__N_121kernelPointwiseApply2IZNS_6native9templates4cuda28bernoulli_tensor_cuda_kernelIdfEEvRKNS_10TensorBaseES9_NS_15PhiloxCudaStateEEUliRdSB_SB_SB_RKfSD_SD_SD_E_dSC_jLi1ELin1ELi4ELi512ELi2EEEvNS0_6detail10TensorInfoIT0_T2_EENSG_IT1_SI_EESI_T_: ; @_ZN2at4cuda12_GLOBAL__N_121kernelPointwiseApply2IZNS_6native9templates4cuda28bernoulli_tensor_cuda_kernelIdfEEvRKNS_10TensorBaseES9_NS_15PhiloxCudaStateEEUliRdSB_SB_SB_RKfSD_SD_SD_E_dSC_jLi1ELin1ELi4ELi512ELi2EEEvNS0_6detail10TensorInfoIT0_T2_EENSG_IT1_SI_EESI_T_
; %bb.0:
	s_load_dword s2, s[4:5], 0x1e4
	s_load_dword s33, s[4:5], 0x1b0
	s_add_u32 s0, s4, 0x1d8
	s_addc_u32 s1, s5, 0
	s_waitcnt lgkmcnt(0)
	s_and_b32 s2, s2, 0xffff
	s_mul_i32 s6, s6, s2
	v_add_u32_e32 v5, s6, v0
	v_lshlrev_b32_e32 v24, 2, v5
	v_cmp_gt_u32_e32 vcc, s33, v24
	s_and_saveexec_b64 s[6:7], vcc
	s_cbranch_execz .LBB68_65
; %bb.1:
	s_load_dword s3, s[0:1], 0x0
	s_load_dwordx4 s[12:15], s[4:5], 0x1b8
	s_load_dword s8, s[4:5], 0x1a8
	s_load_dwordx2 s[10:11], s[4:5], 0x0
	s_load_dword s60, s[4:5], 0x6c
	s_waitcnt lgkmcnt(0)
	s_mul_i32 s9, s3, s2
	s_load_dwordx2 s[16:17], s[4:5], 0x1c8
	s_load_dword s2, s[4:5], 0x1d0
	s_add_u32 s6, s4, 0xd8
	s_addc_u32 s7, s5, 0
	s_cmp_gt_i32 s8, 1
	s_mov_b32 s62, 0xcd9e8d57
	s_cselect_b64 s[0:1], -1, 0
	s_waitcnt lgkmcnt(0)
	s_bitcmp1_b32 s2, 0
	v_mad_u64_u32 v[0:1], s[2:3], v5, s62, 0
	s_cselect_b64 s[22:23], -1, 0
	s_add_i32 s2, s8, -1
	s_mov_b32 s3, 0
	s_load_dword s61, s[4:5], 0x144
	s_load_dwordx2 s[18:19], s[4:5], 0xd8
	s_lshl_b32 s63, s9, 2
	s_add_i32 s64, s8, 1
	s_lshl_b64 s[2:3], s[2:3], 2
	s_add_u32 s2, s2, s6
	s_addc_u32 s3, s3, s7
	v_mov_b32_e32 v4, v1
	s_add_u32 s24, s2, 8
	v_cndmask_b32_e64 v1, 0, 1, s[0:1]
	v_mov_b32_e32 v3, 0
	s_addc_u32 s25, s3, 0
	s_mov_b64 s[26:27], 0
	s_mov_b32 s65, 0xd2511f53
	v_cmp_ne_u32_e64 s[0:1], 1, v1
	s_mov_b32 s66, 0xf1bbcdc8
	v_mov_b32_e32 v1, 0x3ff00000
                                        ; implicit-def: $sgpr28_sgpr29
                                        ; implicit-def: $sgpr30_sgpr31
                                        ; implicit-def: $sgpr34_sgpr35
                                        ; implicit-def: $sgpr20_sgpr21
                                        ; implicit-def: $sgpr36_sgpr37
                                        ; implicit-def: $sgpr38_sgpr39
                                        ; implicit-def: $sgpr40_sgpr41
                                        ; implicit-def: $sgpr42_sgpr43
	s_branch .LBB68_3
.LBB68_2:                               ;   in Loop: Header=BB68_3 Depth=1
	s_or_b64 exec, exec, s[4:5]
	s_and_b64 s[2:3], exec, s[2:3]
	s_or_b64 s[26:27], s[2:3], s[26:27]
	s_andn2_b64 s[2:3], s[20:21], exec
	s_and_b64 s[4:5], s[42:43], exec
	s_or_b64 s[20:21], s[2:3], s[4:5]
	s_andn2_b64 s[2:3], s[34:35], exec
	s_and_b64 s[4:5], s[40:41], exec
	;; [unrolled: 3-line block ×4, first 2 shown]
	s_or_b64 s[28:29], s[2:3], s[4:5]
	s_andn2_b64 exec, exec, s[26:27]
	s_cbranch_execz .LBB68_61
.LBB68_3:                               ; =>This Loop Header: Depth=1
                                        ;     Child Loop BB68_6 Depth 2
                                        ;     Child Loop BB68_11 Depth 2
	;; [unrolled: 1-line block ×4, first 2 shown]
	v_sub_u32_e32 v26, s33, v24
	v_cmp_lt_i32_e64 s[2:3], 0, v26
	s_waitcnt vmcnt(0)
	v_mov_b32_e32 v2, 0
	s_and_saveexec_b64 s[4:5], s[2:3]
	s_cbranch_execz .LBB68_8
; %bb.4:                                ;   in Loop: Header=BB68_3 Depth=1
	s_and_b64 vcc, exec, s[0:1]
	v_mov_b32_e32 v6, 0
	v_mov_b32_e32 v2, v24
	s_cbranch_vccnz .LBB68_7
; %bb.5:                                ;   in Loop: Header=BB68_3 Depth=1
	v_mov_b32_e32 v6, 0
	s_mov_b64 s[6:7], s[24:25]
	s_mov_b32 s8, s64
	v_mov_b32_e32 v2, v24
.LBB68_6:                               ;   Parent Loop BB68_3 Depth=1
                                        ; =>  This Inner Loop Header: Depth=2
	s_load_dword s9, s[6:7], 0x0
	s_load_dword s44, s[6:7], 0x64
	v_mov_b32_e32 v7, v2
	s_add_i32 s8, s8, -1
	s_waitcnt lgkmcnt(0)
	v_cvt_f32_u32_e32 v2, s9
	s_sub_i32 s45, 0, s9
	s_add_u32 s6, s6, -4
	s_addc_u32 s7, s7, -1
	v_rcp_iflag_f32_e32 v2, v2
	s_cmp_gt_u32 s8, 2
	v_mul_f32_e32 v2, 0x4f7ffffe, v2
	v_cvt_u32_f32_e32 v2, v2
	v_mul_lo_u32 v8, s45, v2
	v_mul_hi_u32 v8, v2, v8
	v_add_u32_e32 v2, v2, v8
	v_mul_hi_u32 v2, v7, v2
	v_mul_lo_u32 v8, v2, s9
	v_sub_u32_e32 v8, v7, v8
	v_add_u32_e32 v9, 1, v2
	v_cmp_le_u32_e32 vcc, s9, v8
	v_cndmask_b32_e32 v2, v2, v9, vcc
	v_subrev_u32_e32 v9, s9, v8
	v_cndmask_b32_e32 v8, v8, v9, vcc
	v_add_u32_e32 v9, 1, v2
	v_cmp_le_u32_e32 vcc, s9, v8
	v_cndmask_b32_e32 v2, v2, v9, vcc
	v_mul_lo_u32 v8, v2, s9
	v_sub_u32_e32 v7, v7, v8
	v_mad_u64_u32 v[6:7], s[44:45], s44, v7, v[6:7]
	s_cbranch_scc1 .LBB68_6
.LBB68_7:                               ;   in Loop: Header=BB68_3 Depth=1
	s_waitcnt lgkmcnt(0)
	v_mad_u64_u32 v[6:7], s[6:7], s61, v2, v[6:7]
	v_mov_b32_e32 v2, v6
.LBB68_8:                               ;   in Loop: Header=BB68_3 Depth=1
	s_or_b64 exec, exec, s[4:5]
	v_cmp_lt_i32_e64 s[4:5], 1, v26
	v_pk_mov_b32 v[6:7], 0, 0
	s_and_saveexec_b64 s[6:7], s[4:5]
	s_cbranch_execz .LBB68_13
; %bb.9:                                ;   in Loop: Header=BB68_3 Depth=1
	v_or_b32_e32 v8, 1, v24
	s_and_b64 vcc, exec, s[0:1]
	v_mov_b32_e32 v6, 0
	s_cbranch_vccnz .LBB68_12
; %bb.10:                               ;   in Loop: Header=BB68_3 Depth=1
	v_mov_b32_e32 v6, 0
	s_mov_b64 s[8:9], s[24:25]
	s_mov_b32 s44, s64
.LBB68_11:                              ;   Parent Loop BB68_3 Depth=1
                                        ; =>  This Inner Loop Header: Depth=2
	s_load_dword s45, s[8:9], 0x0
	s_load_dword s46, s[8:9], 0x64
	v_mov_b32_e32 v7, v8
	s_add_i32 s44, s44, -1
	s_waitcnt lgkmcnt(0)
	v_cvt_f32_u32_e32 v8, s45
	s_sub_i32 s47, 0, s45
	s_add_u32 s8, s8, -4
	s_addc_u32 s9, s9, -1
	v_rcp_iflag_f32_e32 v8, v8
	s_cmp_gt_u32 s44, 2
	v_mul_f32_e32 v8, 0x4f7ffffe, v8
	v_cvt_u32_f32_e32 v8, v8
	v_mul_lo_u32 v9, s47, v8
	v_mul_hi_u32 v9, v8, v9
	v_add_u32_e32 v8, v8, v9
	v_mul_hi_u32 v8, v7, v8
	v_mul_lo_u32 v9, v8, s45
	v_sub_u32_e32 v9, v7, v9
	v_add_u32_e32 v10, 1, v8
	v_cmp_le_u32_e32 vcc, s45, v9
	v_cndmask_b32_e32 v8, v8, v10, vcc
	v_subrev_u32_e32 v10, s45, v9
	v_cndmask_b32_e32 v9, v9, v10, vcc
	v_add_u32_e32 v10, 1, v8
	v_cmp_le_u32_e32 vcc, s45, v9
	v_cndmask_b32_e32 v8, v8, v10, vcc
	v_mul_lo_u32 v9, v8, s45
	v_sub_u32_e32 v7, v7, v9
	v_mad_u64_u32 v[6:7], s[46:47], s46, v7, v[6:7]
	s_cbranch_scc1 .LBB68_11
.LBB68_12:                              ;   in Loop: Header=BB68_3 Depth=1
	s_waitcnt lgkmcnt(0)
	v_mad_u64_u32 v[6:7], s[8:9], s61, v8, v[6:7]
	v_mov_b32_e32 v7, v3
.LBB68_13:                              ;   in Loop: Header=BB68_3 Depth=1
	s_or_b64 exec, exec, s[6:7]
	v_cmp_lt_i32_e64 s[6:7], 2, v26
	v_pk_mov_b32 v[10:11], 0, 0
	s_and_saveexec_b64 s[8:9], s[6:7]
	s_cbranch_execz .LBB68_18
; %bb.14:                               ;   in Loop: Header=BB68_3 Depth=1
	v_or_b32_e32 v10, 2, v24
	s_and_b64 vcc, exec, s[0:1]
	v_mov_b32_e32 v8, 0
	s_cbranch_vccnz .LBB68_17
; %bb.15:                               ;   in Loop: Header=BB68_3 Depth=1
	v_mov_b32_e32 v8, 0
	s_mov_b64 s[44:45], s[24:25]
	s_mov_b32 s46, s64
.LBB68_16:                              ;   Parent Loop BB68_3 Depth=1
                                        ; =>  This Inner Loop Header: Depth=2
	s_load_dword s47, s[44:45], 0x0
	s_load_dword s48, s[44:45], 0x64
	v_mov_b32_e32 v9, v10
	s_add_i32 s46, s46, -1
	s_waitcnt lgkmcnt(0)
	v_cvt_f32_u32_e32 v10, s47
	s_sub_i32 s49, 0, s47
	s_add_u32 s44, s44, -4
	s_addc_u32 s45, s45, -1
	v_rcp_iflag_f32_e32 v10, v10
	s_cmp_gt_u32 s46, 2
	v_mul_f32_e32 v10, 0x4f7ffffe, v10
	v_cvt_u32_f32_e32 v10, v10
	v_mul_lo_u32 v11, s49, v10
	v_mul_hi_u32 v11, v10, v11
	v_add_u32_e32 v10, v10, v11
	v_mul_hi_u32 v10, v9, v10
	v_mul_lo_u32 v11, v10, s47
	v_sub_u32_e32 v11, v9, v11
	v_add_u32_e32 v12, 1, v10
	v_cmp_le_u32_e32 vcc, s47, v11
	v_cndmask_b32_e32 v10, v10, v12, vcc
	v_subrev_u32_e32 v12, s47, v11
	v_cndmask_b32_e32 v11, v11, v12, vcc
	v_add_u32_e32 v12, 1, v10
	v_cmp_le_u32_e32 vcc, s47, v11
	v_cndmask_b32_e32 v10, v10, v12, vcc
	v_mul_lo_u32 v11, v10, s47
	v_sub_u32_e32 v9, v9, v11
	v_mad_u64_u32 v[8:9], s[48:49], s48, v9, v[8:9]
	s_cbranch_scc1 .LBB68_16
.LBB68_17:                              ;   in Loop: Header=BB68_3 Depth=1
	s_waitcnt lgkmcnt(0)
	v_mad_u64_u32 v[10:11], s[44:45], s61, v10, v[8:9]
	v_mov_b32_e32 v11, v3
.LBB68_18:                              ;   in Loop: Header=BB68_3 Depth=1
	s_or_b64 exec, exec, s[8:9]
	v_mul_lo_u32 v25, v24, s60
	v_add_u32_e32 v27, s60, v25
	v_pk_mov_b32 v[12:13], 0, 0
	v_add_u32_e32 v29, s60, v27
	v_cmp_lt_i32_e32 vcc, 3, v26
	v_pk_mov_b32 v[8:9], v[12:13], v[12:13] op_sel:[0,1]
	s_and_saveexec_b64 s[8:9], vcc
	s_cbranch_execz .LBB68_23
; %bb.19:                               ;   in Loop: Header=BB68_3 Depth=1
	v_or_b32_e32 v14, 3, v24
	s_and_b64 vcc, exec, s[0:1]
	v_mov_b32_e32 v12, 0
	s_cbranch_vccnz .LBB68_22
; %bb.20:                               ;   in Loop: Header=BB68_3 Depth=1
	v_mov_b32_e32 v12, 0
	s_mov_b64 s[44:45], s[24:25]
	s_mov_b32 s46, s64
.LBB68_21:                              ;   Parent Loop BB68_3 Depth=1
                                        ; =>  This Inner Loop Header: Depth=2
	s_load_dword s47, s[44:45], 0x0
	s_load_dword s48, s[44:45], 0x64
	v_mov_b32_e32 v8, v14
	s_add_i32 s46, s46, -1
	s_waitcnt lgkmcnt(0)
	v_cvt_f32_u32_e32 v9, s47
	s_sub_i32 s49, 0, s47
	s_add_u32 s44, s44, -4
	s_addc_u32 s45, s45, -1
	v_rcp_iflag_f32_e32 v9, v9
	s_cmp_gt_u32 s46, 2
	v_mul_f32_e32 v9, 0x4f7ffffe, v9
	v_cvt_u32_f32_e32 v9, v9
	v_mul_lo_u32 v13, s49, v9
	v_mul_hi_u32 v13, v9, v13
	v_add_u32_e32 v9, v9, v13
	v_mul_hi_u32 v9, v8, v9
	v_mul_lo_u32 v13, v9, s47
	v_sub_u32_e32 v13, v8, v13
	v_add_u32_e32 v14, 1, v9
	v_cmp_le_u32_e32 vcc, s47, v13
	v_cndmask_b32_e32 v9, v9, v14, vcc
	v_subrev_u32_e32 v14, s47, v13
	v_cndmask_b32_e32 v13, v13, v14, vcc
	v_add_u32_e32 v14, 1, v9
	v_cmp_le_u32_e32 vcc, s47, v13
	v_cndmask_b32_e32 v14, v9, v14, vcc
	v_mul_lo_u32 v9, v14, s47
	v_sub_u32_e32 v8, v8, v9
	v_mad_u64_u32 v[12:13], s[48:49], s48, v8, v[12:13]
	s_cbranch_scc1 .LBB68_21
.LBB68_22:                              ;   in Loop: Header=BB68_3 Depth=1
	s_waitcnt lgkmcnt(0)
	v_mad_u64_u32 v[12:13], s[44:45], s61, v14, v[12:13]
	v_add_u32_e32 v8, s60, v29
	v_mov_b32_e32 v9, v3
	v_mov_b32_e32 v13, v3
.LBB68_23:                              ;   in Loop: Header=BB68_3 Depth=1
	s_or_b64 exec, exec, s[8:9]
	v_lshlrev_b64 v[14:15], 2, v[2:3]
	s_waitcnt lgkmcnt(0)
	v_mov_b32_e32 v2, s19
	v_add_co_u32_e32 v14, vcc, s18, v14
	v_addc_co_u32_e32 v15, vcc, v2, v15, vcc
	v_lshlrev_b64 v[6:7], 2, v[6:7]
	v_add_co_u32_e32 v6, vcc, s18, v6
	v_addc_co_u32_e32 v7, vcc, v2, v7, vcc
	v_lshlrev_b64 v[10:11], 2, v[10:11]
	;; [unrolled: 3-line block ×3, first 2 shown]
	v_add_co_u32_e32 v12, vcc, s18, v12
	v_addc_co_u32_e32 v13, vcc, v2, v13, vcc
	global_load_dword v28, v[14:15], off
	global_load_dword v30, v[6:7], off
	;; [unrolled: 1-line block ×4, first 2 shown]
	s_andn2_b64 vcc, exec, s[22:23]
	v_pk_mov_b32 v[6:7], s[14:15], s[14:15] op_sel:[0,1]
	v_pk_mov_b32 v[10:11], s[12:13], s[12:13] op_sel:[0,1]
	s_cbranch_vccnz .LBB68_25
; %bb.24:                               ;   in Loop: Header=BB68_3 Depth=1
	v_pk_mov_b32 v[6:7], s[14:15], s[14:15] op_sel:[0,1]
	flat_load_dwordx2 v[6:7], v[6:7]
	v_pk_mov_b32 v[10:11], s[12:13], s[12:13] op_sel:[0,1]
	flat_load_dwordx2 v[10:11], v[10:11]
	v_mov_b32_e32 v12, s17
	s_waitcnt vmcnt(0) lgkmcnt(0)
	v_add_co_u32_e32 v6, vcc, s16, v6
	v_addc_co_u32_e32 v7, vcc, v7, v12, vcc
.LBB68_25:                              ;   in Loop: Header=BB68_3 Depth=1
	v_alignbit_b32 v20, v7, v6, 2
	v_lshrrev_b32_e32 v21, 2, v7
	v_xor_b32_e32 v12, v4, v10
	v_and_b32_e32 v32, 3, v6
	v_mad_u64_u32 v[6:7], s[8:9], v20, s65, 0
	v_xor_b32_e32 v12, v12, v21
	v_xor_b32_e32 v7, v7, v11
	v_add_u32_e32 v37, 0xbb67ae85, v11
	v_mad_u64_u32 v[12:13], s[8:9], v12, s65, 0
	v_mad_u64_u32 v[14:15], s[8:9], v7, s62, 0
	v_xor_b32_e32 v13, v37, v13
	v_add_u32_e32 v36, 0x9e3779b9, v10
	v_xor_b32_e32 v7, v0, v15
	v_xor_b32_e32 v13, v13, v6
	v_xor_b32_e32 v7, v7, v36
	v_add_u32_e32 v38, 0x3c6ef372, v10
	v_mad_u64_u32 v[16:17], s[8:9], v13, s62, 0
	v_add_u32_e32 v39, 0x76cf5d0a, v11
	v_mad_u64_u32 v[6:7], s[8:9], v7, s65, 0
	v_xor_b32_e32 v13, v38, v17
	v_xor_b32_e32 v13, v13, v14
	v_xor_b32_e32 v7, v39, v7
	v_xor_b32_e32 v7, v7, v12
	v_add_u32_e32 v41, 0x32370b8f, v11
	v_mad_u64_u32 v[12:13], s[8:9], v13, s65, 0
	v_add_u32_e32 v40, 0xdaa66d2b, v10
	v_mad_u64_u32 v[14:15], s[8:9], v7, s62, 0
	v_xor_b32_e32 v13, v41, v13
	;; [unrolled: 8-line block ×5, first 2 shown]
	v_xor_b32_e32 v13, v13, v14
	v_xor_b32_e32 v7, v47, v7
	;; [unrolled: 1-line block ×3, first 2 shown]
	v_add_u32_e32 v49, 0x1fd5c5a3, v11
	v_mad_u64_u32 v[12:13], s[8:9], v13, s65, 0
	v_xor_b32_e32 v13, v49, v13
	v_xor_b32_e32 v6, v13, v6
	v_add_u32_e32 v48, 0x5384540f, v10
	v_mad_u64_u32 v[18:19], s[8:9], v7, s62, 0
	v_add_co_u32_e32 v34, vcc, s66, v10
	v_mad_u64_u32 v[14:15], s[8:9], v6, s62, 0
	v_xor_b32_e32 v7, v48, v19
	v_xor_b32_e32 v6, v34, v15
	;; [unrolled: 1-line block ×4, first 2 shown]
	v_mad_u64_u32 v[16:17], s[8:9], v7, s65, 0
	v_mad_u64_u32 v[6:7], s[8:9], v6, s65, 0
	v_add_u32_e32 v35, 0x96a522ad, v11
	v_xor_b32_e32 v7, v7, v16
	v_xor_b32_e32 v33, v35, v7
	v_add_co_u32_e32 v7, vcc, 1, v20
	v_cndmask_b32_e64 v16, 0, 1, vcc
	v_addc_co_u32_e32 v22, vcc, 0, v21, vcc
	v_cmp_eq_u32_e32 vcc, 0, v22
	v_cndmask_b32_e32 v16, 0, v16, vcc
	v_add_u32_e32 v20, v16, v5
	v_cmp_eq_u32_e32 vcc, 0, v20
	v_mad_u64_u32 v[18:19], s[8:9], v7, s65, 0
	v_mad_u64_u32 v[20:21], s[8:9], v20, s62, 0
	v_add_u32_e32 v15, 0x8ff34781, v10
	v_cndmask_b32_e32 v16, 0, v16, vcc
	v_xor_b32_e32 v7, v21, v10
	v_xor_b32_e32 v10, v19, v11
	;; [unrolled: 1-line block ×4, first 2 shown]
	v_mad_u64_u32 v[22:23], s[8:9], v16, s62, 0
	v_add_u32_e32 v13, 0xdb3d7428, v11
	v_mad_u64_u32 v[10:11], s[8:9], v7, s65, 0
	v_xor_b32_e32 v7, v36, v23
	v_xor_b32_e32 v7, v7, v20
	v_xor_b32_e32 v11, v37, v11
	v_xor_b32_e32 v11, v11, v18
	v_mad_u64_u32 v[18:19], s[8:9], v7, s65, 0
	v_mad_u64_u32 v[20:21], s[8:9], v11, s62, 0
	v_xor_b32_e32 v11, v39, v19
	v_xor_b32_e32 v7, v38, v21
	v_xor_b32_e32 v16, v11, v10
	v_xor_b32_e32 v7, v7, v22
	v_mad_u64_u32 v[22:23], s[8:9], v16, s62, 0
	;; [unrolled: 6-line block ×7, first 2 shown]
	v_xor_b32_e32 v7, v13, v21
	v_xor_b32_e32 v7, v7, v10
	v_mad_u64_u32 v[22:23], s[8:9], v11, s62, 0
	v_mad_u64_u32 v[10:11], s[8:9], v7, s62, 0
	v_xor_b32_e32 v7, v11, v22
	v_xor_b32_e32 v7, v15, v7
	v_cmp_lt_i32_e32 vcc, 1, v32
                                        ; implicit-def: $vgpr19
	s_and_saveexec_b64 s[8:9], vcc
	s_xor_b64 s[8:9], exec, s[8:9]
	s_cbranch_execz .LBB68_31
; %bb.26:                               ;   in Loop: Header=BB68_3 Depth=1
	v_cmp_lt_i32_e32 vcc, 2, v32
                                        ; implicit-def: $vgpr19
	s_and_saveexec_b64 s[44:45], vcc
	s_xor_b64 s[44:45], exec, s[44:45]
; %bb.27:                               ;   in Loop: Header=BB68_3 Depth=1
	v_xor_b32_e32 v11, v34, v23
	v_xor_b32_e32 v11, v11, v18
	v_mul_hi_u32 v11, v11, s65
	v_xor_b32_e32 v11, v11, v20
	v_xor_b32_e32 v19, v35, v11
                                        ; implicit-def: $vgpr33
; %bb.28:                               ;   in Loop: Header=BB68_3 Depth=1
	s_andn2_saveexec_b64 s[44:45], s[44:45]
; %bb.29:                               ;   in Loop: Header=BB68_3 Depth=1
	v_mov_b32_e32 v19, v10
	v_mov_b32_e32 v10, v7
	;; [unrolled: 1-line block ×4, first 2 shown]
; %bb.30:                               ;   in Loop: Header=BB68_3 Depth=1
	s_or_b64 exec, exec, s[44:45]
                                        ; implicit-def: $vgpr12_vgpr13
                                        ; implicit-def: $vgpr14_vgpr15
                                        ; implicit-def: $vgpr32
                                        ; implicit-def: $vgpr33
                                        ; implicit-def: $vgpr16_vgpr17
                                        ; implicit-def: $vgpr13
                                        ; implicit-def: $vgpr15
.LBB68_31:                              ;   in Loop: Header=BB68_3 Depth=1
	s_andn2_saveexec_b64 s[8:9], s[8:9]
	s_cbranch_execz .LBB68_35
; %bb.32:                               ;   in Loop: Header=BB68_3 Depth=1
	v_xor_b32_e32 v10, v13, v17
	v_xor_b32_e32 v10, v10, v12
	v_mad_u64_u32 v[12:13], s[44:45], v10, s62, 0
	v_xor_b32_e32 v10, v13, v14
	v_xor_b32_e32 v11, v15, v10
	v_cmp_eq_u32_e32 vcc, 1, v32
	v_mov_b32_e32 v19, v6
	v_mov_b32_e32 v10, v33
	;; [unrolled: 1-line block ×3, first 2 shown]
	s_and_saveexec_b64 s[44:45], vcc
; %bb.33:                               ;   in Loop: Header=BB68_3 Depth=1
	v_mov_b32_e32 v19, v7
	v_mov_b32_e32 v10, v6
	;; [unrolled: 1-line block ×4, first 2 shown]
; %bb.34:                               ;   in Loop: Header=BB68_3 Depth=1
	s_or_b64 exec, exec, s[44:45]
	v_mov_b32_e32 v6, v11
	v_mov_b32_e32 v7, v13
.LBB68_35:                              ;   in Loop: Header=BB68_3 Depth=1
	s_or_b64 exec, exec, s[8:9]
	v_min_i32_e32 v11, 4, v26
	v_cmp_lt_i32_e32 vcc, 2, v11
	s_mov_b64 s[44:45], 0
	s_mov_b64 s[54:55], 0
	;; [unrolled: 1-line block ×3, first 2 shown]
                                        ; implicit-def: $sgpr46_sgpr47
                                        ; implicit-def: $sgpr48_sgpr49
                                        ; implicit-def: $sgpr50_sgpr51
	s_and_saveexec_b64 s[52:53], vcc
	s_xor_b64 s[52:53], exec, s[52:53]
	s_cbranch_execz .LBB68_47
; %bb.36:                               ;   in Loop: Header=BB68_3 Depth=1
	v_cmp_lt_i32_e32 vcc, 3, v11
	s_mov_b64 s[8:9], -1
	s_mov_b64 s[58:59], 0
                                        ; implicit-def: $sgpr46_sgpr47
                                        ; implicit-def: $sgpr56_sgpr57
	s_and_saveexec_b64 s[48:49], vcc
	s_cbranch_execz .LBB68_42
; %bb.37:                               ;   in Loop: Header=BB68_3 Depth=1
	v_cmp_eq_u32_e32 vcc, 4, v11
	s_mov_b64 s[8:9], 0
	s_mov_b64 s[58:59], -1
                                        ; implicit-def: $sgpr46_sgpr47
                                        ; implicit-def: $sgpr56_sgpr57
	s_and_saveexec_b64 s[50:51], vcc
	s_cbranch_execz .LBB68_41
; %bb.38:                               ;   in Loop: Header=BB68_3 Depth=1
	s_waitcnt vmcnt(0)
	v_cmp_le_f32_e32 vcc, 0, v2
	v_cmp_ge_f32_e64 s[8:9], 1.0, v2
	s_and_b64 s[58:59], vcc, s[8:9]
	s_mov_b64 s[46:47], 0
	s_mov_b64 s[8:9], 0
	s_and_saveexec_b64 s[56:57], s[58:59]
	s_cbranch_execz .LBB68_40
; %bb.39:                               ;   in Loop: Header=BB68_3 Depth=1
	v_cvt_f32_u32_e32 v12, v19
	v_mov_b32_e32 v13, 0x2f800000
	v_lshlrev_b64 v[8:9], 3, v[8:9]
	v_add_co_u32_e32 v8, vcc, s10, v8
	v_fmac_f32_e32 v13, 0x2f800000, v12
	v_mov_b32_e32 v12, s11
	v_addc_co_u32_e32 v9, vcc, v12, v9, vcc
	v_cmp_le_f32_e32 vcc, v13, v2
	s_mov_b64 s[8:9], exec
	v_cndmask_b32_e32 v13, 0, v1, vcc
	v_mov_b32_e32 v12, v3
	global_store_dwordx2 v[8:9], v[12:13], off
.LBB68_40:                              ;   in Loop: Header=BB68_3 Depth=1
	s_or_b64 exec, exec, s[56:57]
	s_mov_b64 s[56:57], -1
	s_xor_b64 s[58:59], exec, -1
	s_and_b64 s[8:9], s[8:9], exec
.LBB68_41:                              ;   in Loop: Header=BB68_3 Depth=1
	s_or_b64 exec, exec, s[50:51]
	s_and_b64 s[58:59], s[58:59], exec
	s_orn2_b64 s[8:9], s[8:9], exec
.LBB68_42:                              ;   in Loop: Header=BB68_3 Depth=1
	s_or_b64 exec, exec, s[48:49]
	s_mov_b64 s[50:51], s[46:47]
	s_and_saveexec_b64 s[48:49], s[8:9]
	s_cbranch_execz .LBB68_46
; %bb.43:                               ;   in Loop: Header=BB68_3 Depth=1
	s_waitcnt vmcnt(1)
	v_cmp_le_f32_e32 vcc, 0, v31
	v_cmp_ge_f32_e64 s[8:9], 1.0, v31
	s_and_b64 s[50:51], vcc, s[8:9]
	s_mov_b64 s[8:9], 0
	s_and_saveexec_b64 s[54:55], s[50:51]
	s_xor_b64 s[50:51], exec, s[54:55]
	s_cbranch_execz .LBB68_45
; %bb.44:                               ;   in Loop: Header=BB68_3 Depth=1
	v_cvt_f32_u32_e32 v8, v10
	v_mov_b32_e32 v10, 0x2f800000
	s_waitcnt vmcnt(0)
	v_cndmask_b32_e64 v2, 0, v29, s[6:7]
	v_mov_b32_e32 v12, v3
	v_fmac_f32_e32 v10, 0x2f800000, v8
	v_lshlrev_b64 v[8:9], 3, v[2:3]
	v_mov_b32_e32 v2, s11
	v_add_co_u32_e32 v8, vcc, s10, v8
	v_addc_co_u32_e32 v9, vcc, v2, v9, vcc
	v_cmp_le_f32_e32 vcc, v10, v31
	v_cndmask_b32_e32 v13, 0, v1, vcc
	s_mov_b64 s[8:9], exec
	global_store_dwordx2 v[8:9], v[12:13], off
.LBB68_45:                              ;   in Loop: Header=BB68_3 Depth=1
	s_or_b64 exec, exec, s[50:51]
	s_andn2_b64 s[50:51], s[46:47], exec
	s_or_b64 s[46:47], s[46:47], exec
	s_andn2_b64 s[56:57], s[56:57], exec
	s_and_b64 s[54:55], s[8:9], exec
.LBB68_46:                              ;   in Loop: Header=BB68_3 Depth=1
	s_or_b64 exec, exec, s[48:49]
	s_and_b64 s[50:51], s[50:51], exec
	s_and_b64 s[48:49], s[46:47], exec
	;; [unrolled: 1-line block ×5, first 2 shown]
.LBB68_47:                              ;   in Loop: Header=BB68_3 Depth=1
	s_andn2_saveexec_b64 s[6:7], s[52:53]
; %bb.48:                               ;   in Loop: Header=BB68_3 Depth=1
	v_cmp_lt_i32_e32 vcc, 1, v11
	s_andn2_b64 s[52:53], s[54:55], exec
	s_and_b64 s[54:55], vcc, exec
	s_mov_b64 s[44:45], exec
	s_andn2_b64 s[50:51], s[50:51], exec
	s_andn2_b64 s[48:49], s[48:49], exec
	;; [unrolled: 1-line block ×3, first 2 shown]
	s_or_b64 s[54:55], s[52:53], s[54:55]
; %bb.49:                               ;   in Loop: Header=BB68_3 Depth=1
	s_or_b64 exec, exec, s[6:7]
	s_mov_b64 s[52:53], 0
	s_mov_b64 s[6:7], s[50:51]
	s_and_saveexec_b64 s[56:57], s[54:55]
	s_cbranch_execnz .LBB68_52
; %bb.50:                               ;   in Loop: Header=BB68_3 Depth=1
	s_or_b64 exec, exec, s[56:57]
	s_and_saveexec_b64 s[4:5], s[44:45]
	s_cbranch_execnz .LBB68_55
.LBB68_51:                              ;   in Loop: Header=BB68_3 Depth=1
	s_or_b64 exec, exec, s[4:5]
	s_and_saveexec_b64 s[44:45], s[52:53]
	s_cbranch_execnz .LBB68_56
	s_branch .LBB68_59
.LBB68_52:                              ;   in Loop: Header=BB68_3 Depth=1
	s_waitcnt vmcnt(2)
	v_cmp_le_f32_e32 vcc, 0, v30
	v_cmp_ge_f32_e64 s[6:7], 1.0, v30
	s_and_b64 s[6:7], vcc, s[6:7]
	s_and_saveexec_b64 s[54:55], s[6:7]
	s_xor_b64 s[6:7], exec, s[54:55]
	s_cbranch_execz .LBB68_54
; %bb.53:                               ;   in Loop: Header=BB68_3 Depth=1
	v_cvt_f32_u32_e32 v7, v7
	s_waitcnt vmcnt(0)
	v_cndmask_b32_e64 v2, 0, v27, s[4:5]
	v_lshlrev_b64 v[8:9], 3, v[2:3]
	v_mov_b32_e32 v10, 0x2f800000
	v_mov_b32_e32 v2, s11
	v_add_co_u32_e32 v8, vcc, s10, v8
	v_fmac_f32_e32 v10, 0x2f800000, v7
	v_addc_co_u32_e32 v9, vcc, v2, v9, vcc
	v_cmp_le_f32_e32 vcc, v10, v30
	v_cndmask_b32_e32 v13, 0, v1, vcc
	v_mov_b32_e32 v12, v3
	s_mov_b64 s[52:53], exec
	global_store_dwordx2 v[8:9], v[12:13], off
.LBB68_54:                              ;   in Loop: Header=BB68_3 Depth=1
	s_or_b64 exec, exec, s[6:7]
	s_andn2_b64 s[6:7], s[50:51], exec
	s_or_b64 s[50:51], s[50:51], exec
	s_andn2_b64 s[48:49], s[48:49], exec
	s_andn2_b64 s[46:47], s[46:47], exec
	s_and_b64 s[52:53], s[52:53], exec
	s_andn2_b64 s[44:45], s[44:45], exec
	s_or_b64 exec, exec, s[56:57]
	s_and_saveexec_b64 s[4:5], s[44:45]
	s_cbranch_execz .LBB68_51
.LBB68_55:                              ;   in Loop: Header=BB68_3 Depth=1
	v_cmp_eq_u32_e32 vcc, 1, v11
	s_andn2_b64 s[44:45], s[52:53], exec
	s_and_b64 s[52:53], vcc, exec
	s_andn2_b64 s[6:7], s[6:7], exec
	s_andn2_b64 s[50:51], s[50:51], exec
	;; [unrolled: 1-line block ×4, first 2 shown]
	s_or_b64 s[8:9], s[8:9], exec
	s_or_b64 s[52:53], s[44:45], s[52:53]
	s_or_b64 exec, exec, s[4:5]
	s_and_saveexec_b64 s[44:45], s[52:53]
	s_cbranch_execz .LBB68_59
.LBB68_56:                              ;   in Loop: Header=BB68_3 Depth=1
	s_waitcnt vmcnt(3)
	v_cmp_le_f32_e32 vcc, 0, v28
	v_cmp_ge_f32_e64 s[4:5], 1.0, v28
	s_and_b64 s[54:55], vcc, s[4:5]
	s_mov_b64 s[4:5], 0
	s_and_saveexec_b64 s[52:53], s[54:55]
	s_cbranch_execz .LBB68_58
; %bb.57:                               ;   in Loop: Header=BB68_3 Depth=1
	v_cvt_f32_u32_e32 v6, v6
	v_mov_b32_e32 v8, 0x2f800000
	s_waitcnt vmcnt(0)
	v_cndmask_b32_e64 v2, 0, v25, s[2:3]
	s_mov_b64 s[4:5], exec
	v_fmac_f32_e32 v8, 0x2f800000, v6
	v_lshlrev_b64 v[6:7], 3, v[2:3]
	v_mov_b32_e32 v2, s11
	v_add_co_u32_e32 v6, vcc, s10, v6
	v_addc_co_u32_e32 v7, vcc, v2, v7, vcc
	v_cmp_le_f32_e32 vcc, v8, v28
	v_cndmask_b32_e32 v9, 0, v1, vcc
	v_mov_b32_e32 v8, v3
	global_store_dwordx2 v[6:7], v[8:9], off
.LBB68_58:                              ;   in Loop: Header=BB68_3 Depth=1
	s_or_b64 exec, exec, s[52:53]
	s_andn2_b64 s[2:3], s[8:9], exec
	s_and_b64 s[4:5], s[4:5], exec
	s_or_b64 s[6:7], s[6:7], exec
	s_andn2_b64 s[50:51], s[50:51], exec
	s_andn2_b64 s[48:49], s[48:49], exec
	s_andn2_b64 s[46:47], s[46:47], exec
	s_or_b64 s[8:9], s[2:3], s[4:5]
.LBB68_59:                              ;   in Loop: Header=BB68_3 Depth=1
	s_or_b64 exec, exec, s[44:45]
	s_andn2_b64 s[4:5], s[42:43], exec
	s_and_b64 s[6:7], s[6:7], exec
	s_or_b64 s[42:43], s[4:5], s[6:7]
	s_andn2_b64 s[4:5], s[40:41], exec
	s_and_b64 s[6:7], s[50:51], exec
	s_or_b64 s[40:41], s[4:5], s[6:7]
	;; [unrolled: 3-line block ×3, first 2 shown]
	s_andn2_b64 s[4:5], s[36:37], exec
	s_and_b64 s[6:7], s[46:47], exec
	s_mov_b64 s[2:3], -1
	s_or_b64 s[36:37], s[4:5], s[6:7]
	s_and_saveexec_b64 s[4:5], s[8:9]
	s_cbranch_execz .LBB68_2
; %bb.60:                               ;   in Loop: Header=BB68_3 Depth=1
	v_add_u32_e32 v24, s63, v24
	v_cmp_le_u32_e32 vcc, s33, v24
	s_andn2_b64 s[42:43], s[42:43], exec
	s_andn2_b64 s[40:41], s[40:41], exec
	;; [unrolled: 1-line block ×4, first 2 shown]
	s_orn2_b64 s[2:3], vcc, exec
	s_branch .LBB68_2
.LBB68_61:
	s_or_b64 exec, exec, s[26:27]
	s_xor_b64 s[6:7], s[34:35], -1
	s_xor_b64 s[8:9], s[30:31], -1
	;; [unrolled: 1-line block ×3, first 2 shown]
	s_mov_b64 s[2:3], 0
	s_and_saveexec_b64 s[4:5], s[0:1]
	s_xor_b64 s[0:1], exec, s[4:5]
	s_cbranch_execnz .LBB68_66
; %bb.62:
	s_andn2_saveexec_b64 s[0:1], s[0:1]
	s_cbranch_execnz .LBB68_74
.LBB68_63:
	s_or_b64 exec, exec, s[0:1]
	s_and_b64 exec, exec, s[2:3]
.LBB68_64:
	; divergent unreachable
.LBB68_65:
	s_endpgm
.LBB68_66:
	s_mov_b64 s[4:5], 0
	s_and_saveexec_b64 s[2:3], s[8:9]
	s_xor_b64 s[2:3], exec, s[2:3]
	s_cbranch_execz .LBB68_72
; %bb.67:
	s_and_saveexec_b64 s[8:9], s[6:7]
	s_xor_b64 s[6:7], exec, s[8:9]
	s_cbranch_execz .LBB68_70
; %bb.68:
	s_and_saveexec_b64 s[8:9], s[20:21]
	s_xor_b64 s[8:9], exec, s[8:9]
	s_cbranch_execnz .LBB68_77
.LBB68_69:
	s_or_b64 exec, exec, s[8:9]
	s_and_b64 s[4:5], s[4:5], exec
.LBB68_70:
	s_andn2_saveexec_b64 s[6:7], s[6:7]
	s_cbranch_execnz .LBB68_76
.LBB68_71:
	s_or_b64 exec, exec, s[6:7]
	s_and_b64 s[4:5], s[4:5], exec
.LBB68_72:
	s_andn2_saveexec_b64 s[2:3], s[2:3]
	s_cbranch_execnz .LBB68_75
.LBB68_73:
	s_or_b64 exec, exec, s[2:3]
	s_and_b64 s[2:3], s[4:5], exec
	s_andn2_saveexec_b64 s[0:1], s[0:1]
	s_cbranch_execz .LBB68_63
.LBB68_74:
	s_or_b64 s[2:3], s[2:3], exec
	s_trap 2
	s_or_b64 exec, exec, s[0:1]
	s_and_b64 exec, exec, s[2:3]
	s_cbranch_execnz .LBB68_64
	s_branch .LBB68_65
.LBB68_75:
	s_or_b64 s[4:5], s[4:5], exec
	s_trap 2
	s_branch .LBB68_73
.LBB68_76:
	s_trap 2
	s_or_b64 s[4:5], s[4:5], exec
	s_branch .LBB68_71
.LBB68_77:
	s_mov_b64 s[4:5], exec
	s_trap 2
	s_branch .LBB68_69
	.section	.rodata,"a",@progbits
	.p2align	6, 0x0
	.amdhsa_kernel _ZN2at4cuda12_GLOBAL__N_121kernelPointwiseApply2IZNS_6native9templates4cuda28bernoulli_tensor_cuda_kernelIdfEEvRKNS_10TensorBaseES9_NS_15PhiloxCudaStateEEUliRdSB_SB_SB_RKfSD_SD_SD_E_dSC_jLi1ELin1ELi4ELi512ELi2EEEvNS0_6detail10TensorInfoIT0_T2_EENSG_IT1_SI_EESI_T_
		.amdhsa_group_segment_fixed_size 0
		.amdhsa_private_segment_fixed_size 0
		.amdhsa_kernarg_size 728
		.amdhsa_user_sgpr_count 6
		.amdhsa_user_sgpr_private_segment_buffer 1
		.amdhsa_user_sgpr_dispatch_ptr 0
		.amdhsa_user_sgpr_queue_ptr 0
		.amdhsa_user_sgpr_kernarg_segment_ptr 1
		.amdhsa_user_sgpr_dispatch_id 0
		.amdhsa_user_sgpr_flat_scratch_init 0
		.amdhsa_user_sgpr_kernarg_preload_length 0
		.amdhsa_user_sgpr_kernarg_preload_offset 0
		.amdhsa_user_sgpr_private_segment_size 0
		.amdhsa_uses_dynamic_stack 0
		.amdhsa_system_sgpr_private_segment_wavefront_offset 0
		.amdhsa_system_sgpr_workgroup_id_x 1
		.amdhsa_system_sgpr_workgroup_id_y 0
		.amdhsa_system_sgpr_workgroup_id_z 0
		.amdhsa_system_sgpr_workgroup_info 0
		.amdhsa_system_vgpr_workitem_id 0
		.amdhsa_next_free_vgpr 50
		.amdhsa_next_free_sgpr 67
		.amdhsa_accum_offset 52
		.amdhsa_reserve_vcc 1
		.amdhsa_reserve_flat_scratch 0
		.amdhsa_float_round_mode_32 0
		.amdhsa_float_round_mode_16_64 0
		.amdhsa_float_denorm_mode_32 3
		.amdhsa_float_denorm_mode_16_64 3
		.amdhsa_dx10_clamp 1
		.amdhsa_ieee_mode 1
		.amdhsa_fp16_overflow 0
		.amdhsa_tg_split 0
		.amdhsa_exception_fp_ieee_invalid_op 0
		.amdhsa_exception_fp_denorm_src 0
		.amdhsa_exception_fp_ieee_div_zero 0
		.amdhsa_exception_fp_ieee_overflow 0
		.amdhsa_exception_fp_ieee_underflow 0
		.amdhsa_exception_fp_ieee_inexact 0
		.amdhsa_exception_int_div_zero 0
	.end_amdhsa_kernel
	.section	.text._ZN2at4cuda12_GLOBAL__N_121kernelPointwiseApply2IZNS_6native9templates4cuda28bernoulli_tensor_cuda_kernelIdfEEvRKNS_10TensorBaseES9_NS_15PhiloxCudaStateEEUliRdSB_SB_SB_RKfSD_SD_SD_E_dSC_jLi1ELin1ELi4ELi512ELi2EEEvNS0_6detail10TensorInfoIT0_T2_EENSG_IT1_SI_EESI_T_,"axG",@progbits,_ZN2at4cuda12_GLOBAL__N_121kernelPointwiseApply2IZNS_6native9templates4cuda28bernoulli_tensor_cuda_kernelIdfEEvRKNS_10TensorBaseES9_NS_15PhiloxCudaStateEEUliRdSB_SB_SB_RKfSD_SD_SD_E_dSC_jLi1ELin1ELi4ELi512ELi2EEEvNS0_6detail10TensorInfoIT0_T2_EENSG_IT1_SI_EESI_T_,comdat
.Lfunc_end68:
	.size	_ZN2at4cuda12_GLOBAL__N_121kernelPointwiseApply2IZNS_6native9templates4cuda28bernoulli_tensor_cuda_kernelIdfEEvRKNS_10TensorBaseES9_NS_15PhiloxCudaStateEEUliRdSB_SB_SB_RKfSD_SD_SD_E_dSC_jLi1ELin1ELi4ELi512ELi2EEEvNS0_6detail10TensorInfoIT0_T2_EENSG_IT1_SI_EESI_T_, .Lfunc_end68-_ZN2at4cuda12_GLOBAL__N_121kernelPointwiseApply2IZNS_6native9templates4cuda28bernoulli_tensor_cuda_kernelIdfEEvRKNS_10TensorBaseES9_NS_15PhiloxCudaStateEEUliRdSB_SB_SB_RKfSD_SD_SD_E_dSC_jLi1ELin1ELi4ELi512ELi2EEEvNS0_6detail10TensorInfoIT0_T2_EENSG_IT1_SI_EESI_T_
                                        ; -- End function
	.section	.AMDGPU.csdata,"",@progbits
; Kernel info:
; codeLenInByte = 3512
; NumSgprs: 71
; NumVgprs: 50
; NumAgprs: 0
; TotalNumVgprs: 50
; ScratchSize: 0
; MemoryBound: 0
; FloatMode: 240
; IeeeMode: 1
; LDSByteSize: 0 bytes/workgroup (compile time only)
; SGPRBlocks: 8
; VGPRBlocks: 6
; NumSGPRsForWavesPerEU: 71
; NumVGPRsForWavesPerEU: 50
; AccumOffset: 52
; Occupancy: 8
; WaveLimiterHint : 1
; COMPUTE_PGM_RSRC2:SCRATCH_EN: 0
; COMPUTE_PGM_RSRC2:USER_SGPR: 6
; COMPUTE_PGM_RSRC2:TRAP_HANDLER: 0
; COMPUTE_PGM_RSRC2:TGID_X_EN: 1
; COMPUTE_PGM_RSRC2:TGID_Y_EN: 0
; COMPUTE_PGM_RSRC2:TGID_Z_EN: 0
; COMPUTE_PGM_RSRC2:TIDIG_COMP_CNT: 0
; COMPUTE_PGM_RSRC3_GFX90A:ACCUM_OFFSET: 12
; COMPUTE_PGM_RSRC3_GFX90A:TG_SPLIT: 0
	.section	.text._ZN2at4cuda12_GLOBAL__N_121kernelPointwiseApply2IZNS_6native9templates4cuda28bernoulli_tensor_cuda_kernelIdfEEvRKNS_10TensorBaseES9_NS_15PhiloxCudaStateEEUliRdSB_SB_SB_RKfSD_SD_SD_E_dSC_jLi2ELi1ELi4ELi512ELi2EEEvNS0_6detail10TensorInfoIT0_T2_EENSG_IT1_SI_EESI_T_,"axG",@progbits,_ZN2at4cuda12_GLOBAL__N_121kernelPointwiseApply2IZNS_6native9templates4cuda28bernoulli_tensor_cuda_kernelIdfEEvRKNS_10TensorBaseES9_NS_15PhiloxCudaStateEEUliRdSB_SB_SB_RKfSD_SD_SD_E_dSC_jLi2ELi1ELi4ELi512ELi2EEEvNS0_6detail10TensorInfoIT0_T2_EENSG_IT1_SI_EESI_T_,comdat
	.globl	_ZN2at4cuda12_GLOBAL__N_121kernelPointwiseApply2IZNS_6native9templates4cuda28bernoulli_tensor_cuda_kernelIdfEEvRKNS_10TensorBaseES9_NS_15PhiloxCudaStateEEUliRdSB_SB_SB_RKfSD_SD_SD_E_dSC_jLi2ELi1ELi4ELi512ELi2EEEvNS0_6detail10TensorInfoIT0_T2_EENSG_IT1_SI_EESI_T_ ; -- Begin function _ZN2at4cuda12_GLOBAL__N_121kernelPointwiseApply2IZNS_6native9templates4cuda28bernoulli_tensor_cuda_kernelIdfEEvRKNS_10TensorBaseES9_NS_15PhiloxCudaStateEEUliRdSB_SB_SB_RKfSD_SD_SD_E_dSC_jLi2ELi1ELi4ELi512ELi2EEEvNS0_6detail10TensorInfoIT0_T2_EENSG_IT1_SI_EESI_T_
	.p2align	8
	.type	_ZN2at4cuda12_GLOBAL__N_121kernelPointwiseApply2IZNS_6native9templates4cuda28bernoulli_tensor_cuda_kernelIdfEEvRKNS_10TensorBaseES9_NS_15PhiloxCudaStateEEUliRdSB_SB_SB_RKfSD_SD_SD_E_dSC_jLi2ELi1ELi4ELi512ELi2EEEvNS0_6detail10TensorInfoIT0_T2_EENSG_IT1_SI_EESI_T_,@function
_ZN2at4cuda12_GLOBAL__N_121kernelPointwiseApply2IZNS_6native9templates4cuda28bernoulli_tensor_cuda_kernelIdfEEvRKNS_10TensorBaseES9_NS_15PhiloxCudaStateEEUliRdSB_SB_SB_RKfSD_SD_SD_E_dSC_jLi2ELi1ELi4ELi512ELi2EEEvNS0_6detail10TensorInfoIT0_T2_EENSG_IT1_SI_EESI_T_: ; @_ZN2at4cuda12_GLOBAL__N_121kernelPointwiseApply2IZNS_6native9templates4cuda28bernoulli_tensor_cuda_kernelIdfEEvRKNS_10TensorBaseES9_NS_15PhiloxCudaStateEEUliRdSB_SB_SB_RKfSD_SD_SD_E_dSC_jLi2ELi1ELi4ELi512ELi2EEEvNS0_6detail10TensorInfoIT0_T2_EENSG_IT1_SI_EESI_T_
; %bb.0:
	s_load_dword s2, s[4:5], 0x1e4
	s_load_dword s33, s[4:5], 0x1b0
	s_add_u32 s0, s4, 0x1d8
	s_addc_u32 s1, s5, 0
	s_waitcnt lgkmcnt(0)
	s_and_b32 s2, s2, 0xffff
	s_mul_i32 s6, s6, s2
	v_add_u32_e32 v1, s6, v0
	v_lshlrev_b32_e32 v0, 2, v1
	v_cmp_gt_u32_e32 vcc, s33, v0
	s_and_saveexec_b64 s[6:7], vcc
	s_cbranch_execz .LBB69_51
; %bb.1:
	s_load_dwordx2 s[12:13], s[4:5], 0x0
	s_load_dword s52, s[4:5], 0xc
	s_load_dwordx2 s[14:15], s[4:5], 0x6c
	s_load_dwordx2 s[16:17], s[4:5], 0xd8
	s_load_dword s3, s[0:1], 0x0
	s_load_dwordx2 s[18:19], s[4:5], 0x1c8
	s_load_dword s6, s[4:5], 0x1d0
	s_load_dword s7, s[4:5], 0x144
	s_load_dwordx4 s[8:11], s[4:5], 0x1b8
	s_waitcnt lgkmcnt(0)
	v_cvt_f32_u32_e32 v2, s52
	s_mov_b32 s53, 0xcd9e8d57
	s_bitcmp1_b32 s6, 0
	s_cselect_b64 s[22:23], -1, 0
	v_rcp_iflag_f32_e32 v4, v2
	v_mad_u64_u32 v[2:3], s[0:1], v1, s53, 0
	s_sub_i32 s56, 0, s52
	v_mul_f32_e32 v4, 0x4f7ffffe, v4
	v_cvt_u32_f32_e32 v4, v4
	v_mov_b32_e32 v6, v3
	s_mul_i32 s3, s3, s2
	s_lshl_b32 s55, s3, 2
	v_mul_lo_u32 v3, s56, v4
	v_mul_hi_u32 v3, v4, v3
	v_add_u32_e32 v3, v4, v3
	v_add_u32_e32 v4, 2, v0
	v_mul_lo_u32 v32, v0, s7
	v_mul_lo_u32 v34, s7, v4
	v_add_u32_e32 v4, 3, v0
	s_mov_b32 s54, 0
	v_mov_b32_e32 v5, 0
	v_sub_u32_e32 v7, s33, v0
	v_add_u32_e32 v33, s7, v32
	s_mul_i32 s57, s55, s7
	v_mul_lo_u32 v35, s7, v4
	s_mov_b64 s[24:25], 0
	s_mov_b32 s58, 0xd2511f53
	s_mov_b32 s59, 0xf1bbcdc8
	v_mov_b32_e32 v36, 0x3ff00000
                                        ; implicit-def: $sgpr26_sgpr27
                                        ; implicit-def: $sgpr28_sgpr29
                                        ; implicit-def: $sgpr30_sgpr31
                                        ; implicit-def: $sgpr20_sgpr21
                                        ; implicit-def: $sgpr34_sgpr35
                                        ; implicit-def: $sgpr36_sgpr37
                                        ; implicit-def: $sgpr38_sgpr39
                                        ; implicit-def: $sgpr40_sgpr41
	s_branch .LBB69_3
.LBB69_2:                               ;   in Loop: Header=BB69_3 Depth=1
	s_or_b64 exec, exec, s[2:3]
	s_and_b64 s[0:1], exec, s[0:1]
	s_or_b64 s[24:25], s[0:1], s[24:25]
	s_andn2_b64 s[0:1], s[20:21], exec
	s_and_b64 s[2:3], s[40:41], exec
	s_or_b64 s[20:21], s[0:1], s[2:3]
	s_andn2_b64 s[0:1], s[30:31], exec
	s_and_b64 s[2:3], s[38:39], exec
	;; [unrolled: 3-line block ×4, first 2 shown]
	s_or_b64 s[26:27], s[0:1], s[2:3]
	s_andn2_b64 exec, exec, s[24:25]
	s_cbranch_execz .LBB69_47
.LBB69_3:                               ; =>This Inner Loop Header: Depth=1
	v_pk_mov_b32 v[10:11], 0, 0
	v_cmp_lt_i32_e32 vcc, 0, v7
	v_pk_mov_b32 v[8:9], v[10:11], v[10:11] op_sel:[0,1]
	s_and_saveexec_b64 s[2:3], vcc
	s_cbranch_execz .LBB69_5
; %bb.4:                                ;   in Loop: Header=BB69_3 Depth=1
	s_waitcnt vmcnt(3)
	v_mul_hi_u32 v4, v3, v0
	v_not_b32_e32 v12, v4
	v_mad_u64_u32 v[8:9], s[0:1], s56, v4, v[0:1]
	v_add_u32_e32 v9, 1, v4
	v_cmp_le_u32_e64 s[0:1], s52, v8
	v_mad_u64_u32 v[12:13], s[4:5], s52, v12, v[0:1]
	v_cndmask_b32_e64 v4, v4, v9, s[0:1]
	v_cndmask_b32_e64 v8, v8, v12, s[0:1]
	v_add_u32_e32 v9, 1, v4
	v_cmp_le_u32_e64 s[0:1], s52, v8
	v_cndmask_b32_e64 v12, v4, v9, s[0:1]
	v_mad_u64_u32 v[8:9], s[0:1], s56, v12, v[0:1]
	v_mul_lo_u32 v4, v8, s15
	v_mad_u64_u32 v[8:9], s[0:1], v12, s14, v[4:5]
	v_mov_b32_e32 v9, v5
.LBB69_5:                               ;   in Loop: Header=BB69_3 Depth=1
	s_or_b64 exec, exec, s[2:3]
	v_cmp_lt_i32_e64 s[0:1], 1, v7
	s_and_saveexec_b64 s[4:5], s[0:1]
	s_cbranch_execz .LBB69_7
; %bb.6:                                ;   in Loop: Header=BB69_3 Depth=1
	s_waitcnt vmcnt(3)
	v_add_u32_e32 v4, 1, v0
	v_mul_hi_u32 v10, v4, v3
	v_mul_lo_u32 v11, v10, s52
	v_sub_u32_e32 v11, v4, v11
	v_add_u32_e32 v12, 1, v10
	v_cmp_le_u32_e64 s[2:3], s52, v11
	v_cndmask_b32_e64 v10, v10, v12, s[2:3]
	v_subrev_u32_e32 v12, s52, v11
	v_cndmask_b32_e64 v11, v11, v12, s[2:3]
	v_add_u32_e32 v12, 1, v10
	v_cmp_le_u32_e64 s[2:3], s52, v11
	v_cndmask_b32_e64 v10, v10, v12, s[2:3]
	v_mul_lo_u32 v11, v10, s52
	v_sub_u32_e32 v4, v4, v11
	v_mul_lo_u32 v4, v4, s15
	v_mad_u64_u32 v[10:11], s[2:3], v10, s14, v[4:5]
	v_mov_b32_e32 v11, v5
.LBB69_7:                               ;   in Loop: Header=BB69_3 Depth=1
	s_or_b64 exec, exec, s[4:5]
	v_pk_mov_b32 v[16:17], 0, 0
	v_cmp_lt_i32_e64 s[2:3], 2, v7
	v_pk_mov_b32 v[14:15], v[16:17], v[16:17] op_sel:[0,1]
	s_and_saveexec_b64 s[6:7], s[2:3]
	s_cbranch_execz .LBB69_9
; %bb.8:                                ;   in Loop: Header=BB69_3 Depth=1
	s_waitcnt vmcnt(3)
	v_add_u32_e32 v4, 2, v0
	v_mul_hi_u32 v12, v4, v3
	v_mul_lo_u32 v13, v12, s52
	v_sub_u32_e32 v13, v4, v13
	v_add_u32_e32 v14, 1, v12
	v_cmp_le_u32_e64 s[4:5], s52, v13
	v_cndmask_b32_e64 v12, v12, v14, s[4:5]
	v_subrev_u32_e32 v14, s52, v13
	v_cndmask_b32_e64 v13, v13, v14, s[4:5]
	v_add_u32_e32 v14, 1, v12
	v_cmp_le_u32_e64 s[4:5], s52, v13
	v_cndmask_b32_e64 v12, v12, v14, s[4:5]
	v_mul_lo_u32 v13, v12, s52
	v_sub_u32_e32 v4, v4, v13
	v_mul_lo_u32 v4, v4, s15
	v_mad_u64_u32 v[14:15], s[4:5], v12, s14, v[4:5]
	v_mov_b32_e32 v15, v5
.LBB69_9:                               ;   in Loop: Header=BB69_3 Depth=1
	s_or_b64 exec, exec, s[6:7]
	v_cmp_lt_i32_e64 s[4:5], 3, v7
	s_and_saveexec_b64 s[42:43], s[4:5]
	s_cbranch_execz .LBB69_11
; %bb.10:                               ;   in Loop: Header=BB69_3 Depth=1
	s_waitcnt vmcnt(3)
	v_add_u32_e32 v4, 3, v0
	v_mul_hi_u32 v12, v4, v3
	v_mul_lo_u32 v13, v12, s52
	v_sub_u32_e32 v13, v4, v13
	v_add_u32_e32 v16, 1, v12
	v_cmp_le_u32_e64 s[6:7], s52, v13
	v_cndmask_b32_e64 v12, v12, v16, s[6:7]
	v_subrev_u32_e32 v16, s52, v13
	v_cndmask_b32_e64 v13, v13, v16, s[6:7]
	v_add_u32_e32 v16, 1, v12
	v_cmp_le_u32_e64 s[6:7], s52, v13
	v_cndmask_b32_e64 v12, v12, v16, s[6:7]
	v_mul_lo_u32 v13, v12, s52
	v_sub_u32_e32 v4, v4, v13
	v_mul_lo_u32 v4, v4, s15
	v_mad_u64_u32 v[16:17], s[6:7], v12, s14, v[4:5]
	v_mov_b32_e32 v17, v5
.LBB69_11:                              ;   in Loop: Header=BB69_3 Depth=1
	s_or_b64 exec, exec, s[42:43]
	s_waitcnt vmcnt(3)
	v_add_u32_e32 v4, s54, v32
	v_cndmask_b32_e32 v4, 0, v4, vcc
	v_add_u32_e32 v18, s54, v33
	v_lshlrev_b64 v[12:13], 2, v[4:5]
	v_mov_b32_e32 v24, s17
	v_add_co_u32_e32 v12, vcc, s16, v12
	v_cndmask_b32_e64 v4, 0, v18, s[0:1]
	v_add_u32_e32 v20, s54, v34
	v_addc_co_u32_e32 v13, vcc, v24, v13, vcc
	v_lshlrev_b64 v[18:19], 2, v[4:5]
	v_add_co_u32_e32 v18, vcc, s16, v18
	v_cndmask_b32_e64 v4, 0, v20, s[2:3]
	v_add_u32_e32 v22, s54, v35
	v_addc_co_u32_e32 v19, vcc, v24, v19, vcc
	v_lshlrev_b64 v[20:21], 2, v[4:5]
	v_add_co_u32_e32 v20, vcc, s16, v20
	v_cndmask_b32_e64 v4, 0, v22, s[4:5]
	v_addc_co_u32_e32 v21, vcc, v24, v21, vcc
	v_lshlrev_b64 v[22:23], 2, v[4:5]
	v_add_co_u32_e32 v22, vcc, s16, v22
	v_addc_co_u32_e32 v23, vcc, v24, v23, vcc
	global_load_dword v4, v[12:13], off
	global_load_dword v37, v[18:19], off
	;; [unrolled: 1-line block ×4, first 2 shown]
	s_andn2_b64 vcc, exec, s[22:23]
	v_pk_mov_b32 v[12:13], s[10:11], s[10:11] op_sel:[0,1]
	v_pk_mov_b32 v[18:19], s[8:9], s[8:9] op_sel:[0,1]
	s_cbranch_vccnz .LBB69_13
; %bb.12:                               ;   in Loop: Header=BB69_3 Depth=1
	v_pk_mov_b32 v[12:13], s[10:11], s[10:11] op_sel:[0,1]
	flat_load_dwordx2 v[12:13], v[12:13]
	v_pk_mov_b32 v[18:19], s[8:9], s[8:9] op_sel:[0,1]
	flat_load_dwordx2 v[18:19], v[18:19]
	v_mov_b32_e32 v20, s19
	s_waitcnt vmcnt(0) lgkmcnt(0)
	v_add_co_u32_e32 v12, vcc, s18, v12
	v_addc_co_u32_e32 v13, vcc, v13, v20, vcc
.LBB69_13:                              ;   in Loop: Header=BB69_3 Depth=1
	v_alignbit_b32 v28, v13, v12, 2
	v_lshrrev_b32_e32 v29, 2, v13
	v_xor_b32_e32 v20, v6, v18
	v_and_b32_e32 v40, 3, v12
	v_mad_u64_u32 v[12:13], s[0:1], v28, s58, 0
	v_xor_b32_e32 v20, v20, v29
	v_xor_b32_e32 v13, v13, v19
	v_add_u32_e32 v45, 0xbb67ae85, v19
	v_mad_u64_u32 v[20:21], s[0:1], v20, s58, 0
	v_mad_u64_u32 v[22:23], s[0:1], v13, s53, 0
	v_xor_b32_e32 v21, v45, v21
	v_add_u32_e32 v44, 0x9e3779b9, v18
	v_xor_b32_e32 v13, v2, v23
	v_xor_b32_e32 v21, v21, v12
	v_xor_b32_e32 v13, v13, v44
	v_add_u32_e32 v46, 0x3c6ef372, v18
	v_mad_u64_u32 v[24:25], s[0:1], v21, s53, 0
	v_add_u32_e32 v47, 0x76cf5d0a, v19
	v_mad_u64_u32 v[12:13], s[0:1], v13, s58, 0
	v_xor_b32_e32 v21, v46, v25
	v_xor_b32_e32 v21, v21, v22
	v_xor_b32_e32 v13, v47, v13
	v_xor_b32_e32 v13, v13, v20
	v_add_u32_e32 v49, 0x32370b8f, v19
	v_mad_u64_u32 v[20:21], s[0:1], v21, s58, 0
	v_add_u32_e32 v48, 0xdaa66d2b, v18
	v_mad_u64_u32 v[22:23], s[0:1], v13, s53, 0
	v_xor_b32_e32 v21, v49, v21
	;; [unrolled: 8-line block ×5, first 2 shown]
	v_xor_b32_e32 v21, v21, v22
	v_xor_b32_e32 v13, v55, v13
	;; [unrolled: 1-line block ×3, first 2 shown]
	v_add_u32_e32 v57, 0x1fd5c5a3, v19
	v_mad_u64_u32 v[20:21], s[0:1], v21, s58, 0
	v_xor_b32_e32 v21, v57, v21
	v_xor_b32_e32 v12, v21, v12
	v_add_u32_e32 v56, 0x5384540f, v18
	v_mad_u64_u32 v[26:27], s[0:1], v13, s53, 0
	v_add_co_u32_e32 v42, vcc, s59, v18
	v_mad_u64_u32 v[22:23], s[0:1], v12, s53, 0
	v_xor_b32_e32 v13, v56, v27
	v_xor_b32_e32 v12, v42, v23
	;; [unrolled: 1-line block ×4, first 2 shown]
	v_mad_u64_u32 v[24:25], s[0:1], v13, s58, 0
	v_mad_u64_u32 v[12:13], s[0:1], v12, s58, 0
	v_add_u32_e32 v43, 0x96a522ad, v19
	v_xor_b32_e32 v13, v13, v24
	v_xor_b32_e32 v41, v43, v13
	v_add_co_u32_e32 v13, vcc, 1, v28
	v_cndmask_b32_e64 v24, 0, 1, vcc
	v_addc_co_u32_e32 v30, vcc, 0, v29, vcc
	v_cmp_eq_u32_e32 vcc, 0, v30
	v_cndmask_b32_e32 v24, 0, v24, vcc
	v_add_u32_e32 v28, v24, v1
	v_cmp_eq_u32_e32 vcc, 0, v28
	v_mad_u64_u32 v[26:27], s[0:1], v13, s58, 0
	v_mad_u64_u32 v[28:29], s[0:1], v28, s53, 0
	v_add_u32_e32 v23, 0x8ff34781, v18
	v_cndmask_b32_e32 v24, 0, v24, vcc
	v_xor_b32_e32 v13, v29, v18
	v_xor_b32_e32 v18, v27, v19
	v_xor_b32_e32 v24, v24, v18
	v_xor_b32_e32 v13, v30, v13
	v_mad_u64_u32 v[30:31], s[0:1], v24, s53, 0
	v_add_u32_e32 v21, 0xdb3d7428, v19
	v_mad_u64_u32 v[18:19], s[0:1], v13, s58, 0
	v_xor_b32_e32 v13, v44, v31
	v_xor_b32_e32 v13, v13, v28
	v_xor_b32_e32 v19, v45, v19
	v_xor_b32_e32 v19, v19, v26
	v_mad_u64_u32 v[26:27], s[0:1], v13, s58, 0
	v_mad_u64_u32 v[28:29], s[0:1], v19, s53, 0
	v_xor_b32_e32 v19, v47, v27
	v_xor_b32_e32 v13, v46, v29
	v_xor_b32_e32 v24, v19, v18
	v_xor_b32_e32 v13, v13, v30
	v_mad_u64_u32 v[30:31], s[0:1], v24, s53, 0
	;; [unrolled: 6-line block ×7, first 2 shown]
	v_xor_b32_e32 v13, v21, v29
	v_xor_b32_e32 v13, v13, v18
	v_mad_u64_u32 v[30:31], s[0:1], v19, s53, 0
	v_mad_u64_u32 v[18:19], s[0:1], v13, s53, 0
	v_xor_b32_e32 v13, v19, v30
	v_xor_b32_e32 v13, v23, v13
	v_cmp_lt_i32_e32 vcc, 1, v40
                                        ; implicit-def: $vgpr27
	s_and_saveexec_b64 s[0:1], vcc
	s_xor_b64 s[0:1], exec, s[0:1]
	s_cbranch_execz .LBB69_19
; %bb.14:                               ;   in Loop: Header=BB69_3 Depth=1
	v_cmp_lt_i32_e32 vcc, 2, v40
                                        ; implicit-def: $vgpr27
	s_and_saveexec_b64 s[2:3], vcc
	s_xor_b64 s[2:3], exec, s[2:3]
; %bb.15:                               ;   in Loop: Header=BB69_3 Depth=1
	v_xor_b32_e32 v19, v42, v31
	v_xor_b32_e32 v19, v19, v26
	v_mul_hi_u32 v19, v19, s58
	v_xor_b32_e32 v19, v19, v28
	v_xor_b32_e32 v27, v43, v19
                                        ; implicit-def: $vgpr41
; %bb.16:                               ;   in Loop: Header=BB69_3 Depth=1
	s_andn2_saveexec_b64 s[2:3], s[2:3]
; %bb.17:                               ;   in Loop: Header=BB69_3 Depth=1
	v_mov_b32_e32 v27, v18
	v_mov_b32_e32 v18, v13
	;; [unrolled: 1-line block ×4, first 2 shown]
; %bb.18:                               ;   in Loop: Header=BB69_3 Depth=1
	s_or_b64 exec, exec, s[2:3]
                                        ; implicit-def: $vgpr20_vgpr21
                                        ; implicit-def: $vgpr22_vgpr23
                                        ; implicit-def: $vgpr40
                                        ; implicit-def: $vgpr41
                                        ; implicit-def: $vgpr24_vgpr25
                                        ; implicit-def: $vgpr21
                                        ; implicit-def: $vgpr23
.LBB69_19:                              ;   in Loop: Header=BB69_3 Depth=1
	s_andn2_saveexec_b64 s[0:1], s[0:1]
	s_cbranch_execz .LBB69_23
; %bb.20:                               ;   in Loop: Header=BB69_3 Depth=1
	v_xor_b32_e32 v18, v21, v25
	v_xor_b32_e32 v18, v18, v20
	v_mad_u64_u32 v[20:21], s[2:3], v18, s53, 0
	v_xor_b32_e32 v18, v21, v22
	v_xor_b32_e32 v19, v23, v18
	v_cmp_eq_u32_e32 vcc, 1, v40
	v_mov_b32_e32 v27, v12
	v_mov_b32_e32 v18, v41
	v_mov_b32_e32 v21, v20
	s_and_saveexec_b64 s[2:3], vcc
; %bb.21:                               ;   in Loop: Header=BB69_3 Depth=1
	v_mov_b32_e32 v27, v13
	v_mov_b32_e32 v18, v12
	;; [unrolled: 1-line block ×4, first 2 shown]
; %bb.22:                               ;   in Loop: Header=BB69_3 Depth=1
	s_or_b64 exec, exec, s[2:3]
	v_mov_b32_e32 v12, v19
	v_mov_b32_e32 v13, v21
.LBB69_23:                              ;   in Loop: Header=BB69_3 Depth=1
	s_or_b64 exec, exec, s[0:1]
	v_min_i32_e32 v19, 4, v7
	v_cmp_lt_i32_e32 vcc, 2, v19
	s_mov_b64 s[2:3], 0
	s_mov_b64 s[48:49], 0
                                        ; implicit-def: $sgpr4_sgpr5
                                        ; implicit-def: $sgpr6_sgpr7
                                        ; implicit-def: $sgpr42_sgpr43
	s_and_saveexec_b64 s[0:1], vcc
	s_xor_b64 s[44:45], exec, s[0:1]
	s_cbranch_execz .LBB69_33
; %bb.24:                               ;   in Loop: Header=BB69_3 Depth=1
	v_cmp_lt_i32_e32 vcc, 3, v19
	s_mov_b64 s[42:43], -1
                                        ; implicit-def: $sgpr4_sgpr5
                                        ; implicit-def: $sgpr46_sgpr47
	s_and_saveexec_b64 s[6:7], vcc
	s_cbranch_execz .LBB69_28
; %bb.25:                               ;   in Loop: Header=BB69_3 Depth=1
	s_waitcnt vmcnt(0)
	v_cmp_le_f32_e32 vcc, 0, v39
	v_cmp_ge_f32_e64 s[0:1], 1.0, v39
	s_and_b64 s[46:47], vcc, s[0:1]
	s_mov_b64 s[4:5], 0
	s_mov_b64 s[0:1], 0
	s_and_saveexec_b64 s[42:43], s[46:47]
	s_cbranch_execz .LBB69_27
; %bb.26:                               ;   in Loop: Header=BB69_3 Depth=1
	v_cvt_f32_u32_e32 v20, v27
	v_mov_b32_e32 v21, 0x2f800000
	v_lshlrev_b64 v[16:17], 3, v[16:17]
	v_add_co_u32_e32 v16, vcc, s12, v16
	v_fmac_f32_e32 v21, 0x2f800000, v20
	v_mov_b32_e32 v20, s13
	v_addc_co_u32_e32 v17, vcc, v20, v17, vcc
	v_cmp_le_f32_e32 vcc, v21, v39
	s_mov_b64 s[0:1], exec
	v_cndmask_b32_e32 v21, 0, v36, vcc
	v_mov_b32_e32 v20, v5
	global_store_dwordx2 v[16:17], v[20:21], off
.LBB69_27:                              ;   in Loop: Header=BB69_3 Depth=1
	s_or_b64 exec, exec, s[42:43]
	s_mov_b64 s[46:47], -1
	s_orn2_b64 s[42:43], s[0:1], exec
.LBB69_28:                              ;   in Loop: Header=BB69_3 Depth=1
	s_or_b64 exec, exec, s[6:7]
	s_mov_b64 s[0:1], 0
	s_mov_b64 s[48:49], s[4:5]
	s_and_saveexec_b64 s[6:7], s[42:43]
	s_cbranch_execz .LBB69_32
; %bb.29:                               ;   in Loop: Header=BB69_3 Depth=1
	s_waitcnt vmcnt(1)
	v_cmp_le_f32_e32 vcc, 0, v38
	v_cmp_ge_f32_e64 s[0:1], 1.0, v38
	s_and_b64 s[42:43], vcc, s[0:1]
	s_mov_b64 s[0:1], 0
	s_and_saveexec_b64 s[48:49], s[42:43]
	s_xor_b64 s[42:43], exec, s[48:49]
	s_cbranch_execz .LBB69_31
; %bb.30:                               ;   in Loop: Header=BB69_3 Depth=1
	v_cvt_f32_u32_e32 v16, v18
	v_mov_b32_e32 v17, 0x2f800000
	v_lshlrev_b64 v[14:15], 3, v[14:15]
	v_add_co_u32_e32 v14, vcc, s12, v14
	v_fmac_f32_e32 v17, 0x2f800000, v16
	v_mov_b32_e32 v16, s13
	v_addc_co_u32_e32 v15, vcc, v16, v15, vcc
	v_cmp_le_f32_e32 vcc, v17, v38
	v_cndmask_b32_e32 v17, 0, v36, vcc
	v_mov_b32_e32 v16, v5
	s_mov_b64 s[0:1], exec
	global_store_dwordx2 v[14:15], v[16:17], off
.LBB69_31:                              ;   in Loop: Header=BB69_3 Depth=1
	s_or_b64 exec, exec, s[42:43]
	s_andn2_b64 s[48:49], s[4:5], exec
	s_or_b64 s[4:5], s[4:5], exec
	s_andn2_b64 s[46:47], s[46:47], exec
	s_and_b64 s[0:1], s[0:1], exec
.LBB69_32:                              ;   in Loop: Header=BB69_3 Depth=1
	s_or_b64 exec, exec, s[6:7]
	s_and_b64 s[42:43], s[48:49], exec
	s_and_b64 s[6:7], s[4:5], exec
	;; [unrolled: 1-line block ×4, first 2 shown]
.LBB69_33:                              ;   in Loop: Header=BB69_3 Depth=1
	s_andn2_saveexec_b64 s[0:1], s[44:45]
; %bb.34:                               ;   in Loop: Header=BB69_3 Depth=1
	v_cmp_lt_i32_e32 vcc, 1, v19
	s_andn2_b64 s[44:45], s[48:49], exec
	s_and_b64 s[46:47], vcc, exec
	s_mov_b64 s[2:3], exec
	s_andn2_b64 s[42:43], s[42:43], exec
	s_andn2_b64 s[6:7], s[6:7], exec
	s_andn2_b64 s[4:5], s[4:5], exec
	s_or_b64 s[48:49], s[44:45], s[46:47]
; %bb.35:                               ;   in Loop: Header=BB69_3 Depth=1
	s_or_b64 exec, exec, s[0:1]
	s_mov_b64 s[44:45], 0
	s_mov_b64 s[0:1], 0
	;; [unrolled: 1-line block ×3, first 2 shown]
	s_and_saveexec_b64 s[50:51], s[48:49]
	s_cbranch_execnz .LBB69_38
; %bb.36:                               ;   in Loop: Header=BB69_3 Depth=1
	s_or_b64 exec, exec, s[50:51]
	s_and_saveexec_b64 s[48:49], s[2:3]
	s_cbranch_execnz .LBB69_41
.LBB69_37:                              ;   in Loop: Header=BB69_3 Depth=1
	s_or_b64 exec, exec, s[48:49]
	s_and_saveexec_b64 s[2:3], s[0:1]
	s_cbranch_execnz .LBB69_42
	s_branch .LBB69_45
.LBB69_38:                              ;   in Loop: Header=BB69_3 Depth=1
	s_waitcnt vmcnt(2)
	v_cmp_le_f32_e32 vcc, 0, v37
	v_cmp_ge_f32_e64 s[0:1], 1.0, v37
	s_and_b64 s[46:47], vcc, s[0:1]
	s_mov_b64 s[0:1], 0
	s_and_saveexec_b64 s[48:49], s[46:47]
	s_xor_b64 s[46:47], exec, s[48:49]
	s_cbranch_execz .LBB69_40
; %bb.39:                               ;   in Loop: Header=BB69_3 Depth=1
	v_cvt_f32_u32_e32 v13, v13
	v_mov_b32_e32 v14, 0x2f800000
	v_lshlrev_b64 v[10:11], 3, v[10:11]
	v_add_co_u32_e32 v10, vcc, s12, v10
	v_fmac_f32_e32 v14, 0x2f800000, v13
	v_mov_b32_e32 v13, s13
	v_addc_co_u32_e32 v11, vcc, v13, v11, vcc
	v_cmp_le_f32_e32 vcc, v14, v37
	v_cndmask_b32_e32 v15, 0, v36, vcc
	v_mov_b32_e32 v14, v5
	s_mov_b64 s[0:1], exec
	global_store_dwordx2 v[10:11], v[14:15], off
.LBB69_40:                              ;   in Loop: Header=BB69_3 Depth=1
	s_or_b64 exec, exec, s[46:47]
	s_andn2_b64 s[46:47], s[42:43], exec
	s_or_b64 s[42:43], s[42:43], exec
	s_andn2_b64 s[6:7], s[6:7], exec
	s_andn2_b64 s[4:5], s[4:5], exec
	s_and_b64 s[0:1], s[0:1], exec
	s_andn2_b64 s[2:3], s[2:3], exec
	s_or_b64 exec, exec, s[50:51]
	s_and_saveexec_b64 s[48:49], s[2:3]
	s_cbranch_execz .LBB69_37
.LBB69_41:                              ;   in Loop: Header=BB69_3 Depth=1
	v_cmp_eq_u32_e32 vcc, 1, v19
	s_andn2_b64 s[0:1], s[0:1], exec
	s_and_b64 s[2:3], vcc, exec
	s_mov_b64 s[44:45], exec
	s_andn2_b64 s[46:47], s[46:47], exec
	s_andn2_b64 s[42:43], s[42:43], exec
	;; [unrolled: 1-line block ×4, first 2 shown]
	s_or_b64 s[0:1], s[0:1], s[2:3]
	s_or_b64 exec, exec, s[48:49]
	s_and_saveexec_b64 s[2:3], s[0:1]
	s_cbranch_execz .LBB69_45
.LBB69_42:                              ;   in Loop: Header=BB69_3 Depth=1
	s_waitcnt vmcnt(3)
	v_cmp_le_f32_e32 vcc, 0, v4
	v_cmp_ge_f32_e64 s[0:1], 1.0, v4
	s_and_b64 s[50:51], vcc, s[0:1]
	s_mov_b64 s[0:1], 0
	s_and_saveexec_b64 s[48:49], s[50:51]
	s_cbranch_execz .LBB69_44
; %bb.43:                               ;   in Loop: Header=BB69_3 Depth=1
	v_cvt_f32_u32_e32 v10, v12
	v_mov_b32_e32 v11, 0x2f800000
	v_lshlrev_b64 v[8:9], 3, v[8:9]
	v_add_co_u32_e32 v8, vcc, s12, v8
	v_fmac_f32_e32 v11, 0x2f800000, v10
	v_mov_b32_e32 v10, s13
	v_addc_co_u32_e32 v9, vcc, v10, v9, vcc
	v_cmp_le_f32_e32 vcc, v11, v4
	s_mov_b64 s[0:1], exec
	v_cndmask_b32_e32 v11, 0, v36, vcc
	v_mov_b32_e32 v10, v5
	global_store_dwordx2 v[8:9], v[10:11], off
.LBB69_44:                              ;   in Loop: Header=BB69_3 Depth=1
	s_or_b64 exec, exec, s[48:49]
	s_andn2_b64 s[44:45], s[44:45], exec
	s_and_b64 s[0:1], s[0:1], exec
	s_or_b64 s[46:47], s[46:47], exec
	s_andn2_b64 s[42:43], s[42:43], exec
	s_andn2_b64 s[6:7], s[6:7], exec
	;; [unrolled: 1-line block ×3, first 2 shown]
	s_or_b64 s[44:45], s[44:45], s[0:1]
.LBB69_45:                              ;   in Loop: Header=BB69_3 Depth=1
	s_or_b64 exec, exec, s[2:3]
	s_andn2_b64 s[2:3], s[40:41], exec
	s_and_b64 s[40:41], s[46:47], exec
	s_or_b64 s[40:41], s[2:3], s[40:41]
	s_andn2_b64 s[2:3], s[38:39], exec
	s_and_b64 s[38:39], s[42:43], exec
	s_or_b64 s[38:39], s[2:3], s[38:39]
	;; [unrolled: 3-line block ×3, first 2 shown]
	s_andn2_b64 s[2:3], s[34:35], exec
	s_and_b64 s[4:5], s[4:5], exec
	s_mov_b64 s[0:1], -1
	s_or_b64 s[34:35], s[2:3], s[4:5]
	s_and_saveexec_b64 s[2:3], s[44:45]
	s_cbranch_execz .LBB69_2
; %bb.46:                               ;   in Loop: Header=BB69_3 Depth=1
	v_add_u32_e32 v0, s55, v0
	v_cmp_le_u32_e32 vcc, s33, v0
	v_subrev_u32_e32 v7, s55, v7
	s_add_i32 s54, s54, s57
	s_andn2_b64 s[40:41], s[40:41], exec
	s_andn2_b64 s[38:39], s[38:39], exec
	;; [unrolled: 1-line block ×4, first 2 shown]
	s_orn2_b64 s[0:1], vcc, exec
	s_branch .LBB69_2
.LBB69_47:
	s_or_b64 exec, exec, s[24:25]
	s_xor_b64 s[6:7], s[30:31], -1
	s_xor_b64 s[8:9], s[28:29], -1
	;; [unrolled: 1-line block ×3, first 2 shown]
	s_mov_b64 s[2:3], 0
	s_and_saveexec_b64 s[4:5], s[0:1]
	s_xor_b64 s[0:1], exec, s[4:5]
	s_cbranch_execnz .LBB69_52
; %bb.48:
	s_andn2_saveexec_b64 s[0:1], s[0:1]
	s_cbranch_execnz .LBB69_60
.LBB69_49:
	s_or_b64 exec, exec, s[0:1]
	s_and_b64 exec, exec, s[2:3]
.LBB69_50:
	; divergent unreachable
.LBB69_51:
	s_endpgm
.LBB69_52:
	s_mov_b64 s[4:5], 0
	s_and_saveexec_b64 s[2:3], s[8:9]
	s_xor_b64 s[2:3], exec, s[2:3]
	s_cbranch_execz .LBB69_58
; %bb.53:
	s_and_saveexec_b64 s[8:9], s[6:7]
	s_xor_b64 s[6:7], exec, s[8:9]
	s_cbranch_execz .LBB69_56
; %bb.54:
	s_and_saveexec_b64 s[8:9], s[20:21]
	s_xor_b64 s[8:9], exec, s[8:9]
	s_cbranch_execnz .LBB69_63
.LBB69_55:
	s_or_b64 exec, exec, s[8:9]
	s_and_b64 s[4:5], s[4:5], exec
.LBB69_56:
	s_andn2_saveexec_b64 s[6:7], s[6:7]
	s_cbranch_execnz .LBB69_62
.LBB69_57:
	s_or_b64 exec, exec, s[6:7]
	s_and_b64 s[4:5], s[4:5], exec
.LBB69_58:
	s_andn2_saveexec_b64 s[2:3], s[2:3]
	s_cbranch_execnz .LBB69_61
.LBB69_59:
	s_or_b64 exec, exec, s[2:3]
	s_and_b64 s[2:3], s[4:5], exec
	s_andn2_saveexec_b64 s[0:1], s[0:1]
	s_cbranch_execz .LBB69_49
.LBB69_60:
	s_or_b64 s[2:3], s[2:3], exec
	s_trap 2
	s_or_b64 exec, exec, s[0:1]
	s_and_b64 exec, exec, s[2:3]
	s_cbranch_execnz .LBB69_50
	s_branch .LBB69_51
.LBB69_61:
	s_or_b64 s[4:5], s[4:5], exec
	s_trap 2
	s_branch .LBB69_59
.LBB69_62:
	s_trap 2
	s_or_b64 s[4:5], s[4:5], exec
	s_branch .LBB69_57
.LBB69_63:
	s_mov_b64 s[4:5], exec
	s_trap 2
	s_branch .LBB69_55
	.section	.rodata,"a",@progbits
	.p2align	6, 0x0
	.amdhsa_kernel _ZN2at4cuda12_GLOBAL__N_121kernelPointwiseApply2IZNS_6native9templates4cuda28bernoulli_tensor_cuda_kernelIdfEEvRKNS_10TensorBaseES9_NS_15PhiloxCudaStateEEUliRdSB_SB_SB_RKfSD_SD_SD_E_dSC_jLi2ELi1ELi4ELi512ELi2EEEvNS0_6detail10TensorInfoIT0_T2_EENSG_IT1_SI_EESI_T_
		.amdhsa_group_segment_fixed_size 0
		.amdhsa_private_segment_fixed_size 0
		.amdhsa_kernarg_size 728
		.amdhsa_user_sgpr_count 6
		.amdhsa_user_sgpr_private_segment_buffer 1
		.amdhsa_user_sgpr_dispatch_ptr 0
		.amdhsa_user_sgpr_queue_ptr 0
		.amdhsa_user_sgpr_kernarg_segment_ptr 1
		.amdhsa_user_sgpr_dispatch_id 0
		.amdhsa_user_sgpr_flat_scratch_init 0
		.amdhsa_user_sgpr_kernarg_preload_length 0
		.amdhsa_user_sgpr_kernarg_preload_offset 0
		.amdhsa_user_sgpr_private_segment_size 0
		.amdhsa_uses_dynamic_stack 0
		.amdhsa_system_sgpr_private_segment_wavefront_offset 0
		.amdhsa_system_sgpr_workgroup_id_x 1
		.amdhsa_system_sgpr_workgroup_id_y 0
		.amdhsa_system_sgpr_workgroup_id_z 0
		.amdhsa_system_sgpr_workgroup_info 0
		.amdhsa_system_vgpr_workitem_id 0
		.amdhsa_next_free_vgpr 58
		.amdhsa_next_free_sgpr 60
		.amdhsa_accum_offset 60
		.amdhsa_reserve_vcc 1
		.amdhsa_reserve_flat_scratch 0
		.amdhsa_float_round_mode_32 0
		.amdhsa_float_round_mode_16_64 0
		.amdhsa_float_denorm_mode_32 3
		.amdhsa_float_denorm_mode_16_64 3
		.amdhsa_dx10_clamp 1
		.amdhsa_ieee_mode 1
		.amdhsa_fp16_overflow 0
		.amdhsa_tg_split 0
		.amdhsa_exception_fp_ieee_invalid_op 0
		.amdhsa_exception_fp_denorm_src 0
		.amdhsa_exception_fp_ieee_div_zero 0
		.amdhsa_exception_fp_ieee_overflow 0
		.amdhsa_exception_fp_ieee_underflow 0
		.amdhsa_exception_fp_ieee_inexact 0
		.amdhsa_exception_int_div_zero 0
	.end_amdhsa_kernel
	.section	.text._ZN2at4cuda12_GLOBAL__N_121kernelPointwiseApply2IZNS_6native9templates4cuda28bernoulli_tensor_cuda_kernelIdfEEvRKNS_10TensorBaseES9_NS_15PhiloxCudaStateEEUliRdSB_SB_SB_RKfSD_SD_SD_E_dSC_jLi2ELi1ELi4ELi512ELi2EEEvNS0_6detail10TensorInfoIT0_T2_EENSG_IT1_SI_EESI_T_,"axG",@progbits,_ZN2at4cuda12_GLOBAL__N_121kernelPointwiseApply2IZNS_6native9templates4cuda28bernoulli_tensor_cuda_kernelIdfEEvRKNS_10TensorBaseES9_NS_15PhiloxCudaStateEEUliRdSB_SB_SB_RKfSD_SD_SD_E_dSC_jLi2ELi1ELi4ELi512ELi2EEEvNS0_6detail10TensorInfoIT0_T2_EENSG_IT1_SI_EESI_T_,comdat
.Lfunc_end69:
	.size	_ZN2at4cuda12_GLOBAL__N_121kernelPointwiseApply2IZNS_6native9templates4cuda28bernoulli_tensor_cuda_kernelIdfEEvRKNS_10TensorBaseES9_NS_15PhiloxCudaStateEEUliRdSB_SB_SB_RKfSD_SD_SD_E_dSC_jLi2ELi1ELi4ELi512ELi2EEEvNS0_6detail10TensorInfoIT0_T2_EENSG_IT1_SI_EESI_T_, .Lfunc_end69-_ZN2at4cuda12_GLOBAL__N_121kernelPointwiseApply2IZNS_6native9templates4cuda28bernoulli_tensor_cuda_kernelIdfEEvRKNS_10TensorBaseES9_NS_15PhiloxCudaStateEEUliRdSB_SB_SB_RKfSD_SD_SD_E_dSC_jLi2ELi1ELi4ELi512ELi2EEEvNS0_6detail10TensorInfoIT0_T2_EENSG_IT1_SI_EESI_T_
                                        ; -- End function
	.section	.AMDGPU.csdata,"",@progbits
; Kernel info:
; codeLenInByte = 3100
; NumSgprs: 64
; NumVgprs: 58
; NumAgprs: 0
; TotalNumVgprs: 58
; ScratchSize: 0
; MemoryBound: 0
; FloatMode: 240
; IeeeMode: 1
; LDSByteSize: 0 bytes/workgroup (compile time only)
; SGPRBlocks: 7
; VGPRBlocks: 7
; NumSGPRsForWavesPerEU: 64
; NumVGPRsForWavesPerEU: 58
; AccumOffset: 60
; Occupancy: 8
; WaveLimiterHint : 1
; COMPUTE_PGM_RSRC2:SCRATCH_EN: 0
; COMPUTE_PGM_RSRC2:USER_SGPR: 6
; COMPUTE_PGM_RSRC2:TRAP_HANDLER: 0
; COMPUTE_PGM_RSRC2:TGID_X_EN: 1
; COMPUTE_PGM_RSRC2:TGID_Y_EN: 0
; COMPUTE_PGM_RSRC2:TGID_Z_EN: 0
; COMPUTE_PGM_RSRC2:TIDIG_COMP_CNT: 0
; COMPUTE_PGM_RSRC3_GFX90A:ACCUM_OFFSET: 14
; COMPUTE_PGM_RSRC3_GFX90A:TG_SPLIT: 0
	.section	.text._ZN2at4cuda12_GLOBAL__N_121kernelPointwiseApply2IZNS_6native9templates4cuda28bernoulli_tensor_cuda_kernelIdfEEvRKNS_10TensorBaseES9_NS_15PhiloxCudaStateEEUliRdSB_SB_SB_RKfSD_SD_SD_E_dSC_jLi2ELi2ELi4ELi512ELi2EEEvNS0_6detail10TensorInfoIT0_T2_EENSG_IT1_SI_EESI_T_,"axG",@progbits,_ZN2at4cuda12_GLOBAL__N_121kernelPointwiseApply2IZNS_6native9templates4cuda28bernoulli_tensor_cuda_kernelIdfEEvRKNS_10TensorBaseES9_NS_15PhiloxCudaStateEEUliRdSB_SB_SB_RKfSD_SD_SD_E_dSC_jLi2ELi2ELi4ELi512ELi2EEEvNS0_6detail10TensorInfoIT0_T2_EENSG_IT1_SI_EESI_T_,comdat
	.globl	_ZN2at4cuda12_GLOBAL__N_121kernelPointwiseApply2IZNS_6native9templates4cuda28bernoulli_tensor_cuda_kernelIdfEEvRKNS_10TensorBaseES9_NS_15PhiloxCudaStateEEUliRdSB_SB_SB_RKfSD_SD_SD_E_dSC_jLi2ELi2ELi4ELi512ELi2EEEvNS0_6detail10TensorInfoIT0_T2_EENSG_IT1_SI_EESI_T_ ; -- Begin function _ZN2at4cuda12_GLOBAL__N_121kernelPointwiseApply2IZNS_6native9templates4cuda28bernoulli_tensor_cuda_kernelIdfEEvRKNS_10TensorBaseES9_NS_15PhiloxCudaStateEEUliRdSB_SB_SB_RKfSD_SD_SD_E_dSC_jLi2ELi2ELi4ELi512ELi2EEEvNS0_6detail10TensorInfoIT0_T2_EENSG_IT1_SI_EESI_T_
	.p2align	8
	.type	_ZN2at4cuda12_GLOBAL__N_121kernelPointwiseApply2IZNS_6native9templates4cuda28bernoulli_tensor_cuda_kernelIdfEEvRKNS_10TensorBaseES9_NS_15PhiloxCudaStateEEUliRdSB_SB_SB_RKfSD_SD_SD_E_dSC_jLi2ELi2ELi4ELi512ELi2EEEvNS0_6detail10TensorInfoIT0_T2_EENSG_IT1_SI_EESI_T_,@function
_ZN2at4cuda12_GLOBAL__N_121kernelPointwiseApply2IZNS_6native9templates4cuda28bernoulli_tensor_cuda_kernelIdfEEvRKNS_10TensorBaseES9_NS_15PhiloxCudaStateEEUliRdSB_SB_SB_RKfSD_SD_SD_E_dSC_jLi2ELi2ELi4ELi512ELi2EEEvNS0_6detail10TensorInfoIT0_T2_EENSG_IT1_SI_EESI_T_: ; @_ZN2at4cuda12_GLOBAL__N_121kernelPointwiseApply2IZNS_6native9templates4cuda28bernoulli_tensor_cuda_kernelIdfEEvRKNS_10TensorBaseES9_NS_15PhiloxCudaStateEEUliRdSB_SB_SB_RKfSD_SD_SD_E_dSC_jLi2ELi2ELi4ELi512ELi2EEEvNS0_6detail10TensorInfoIT0_T2_EENSG_IT1_SI_EESI_T_
; %bb.0:
	s_load_dword s2, s[4:5], 0x1e4
	s_load_dword s33, s[4:5], 0x1b0
	s_add_u32 s0, s4, 0x1d8
	s_addc_u32 s1, s5, 0
	s_waitcnt lgkmcnt(0)
	s_and_b32 s18, s2, 0xffff
	s_mul_i32 s6, s6, s18
	v_add_u32_e32 v1, s6, v0
	v_lshlrev_b32_e32 v0, 2, v1
	v_cmp_gt_u32_e32 vcc, s33, v0
	s_and_saveexec_b64 s[2:3], vcc
	s_cbranch_execz .LBB70_59
; %bb.1:
	s_load_dwordx2 s[2:3], s[4:5], 0x0
	s_load_dword s54, s[4:5], 0xc
	s_load_dwordx2 s[6:7], s[4:5], 0x6c
	s_load_dwordx2 s[12:13], s[4:5], 0xd8
	s_load_dword s19, s[0:1], 0x0
	s_load_dword s20, s[4:5], 0x1d0
	;; [unrolled: 1-line block ×3, first 2 shown]
	s_load_dwordx2 s[14:15], s[4:5], 0x144
	s_load_dwordx2 s[16:17], s[4:5], 0x1c8
	s_load_dwordx4 s[8:11], s[4:5], 0x1b8
	s_waitcnt lgkmcnt(0)
	v_cvt_f32_u32_e32 v4, s54
	v_cvt_f32_u32_e32 v7, s55
	s_mov_b32 s56, 0xcd9e8d57
	v_mad_u64_u32 v[2:3], s[0:1], v1, s56, 0
	v_rcp_iflag_f32_e32 v4, v4
	v_mov_b32_e32 v6, v3
	s_bitcmp1_b32 s20, 0
	s_cselect_b64 s[4:5], -1, 0
	v_mul_f32_e32 v3, 0x4f7ffffe, v4
	v_rcp_iflag_f32_e32 v4, v7
	v_cvt_u32_f32_e32 v3, v3
	s_sub_i32 s58, 0, s54
	s_sub_i32 s59, 0, s55
	v_mul_f32_e32 v4, 0x4f7ffffe, v4
	v_cvt_u32_f32_e32 v4, v4
	v_mul_lo_u32 v7, s58, v3
	v_mul_hi_u32 v7, v3, v7
	v_add_u32_e32 v3, v3, v7
	v_mul_lo_u32 v7, s59, v4
	s_mul_i32 s19, s19, s18
	v_mul_hi_u32 v7, v4, v7
	v_mov_b32_e32 v5, 0
	s_lshl_b32 s57, s19, 2
	v_add_u32_e32 v7, v4, v7
	v_sub_u32_e32 v32, s33, v0
	s_mov_b64 s[20:21], 0
	s_mov_b32 s60, 0xd2511f53
	s_mov_b32 s61, 0xf1bbcdc8
	v_mov_b32_e32 v33, 0x3ff00000
                                        ; implicit-def: $sgpr22_sgpr23
                                        ; implicit-def: $sgpr24_sgpr25
                                        ; implicit-def: $sgpr26_sgpr27
                                        ; implicit-def: $sgpr18_sgpr19
                                        ; implicit-def: $sgpr28_sgpr29
                                        ; implicit-def: $sgpr30_sgpr31
                                        ; implicit-def: $sgpr34_sgpr35
                                        ; implicit-def: $sgpr36_sgpr37
	s_branch .LBB70_3
.LBB70_2:                               ;   in Loop: Header=BB70_3 Depth=1
	s_or_b64 exec, exec, s[38:39]
	s_and_b64 s[0:1], exec, s[0:1]
	s_or_b64 s[20:21], s[0:1], s[20:21]
	s_andn2_b64 s[0:1], s[18:19], exec
	s_and_b64 s[18:19], s[36:37], exec
	s_or_b64 s[18:19], s[0:1], s[18:19]
	s_andn2_b64 s[0:1], s[26:27], exec
	s_and_b64 s[26:27], s[34:35], exec
	;; [unrolled: 3-line block ×4, first 2 shown]
	s_or_b64 s[22:23], s[0:1], s[22:23]
	s_andn2_b64 exec, exec, s[20:21]
	s_cbranch_execz .LBB70_55
.LBB70_3:                               ; =>This Inner Loop Header: Depth=1
	v_cmp_lt_i32_e32 vcc, 0, v32
	v_mov_b32_e32 v8, 0
	s_and_saveexec_b64 s[38:39], vcc
	s_cbranch_execz .LBB70_5
; %bb.4:                                ;   in Loop: Header=BB70_3 Depth=1
	s_waitcnt vmcnt(3)
	v_mul_hi_u32 v4, v3, v0
	v_not_b32_e32 v10, v4
	s_waitcnt vmcnt(2)
	v_mad_u64_u32 v[8:9], s[0:1], s58, v4, v[0:1]
	v_add_u32_e32 v9, 1, v4
	v_cmp_le_u32_e64 s[0:1], s54, v8
	v_mad_u64_u32 v[10:11], s[40:41], s54, v10, v[0:1]
	v_cndmask_b32_e64 v4, v4, v9, s[0:1]
	v_cndmask_b32_e64 v8, v8, v10, s[0:1]
	v_add_u32_e32 v9, 1, v4
	v_cmp_le_u32_e64 s[0:1], s54, v8
	v_cndmask_b32_e64 v10, v4, v9, s[0:1]
	v_mad_u64_u32 v[8:9], s[0:1], s58, v10, v[0:1]
	v_mul_lo_u32 v4, v8, s7
	v_mad_u64_u32 v[8:9], s[0:1], v10, s6, v[4:5]
.LBB70_5:                               ;   in Loop: Header=BB70_3 Depth=1
	s_or_b64 exec, exec, s[38:39]
	s_waitcnt vmcnt(3)
	v_mov_b32_e32 v4, 0
	s_and_saveexec_b64 s[0:1], vcc
	s_cbranch_execz .LBB70_7
; %bb.6:                                ;   in Loop: Header=BB70_3 Depth=1
	v_mul_hi_u32 v4, v7, v0
	s_waitcnt vmcnt(2)
	v_not_b32_e32 v9, v4
	v_mad_u64_u32 v[10:11], s[38:39], s59, v4, v[0:1]
	v_add_u32_e32 v11, 1, v4
	v_cmp_le_u32_e32 vcc, s55, v10
	v_mad_u64_u32 v[12:13], s[38:39], s55, v9, v[0:1]
	v_cndmask_b32_e32 v4, v4, v11, vcc
	v_cndmask_b32_e32 v9, v10, v12, vcc
	v_add_u32_e32 v10, 1, v4
	v_cmp_le_u32_e32 vcc, s55, v9
	v_cndmask_b32_e32 v9, v4, v10, vcc
	v_mad_u64_u32 v[10:11], s[38:39], s59, v9, v[0:1]
	v_mul_lo_u32 v4, v10, s15
	v_mad_u64_u32 v[10:11], s[38:39], v9, s14, v[4:5]
	v_mov_b32_e32 v4, v10
.LBB70_7:                               ;   in Loop: Header=BB70_3 Depth=1
	s_or_b64 exec, exec, s[0:1]
	v_pk_mov_b32 v[14:15], 0, 0
	s_waitcnt vmcnt(2)
	v_add_u32_e32 v9, 1, v0
	v_cmp_lt_i32_e32 vcc, 1, v32
	v_pk_mov_b32 v[10:11], v[14:15], v[14:15] op_sel:[0,1]
	s_and_saveexec_b64 s[38:39], vcc
	s_cbranch_execz .LBB70_9
; %bb.8:                                ;   in Loop: Header=BB70_3 Depth=1
	v_mul_hi_u32 v10, v9, v3
	v_mul_lo_u32 v11, v10, s54
	v_sub_u32_e32 v11, v9, v11
	v_add_u32_e32 v12, 1, v10
	v_cmp_le_u32_e64 s[0:1], s54, v11
	v_cndmask_b32_e64 v10, v10, v12, s[0:1]
	v_subrev_u32_e32 v12, s54, v11
	v_cndmask_b32_e64 v11, v11, v12, s[0:1]
	v_add_u32_e32 v12, 1, v10
	v_cmp_le_u32_e64 s[0:1], s54, v11
	v_cndmask_b32_e64 v11, v10, v12, s[0:1]
	v_mul_lo_u32 v10, v11, s54
	v_sub_u32_e32 v10, v9, v10
	v_mul_lo_u32 v10, v10, s7
	v_mad_u64_u32 v[10:11], s[0:1], v11, s6, v[10:11]
	v_mov_b32_e32 v11, v5
.LBB70_9:                               ;   in Loop: Header=BB70_3 Depth=1
	s_or_b64 exec, exec, s[38:39]
	s_and_saveexec_b64 s[0:1], vcc
	s_cbranch_execz .LBB70_11
; %bb.10:                               ;   in Loop: Header=BB70_3 Depth=1
	v_mul_hi_u32 v12, v9, v7
	v_mul_lo_u32 v13, v12, s55
	v_sub_u32_e32 v13, v9, v13
	v_add_u32_e32 v14, 1, v12
	v_cmp_le_u32_e32 vcc, s55, v13
	v_cndmask_b32_e32 v12, v12, v14, vcc
	v_subrev_u32_e32 v14, s55, v13
	v_cndmask_b32_e32 v13, v13, v14, vcc
	v_add_u32_e32 v14, 1, v12
	v_cmp_le_u32_e32 vcc, s55, v13
	v_cndmask_b32_e32 v13, v12, v14, vcc
	v_mul_lo_u32 v12, v13, s55
	v_sub_u32_e32 v9, v9, v12
	v_mul_lo_u32 v12, v9, s15
	v_mad_u64_u32 v[14:15], s[38:39], v13, s14, v[12:13]
	v_mov_b32_e32 v15, v5
.LBB70_11:                              ;   in Loop: Header=BB70_3 Depth=1
	s_or_b64 exec, exec, s[0:1]
	v_pk_mov_b32 v[18:19], 0, 0
	v_add_u32_e32 v9, 2, v0
	v_cmp_lt_i32_e32 vcc, 2, v32
	v_pk_mov_b32 v[12:13], v[18:19], v[18:19] op_sel:[0,1]
	s_and_saveexec_b64 s[38:39], vcc
	s_cbranch_execz .LBB70_13
; %bb.12:                               ;   in Loop: Header=BB70_3 Depth=1
	v_mul_hi_u32 v12, v9, v3
	v_mul_lo_u32 v13, v12, s54
	v_sub_u32_e32 v13, v9, v13
	v_add_u32_e32 v16, 1, v12
	v_cmp_le_u32_e64 s[0:1], s54, v13
	v_cndmask_b32_e64 v12, v12, v16, s[0:1]
	v_subrev_u32_e32 v16, s54, v13
	v_cndmask_b32_e64 v13, v13, v16, s[0:1]
	v_add_u32_e32 v16, 1, v12
	v_cmp_le_u32_e64 s[0:1], s54, v13
	v_cndmask_b32_e64 v13, v12, v16, s[0:1]
	v_mul_lo_u32 v12, v13, s54
	v_sub_u32_e32 v12, v9, v12
	v_mul_lo_u32 v12, v12, s7
	v_mad_u64_u32 v[12:13], s[0:1], v13, s6, v[12:13]
	v_mov_b32_e32 v13, v5
.LBB70_13:                              ;   in Loop: Header=BB70_3 Depth=1
	s_or_b64 exec, exec, s[38:39]
	s_and_saveexec_b64 s[0:1], vcc
	s_cbranch_execz .LBB70_15
; %bb.14:                               ;   in Loop: Header=BB70_3 Depth=1
	v_mul_hi_u32 v16, v9, v7
	v_mul_lo_u32 v17, v16, s55
	v_sub_u32_e32 v17, v9, v17
	v_add_u32_e32 v18, 1, v16
	v_cmp_le_u32_e32 vcc, s55, v17
	v_cndmask_b32_e32 v16, v16, v18, vcc
	v_subrev_u32_e32 v18, s55, v17
	v_cndmask_b32_e32 v17, v17, v18, vcc
	v_add_u32_e32 v18, 1, v16
	v_cmp_le_u32_e32 vcc, s55, v17
	v_cndmask_b32_e32 v17, v16, v18, vcc
	v_mul_lo_u32 v16, v17, s55
	v_sub_u32_e32 v9, v9, v16
	v_mul_lo_u32 v16, v9, s15
	v_mad_u64_u32 v[18:19], s[38:39], v17, s14, v[16:17]
	v_mov_b32_e32 v19, v5
.LBB70_15:                              ;   in Loop: Header=BB70_3 Depth=1
	s_or_b64 exec, exec, s[0:1]
	v_pk_mov_b32 v[20:21], 0, 0
	v_add_u32_e32 v9, 3, v0
	v_cmp_lt_i32_e32 vcc, 3, v32
	v_pk_mov_b32 v[16:17], v[20:21], v[20:21] op_sel:[0,1]
	s_and_saveexec_b64 s[38:39], vcc
	s_cbranch_execz .LBB70_17
; %bb.16:                               ;   in Loop: Header=BB70_3 Depth=1
	v_mul_hi_u32 v16, v9, v3
	v_mul_lo_u32 v17, v16, s54
	v_sub_u32_e32 v17, v9, v17
	v_add_u32_e32 v22, 1, v16
	v_cmp_le_u32_e64 s[0:1], s54, v17
	v_cndmask_b32_e64 v16, v16, v22, s[0:1]
	v_subrev_u32_e32 v22, s54, v17
	v_cndmask_b32_e64 v17, v17, v22, s[0:1]
	v_add_u32_e32 v22, 1, v16
	v_cmp_le_u32_e64 s[0:1], s54, v17
	v_cndmask_b32_e64 v17, v16, v22, s[0:1]
	v_mul_lo_u32 v16, v17, s54
	v_sub_u32_e32 v16, v9, v16
	v_mul_lo_u32 v16, v16, s7
	v_mad_u64_u32 v[16:17], s[0:1], v17, s6, v[16:17]
	v_mov_b32_e32 v17, v5
.LBB70_17:                              ;   in Loop: Header=BB70_3 Depth=1
	s_or_b64 exec, exec, s[38:39]
	s_and_saveexec_b64 s[0:1], vcc
	s_cbranch_execz .LBB70_19
; %bb.18:                               ;   in Loop: Header=BB70_3 Depth=1
	v_mul_hi_u32 v20, v9, v7
	v_mul_lo_u32 v21, v20, s55
	v_sub_u32_e32 v21, v9, v21
	v_add_u32_e32 v22, 1, v20
	v_cmp_le_u32_e32 vcc, s55, v21
	v_cndmask_b32_e32 v20, v20, v22, vcc
	v_subrev_u32_e32 v22, s55, v21
	v_cndmask_b32_e32 v21, v21, v22, vcc
	v_add_u32_e32 v22, 1, v20
	v_cmp_le_u32_e32 vcc, s55, v21
	v_cndmask_b32_e32 v21, v20, v22, vcc
	v_mul_lo_u32 v20, v21, s55
	v_sub_u32_e32 v9, v9, v20
	v_mul_lo_u32 v20, v9, s15
	v_mad_u64_u32 v[20:21], s[38:39], v21, s14, v[20:21]
	v_mov_b32_e32 v21, v5
.LBB70_19:                              ;   in Loop: Header=BB70_3 Depth=1
	s_or_b64 exec, exec, s[0:1]
	v_lshlrev_b64 v[22:23], 2, v[4:5]
	v_mov_b32_e32 v4, s13
	v_add_co_u32_e32 v22, vcc, s12, v22
	v_addc_co_u32_e32 v23, vcc, v4, v23, vcc
	v_lshlrev_b64 v[14:15], 2, v[14:15]
	v_add_co_u32_e32 v14, vcc, s12, v14
	v_addc_co_u32_e32 v15, vcc, v4, v15, vcc
	v_lshlrev_b64 v[18:19], 2, v[18:19]
	;; [unrolled: 3-line block ×3, first 2 shown]
	v_add_co_u32_e32 v20, vcc, s12, v20
	v_addc_co_u32_e32 v21, vcc, v4, v21, vcc
	global_load_dword v4, v[22:23], off
	global_load_dword v9, v[14:15], off
	;; [unrolled: 1-line block ×4, first 2 shown]
	s_andn2_b64 vcc, exec, s[4:5]
	v_pk_mov_b32 v[14:15], s[10:11], s[10:11] op_sel:[0,1]
	v_pk_mov_b32 v[18:19], s[8:9], s[8:9] op_sel:[0,1]
	s_cbranch_vccnz .LBB70_21
; %bb.20:                               ;   in Loop: Header=BB70_3 Depth=1
	v_pk_mov_b32 v[14:15], s[10:11], s[10:11] op_sel:[0,1]
	flat_load_dwordx2 v[14:15], v[14:15]
	v_pk_mov_b32 v[18:19], s[8:9], s[8:9] op_sel:[0,1]
	flat_load_dwordx2 v[18:19], v[18:19]
	v_mov_b32_e32 v20, s17
	s_waitcnt vmcnt(0) lgkmcnt(0)
	v_add_co_u32_e32 v14, vcc, s16, v14
	v_addc_co_u32_e32 v15, vcc, v15, v20, vcc
.LBB70_21:                              ;   in Loop: Header=BB70_3 Depth=1
	v_alignbit_b32 v28, v15, v14, 2
	v_lshrrev_b32_e32 v29, 2, v15
	v_xor_b32_e32 v20, v6, v18
	v_and_b32_e32 v36, 3, v14
	v_mad_u64_u32 v[14:15], s[0:1], v28, s60, 0
	v_xor_b32_e32 v20, v20, v29
	v_xor_b32_e32 v15, v15, v19
	v_add_u32_e32 v41, 0xbb67ae85, v19
	v_mad_u64_u32 v[20:21], s[0:1], v20, s60, 0
	v_mad_u64_u32 v[22:23], s[0:1], v15, s56, 0
	v_xor_b32_e32 v21, v41, v21
	v_add_u32_e32 v40, 0x9e3779b9, v18
	v_xor_b32_e32 v15, v2, v23
	v_xor_b32_e32 v21, v21, v14
	v_xor_b32_e32 v15, v15, v40
	v_add_u32_e32 v42, 0x3c6ef372, v18
	v_mad_u64_u32 v[24:25], s[0:1], v21, s56, 0
	v_add_u32_e32 v43, 0x76cf5d0a, v19
	v_mad_u64_u32 v[14:15], s[0:1], v15, s60, 0
	v_xor_b32_e32 v21, v42, v25
	v_xor_b32_e32 v21, v21, v22
	v_xor_b32_e32 v15, v43, v15
	v_xor_b32_e32 v15, v15, v20
	v_add_u32_e32 v45, 0x32370b8f, v19
	v_mad_u64_u32 v[20:21], s[0:1], v21, s60, 0
	v_add_u32_e32 v44, 0xdaa66d2b, v18
	v_mad_u64_u32 v[22:23], s[0:1], v15, s56, 0
	v_xor_b32_e32 v21, v45, v21
	;; [unrolled: 8-line block ×5, first 2 shown]
	v_xor_b32_e32 v21, v21, v22
	v_xor_b32_e32 v15, v51, v15
	;; [unrolled: 1-line block ×3, first 2 shown]
	v_add_u32_e32 v53, 0x1fd5c5a3, v19
	v_mad_u64_u32 v[20:21], s[0:1], v21, s60, 0
	v_xor_b32_e32 v21, v53, v21
	v_xor_b32_e32 v14, v21, v14
	v_add_u32_e32 v52, 0x5384540f, v18
	v_mad_u64_u32 v[26:27], s[0:1], v15, s56, 0
	v_add_co_u32_e32 v38, vcc, s61, v18
	v_mad_u64_u32 v[22:23], s[0:1], v14, s56, 0
	v_xor_b32_e32 v15, v52, v27
	v_xor_b32_e32 v14, v38, v23
	;; [unrolled: 1-line block ×4, first 2 shown]
	v_mad_u64_u32 v[24:25], s[0:1], v15, s60, 0
	v_mad_u64_u32 v[14:15], s[0:1], v14, s60, 0
	v_add_u32_e32 v39, 0x96a522ad, v19
	v_xor_b32_e32 v15, v15, v24
	v_xor_b32_e32 v37, v39, v15
	v_add_co_u32_e32 v15, vcc, 1, v28
	v_cndmask_b32_e64 v24, 0, 1, vcc
	v_addc_co_u32_e32 v30, vcc, 0, v29, vcc
	v_cmp_eq_u32_e32 vcc, 0, v30
	v_cndmask_b32_e32 v24, 0, v24, vcc
	v_add_u32_e32 v28, v24, v1
	v_cmp_eq_u32_e32 vcc, 0, v28
	v_mad_u64_u32 v[26:27], s[0:1], v15, s60, 0
	v_mad_u64_u32 v[28:29], s[0:1], v28, s56, 0
	v_add_u32_e32 v23, 0x8ff34781, v18
	v_cndmask_b32_e32 v24, 0, v24, vcc
	v_xor_b32_e32 v15, v29, v18
	v_xor_b32_e32 v18, v27, v19
	;; [unrolled: 1-line block ×4, first 2 shown]
	v_mad_u64_u32 v[30:31], s[0:1], v24, s56, 0
	v_add_u32_e32 v21, 0xdb3d7428, v19
	v_mad_u64_u32 v[18:19], s[0:1], v15, s60, 0
	v_xor_b32_e32 v15, v40, v31
	v_xor_b32_e32 v15, v15, v28
	v_xor_b32_e32 v19, v41, v19
	v_xor_b32_e32 v19, v19, v26
	v_mad_u64_u32 v[26:27], s[0:1], v15, s60, 0
	v_mad_u64_u32 v[28:29], s[0:1], v19, s56, 0
	v_xor_b32_e32 v19, v43, v27
	v_xor_b32_e32 v15, v42, v29
	v_xor_b32_e32 v24, v19, v18
	v_xor_b32_e32 v15, v15, v30
	v_mad_u64_u32 v[30:31], s[0:1], v24, s56, 0
	v_mad_u64_u32 v[18:19], s[0:1], v15, s60, 0
	v_xor_b32_e32 v15, v44, v31
	v_xor_b32_e32 v15, v15, v28
	v_xor_b32_e32 v19, v45, v19
	v_xor_b32_e32 v19, v19, v26
	v_mad_u64_u32 v[26:27], s[0:1], v15, s60, 0
	v_mad_u64_u32 v[28:29], s[0:1], v19, s56, 0
	v_xor_b32_e32 v19, v47, v27
	v_xor_b32_e32 v15, v46, v29
	v_xor_b32_e32 v24, v19, v18
	v_xor_b32_e32 v15, v15, v30
	v_mad_u64_u32 v[30:31], s[0:1], v24, s56, 0
	v_mad_u64_u32 v[18:19], s[0:1], v15, s60, 0
	v_xor_b32_e32 v15, v48, v31
	v_xor_b32_e32 v15, v15, v28
	v_xor_b32_e32 v19, v49, v19
	v_xor_b32_e32 v19, v19, v26
	v_mad_u64_u32 v[28:29], s[0:1], v15, s60, 0
	v_mad_u64_u32 v[40:41], s[0:1], v19, s56, 0
	v_xor_b32_e32 v19, v51, v29
	v_xor_b32_e32 v15, v50, v41
	v_xor_b32_e32 v24, v19, v18
	v_xor_b32_e32 v15, v15, v30
	v_mad_u64_u32 v[26:27], s[0:1], v24, s56, 0
	v_mad_u64_u32 v[18:19], s[0:1], v15, s60, 0
	v_xor_b32_e32 v15, v52, v27
	v_xor_b32_e32 v15, v15, v40
	v_xor_b32_e32 v19, v53, v19
	v_xor_b32_e32 v19, v19, v28
	v_mad_u64_u32 v[28:29], s[0:1], v15, s60, 0
	v_xor_b32_e32 v15, v21, v29
	v_xor_b32_e32 v15, v15, v18
	v_mad_u64_u32 v[30:31], s[0:1], v19, s56, 0
	v_mad_u64_u32 v[18:19], s[0:1], v15, s56, 0
	v_xor_b32_e32 v15, v19, v30
	v_xor_b32_e32 v15, v23, v15
	v_cmp_lt_i32_e32 vcc, 1, v36
                                        ; implicit-def: $vgpr27
	s_and_saveexec_b64 s[0:1], vcc
	s_xor_b64 s[0:1], exec, s[0:1]
	s_cbranch_execz .LBB70_27
; %bb.22:                               ;   in Loop: Header=BB70_3 Depth=1
	v_cmp_lt_i32_e32 vcc, 2, v36
                                        ; implicit-def: $vgpr27
	s_and_saveexec_b64 s[38:39], vcc
	s_xor_b64 s[38:39], exec, s[38:39]
; %bb.23:                               ;   in Loop: Header=BB70_3 Depth=1
	v_xor_b32_e32 v19, v38, v31
	v_xor_b32_e32 v19, v19, v26
	v_mul_hi_u32 v19, v19, s60
	v_xor_b32_e32 v19, v19, v28
	v_xor_b32_e32 v27, v39, v19
                                        ; implicit-def: $vgpr37
; %bb.24:                               ;   in Loop: Header=BB70_3 Depth=1
	s_andn2_saveexec_b64 s[38:39], s[38:39]
; %bb.25:                               ;   in Loop: Header=BB70_3 Depth=1
	v_mov_b32_e32 v27, v18
	v_mov_b32_e32 v18, v15
	;; [unrolled: 1-line block ×4, first 2 shown]
; %bb.26:                               ;   in Loop: Header=BB70_3 Depth=1
	s_or_b64 exec, exec, s[38:39]
                                        ; implicit-def: $vgpr20_vgpr21
                                        ; implicit-def: $vgpr22_vgpr23
                                        ; implicit-def: $vgpr36
                                        ; implicit-def: $vgpr37
                                        ; implicit-def: $vgpr24_vgpr25
                                        ; implicit-def: $vgpr21
                                        ; implicit-def: $vgpr23
.LBB70_27:                              ;   in Loop: Header=BB70_3 Depth=1
	s_andn2_saveexec_b64 s[0:1], s[0:1]
	s_cbranch_execz .LBB70_31
; %bb.28:                               ;   in Loop: Header=BB70_3 Depth=1
	v_xor_b32_e32 v18, v21, v25
	v_xor_b32_e32 v18, v18, v20
	v_mad_u64_u32 v[20:21], s[38:39], v18, s56, 0
	v_xor_b32_e32 v18, v21, v22
	v_xor_b32_e32 v19, v23, v18
	v_cmp_eq_u32_e32 vcc, 1, v36
	v_mov_b32_e32 v27, v14
	v_mov_b32_e32 v18, v37
	;; [unrolled: 1-line block ×3, first 2 shown]
	s_and_saveexec_b64 s[38:39], vcc
; %bb.29:                               ;   in Loop: Header=BB70_3 Depth=1
	v_mov_b32_e32 v27, v15
	v_mov_b32_e32 v18, v14
	;; [unrolled: 1-line block ×4, first 2 shown]
; %bb.30:                               ;   in Loop: Header=BB70_3 Depth=1
	s_or_b64 exec, exec, s[38:39]
	v_mov_b32_e32 v14, v19
	v_mov_b32_e32 v15, v21
.LBB70_31:                              ;   in Loop: Header=BB70_3 Depth=1
	s_or_b64 exec, exec, s[0:1]
	v_min_i32_e32 v19, 4, v32
	v_cmp_lt_i32_e32 vcc, 2, v19
	s_mov_b64 s[38:39], 0
	s_mov_b64 s[50:51], 0
                                        ; implicit-def: $sgpr40_sgpr41
                                        ; implicit-def: $sgpr42_sgpr43
                                        ; implicit-def: $sgpr44_sgpr45
	s_and_saveexec_b64 s[0:1], vcc
	s_xor_b64 s[46:47], exec, s[0:1]
	s_cbranch_execz .LBB70_41
; %bb.32:                               ;   in Loop: Header=BB70_3 Depth=1
	v_cmp_lt_i32_e32 vcc, 3, v19
	s_mov_b64 s[44:45], -1
                                        ; implicit-def: $sgpr40_sgpr41
                                        ; implicit-def: $sgpr48_sgpr49
	s_and_saveexec_b64 s[42:43], vcc
	s_cbranch_execz .LBB70_36
; %bb.33:                               ;   in Loop: Header=BB70_3 Depth=1
	s_waitcnt vmcnt(0)
	v_cmp_le_f32_e32 vcc, 0, v35
	v_cmp_ge_f32_e64 s[0:1], 1.0, v35
	s_and_b64 s[48:49], vcc, s[0:1]
	s_mov_b64 s[40:41], 0
	s_mov_b64 s[0:1], 0
	s_and_saveexec_b64 s[44:45], s[48:49]
	s_cbranch_execz .LBB70_35
; %bb.34:                               ;   in Loop: Header=BB70_3 Depth=1
	v_cvt_f32_u32_e32 v20, v27
	v_mov_b32_e32 v21, 0x2f800000
	v_lshlrev_b64 v[16:17], 3, v[16:17]
	v_add_co_u32_e32 v16, vcc, s2, v16
	v_fmac_f32_e32 v21, 0x2f800000, v20
	v_mov_b32_e32 v20, s3
	v_addc_co_u32_e32 v17, vcc, v20, v17, vcc
	v_cmp_le_f32_e32 vcc, v21, v35
	s_mov_b64 s[0:1], exec
	v_cndmask_b32_e32 v21, 0, v33, vcc
	v_mov_b32_e32 v20, v5
	global_store_dwordx2 v[16:17], v[20:21], off
.LBB70_35:                              ;   in Loop: Header=BB70_3 Depth=1
	s_or_b64 exec, exec, s[44:45]
	s_mov_b64 s[48:49], -1
	s_orn2_b64 s[44:45], s[0:1], exec
.LBB70_36:                              ;   in Loop: Header=BB70_3 Depth=1
	s_or_b64 exec, exec, s[42:43]
	s_mov_b64 s[0:1], 0
	s_mov_b64 s[50:51], s[40:41]
	s_and_saveexec_b64 s[42:43], s[44:45]
	s_cbranch_execz .LBB70_40
; %bb.37:                               ;   in Loop: Header=BB70_3 Depth=1
	s_waitcnt vmcnt(1)
	v_cmp_le_f32_e32 vcc, 0, v34
	v_cmp_ge_f32_e64 s[0:1], 1.0, v34
	s_and_b64 s[44:45], vcc, s[0:1]
	s_mov_b64 s[0:1], 0
	s_and_saveexec_b64 s[50:51], s[44:45]
	s_xor_b64 s[44:45], exec, s[50:51]
	s_cbranch_execz .LBB70_39
; %bb.38:                               ;   in Loop: Header=BB70_3 Depth=1
	v_cvt_f32_u32_e32 v16, v18
	v_mov_b32_e32 v17, 0x2f800000
	v_lshlrev_b64 v[12:13], 3, v[12:13]
	v_add_co_u32_e32 v12, vcc, s2, v12
	v_fmac_f32_e32 v17, 0x2f800000, v16
	v_mov_b32_e32 v16, s3
	v_addc_co_u32_e32 v13, vcc, v16, v13, vcc
	v_cmp_le_f32_e32 vcc, v17, v34
	v_cndmask_b32_e32 v17, 0, v33, vcc
	v_mov_b32_e32 v16, v5
	s_mov_b64 s[0:1], exec
	global_store_dwordx2 v[12:13], v[16:17], off
.LBB70_39:                              ;   in Loop: Header=BB70_3 Depth=1
	s_or_b64 exec, exec, s[44:45]
	s_andn2_b64 s[50:51], s[40:41], exec
	s_or_b64 s[40:41], s[40:41], exec
	s_andn2_b64 s[48:49], s[48:49], exec
	s_and_b64 s[0:1], s[0:1], exec
.LBB70_40:                              ;   in Loop: Header=BB70_3 Depth=1
	s_or_b64 exec, exec, s[42:43]
	s_and_b64 s[44:45], s[50:51], exec
	s_and_b64 s[42:43], s[40:41], exec
	;; [unrolled: 1-line block ×4, first 2 shown]
.LBB70_41:                              ;   in Loop: Header=BB70_3 Depth=1
	s_andn2_saveexec_b64 s[0:1], s[46:47]
; %bb.42:                               ;   in Loop: Header=BB70_3 Depth=1
	v_cmp_lt_i32_e32 vcc, 1, v19
	s_andn2_b64 s[46:47], s[50:51], exec
	s_and_b64 s[48:49], vcc, exec
	s_mov_b64 s[38:39], exec
	s_andn2_b64 s[44:45], s[44:45], exec
	s_andn2_b64 s[42:43], s[42:43], exec
	;; [unrolled: 1-line block ×3, first 2 shown]
	s_or_b64 s[50:51], s[46:47], s[48:49]
; %bb.43:                               ;   in Loop: Header=BB70_3 Depth=1
	s_or_b64 exec, exec, s[0:1]
	s_mov_b64 s[46:47], 0
	s_mov_b64 s[0:1], 0
	;; [unrolled: 1-line block ×3, first 2 shown]
	s_and_saveexec_b64 s[52:53], s[50:51]
	s_cbranch_execnz .LBB70_46
; %bb.44:                               ;   in Loop: Header=BB70_3 Depth=1
	s_or_b64 exec, exec, s[52:53]
	s_and_saveexec_b64 s[50:51], s[38:39]
	s_cbranch_execnz .LBB70_49
.LBB70_45:                              ;   in Loop: Header=BB70_3 Depth=1
	s_or_b64 exec, exec, s[50:51]
	s_and_saveexec_b64 s[38:39], s[0:1]
	s_cbranch_execnz .LBB70_50
	s_branch .LBB70_53
.LBB70_46:                              ;   in Loop: Header=BB70_3 Depth=1
	s_waitcnt vmcnt(2)
	v_cmp_le_f32_e32 vcc, 0, v9
	v_cmp_ge_f32_e64 s[0:1], 1.0, v9
	s_and_b64 s[48:49], vcc, s[0:1]
	s_mov_b64 s[0:1], 0
	s_and_saveexec_b64 s[50:51], s[48:49]
	s_xor_b64 s[48:49], exec, s[50:51]
	s_cbranch_execz .LBB70_48
; %bb.47:                               ;   in Loop: Header=BB70_3 Depth=1
	v_cvt_f32_u32_e32 v12, v15
	v_mov_b32_e32 v13, 0x2f800000
	v_lshlrev_b64 v[10:11], 3, v[10:11]
	v_add_co_u32_e32 v10, vcc, s2, v10
	v_fmac_f32_e32 v13, 0x2f800000, v12
	v_mov_b32_e32 v12, s3
	v_addc_co_u32_e32 v11, vcc, v12, v11, vcc
	v_cmp_le_f32_e32 vcc, v13, v9
	v_cndmask_b32_e32 v13, 0, v33, vcc
	v_mov_b32_e32 v12, v5
	s_mov_b64 s[0:1], exec
	global_store_dwordx2 v[10:11], v[12:13], off
.LBB70_48:                              ;   in Loop: Header=BB70_3 Depth=1
	s_or_b64 exec, exec, s[48:49]
	s_andn2_b64 s[48:49], s[44:45], exec
	s_or_b64 s[44:45], s[44:45], exec
	s_andn2_b64 s[42:43], s[42:43], exec
	s_andn2_b64 s[40:41], s[40:41], exec
	s_and_b64 s[0:1], s[0:1], exec
	s_andn2_b64 s[38:39], s[38:39], exec
	s_or_b64 exec, exec, s[52:53]
	s_and_saveexec_b64 s[50:51], s[38:39]
	s_cbranch_execz .LBB70_45
.LBB70_49:                              ;   in Loop: Header=BB70_3 Depth=1
	v_cmp_eq_u32_e32 vcc, 1, v19
	s_andn2_b64 s[0:1], s[0:1], exec
	s_and_b64 s[38:39], vcc, exec
	s_mov_b64 s[46:47], exec
	s_andn2_b64 s[48:49], s[48:49], exec
	s_andn2_b64 s[44:45], s[44:45], exec
	;; [unrolled: 1-line block ×4, first 2 shown]
	s_or_b64 s[0:1], s[0:1], s[38:39]
	s_or_b64 exec, exec, s[50:51]
	s_and_saveexec_b64 s[38:39], s[0:1]
	s_cbranch_execz .LBB70_53
.LBB70_50:                              ;   in Loop: Header=BB70_3 Depth=1
	s_waitcnt vmcnt(3)
	v_cmp_le_f32_e32 vcc, 0, v4
	v_cmp_ge_f32_e64 s[0:1], 1.0, v4
	s_and_b64 s[52:53], vcc, s[0:1]
	s_mov_b64 s[0:1], 0
	s_and_saveexec_b64 s[50:51], s[52:53]
	s_cbranch_execz .LBB70_52
; %bb.51:                               ;   in Loop: Header=BB70_3 Depth=1
	v_cvt_f32_u32_e32 v10, v14
	s_waitcnt vmcnt(2)
	v_mov_b32_e32 v9, v5
	v_mov_b32_e32 v11, 0x2f800000
	v_lshlrev_b64 v[8:9], 3, v[8:9]
	v_fmac_f32_e32 v11, 0x2f800000, v10
	v_mov_b32_e32 v10, s3
	v_add_co_u32_e32 v8, vcc, s2, v8
	v_addc_co_u32_e32 v9, vcc, v10, v9, vcc
	v_cmp_le_f32_e32 vcc, v11, v4
	s_mov_b64 s[0:1], exec
	v_cndmask_b32_e32 v11, 0, v33, vcc
	v_mov_b32_e32 v10, v5
	global_store_dwordx2 v[8:9], v[10:11], off
.LBB70_52:                              ;   in Loop: Header=BB70_3 Depth=1
	s_or_b64 exec, exec, s[50:51]
	s_andn2_b64 s[46:47], s[46:47], exec
	s_and_b64 s[0:1], s[0:1], exec
	s_or_b64 s[48:49], s[48:49], exec
	s_andn2_b64 s[44:45], s[44:45], exec
	s_andn2_b64 s[42:43], s[42:43], exec
	;; [unrolled: 1-line block ×3, first 2 shown]
	s_or_b64 s[46:47], s[46:47], s[0:1]
.LBB70_53:                              ;   in Loop: Header=BB70_3 Depth=1
	s_or_b64 exec, exec, s[38:39]
	s_andn2_b64 s[36:37], s[36:37], exec
	s_and_b64 s[38:39], s[48:49], exec
	s_or_b64 s[36:37], s[36:37], s[38:39]
	s_andn2_b64 s[34:35], s[34:35], exec
	s_and_b64 s[38:39], s[44:45], exec
	s_or_b64 s[34:35], s[34:35], s[38:39]
	;; [unrolled: 3-line block ×3, first 2 shown]
	s_andn2_b64 s[28:29], s[28:29], exec
	s_and_b64 s[38:39], s[40:41], exec
	s_mov_b64 s[0:1], -1
	s_or_b64 s[28:29], s[28:29], s[38:39]
	s_and_saveexec_b64 s[38:39], s[46:47]
	s_cbranch_execz .LBB70_2
; %bb.54:                               ;   in Loop: Header=BB70_3 Depth=1
	v_add_u32_e32 v0, s57, v0
	v_cmp_le_u32_e32 vcc, s33, v0
	v_subrev_u32_e32 v32, s57, v32
	s_andn2_b64 s[36:37], s[36:37], exec
	s_andn2_b64 s[34:35], s[34:35], exec
	s_andn2_b64 s[30:31], s[30:31], exec
	s_andn2_b64 s[28:29], s[28:29], exec
	s_orn2_b64 s[0:1], vcc, exec
	s_branch .LBB70_2
.LBB70_55:
	s_or_b64 exec, exec, s[20:21]
	s_xor_b64 s[6:7], s[26:27], -1
	s_xor_b64 s[8:9], s[24:25], -1
	;; [unrolled: 1-line block ×3, first 2 shown]
	s_mov_b64 s[2:3], 0
	s_and_saveexec_b64 s[4:5], s[0:1]
	s_xor_b64 s[0:1], exec, s[4:5]
	s_cbranch_execnz .LBB70_60
; %bb.56:
	s_andn2_saveexec_b64 s[0:1], s[0:1]
	s_cbranch_execnz .LBB70_68
.LBB70_57:
	s_or_b64 exec, exec, s[0:1]
	s_and_b64 exec, exec, s[2:3]
.LBB70_58:
	; divergent unreachable
.LBB70_59:
	s_endpgm
.LBB70_60:
	s_mov_b64 s[4:5], 0
	s_and_saveexec_b64 s[2:3], s[8:9]
	s_xor_b64 s[2:3], exec, s[2:3]
	s_cbranch_execz .LBB70_66
; %bb.61:
	s_and_saveexec_b64 s[8:9], s[6:7]
	s_xor_b64 s[6:7], exec, s[8:9]
	s_cbranch_execz .LBB70_64
; %bb.62:
	s_and_saveexec_b64 s[8:9], s[18:19]
	s_xor_b64 s[8:9], exec, s[8:9]
	s_cbranch_execnz .LBB70_71
.LBB70_63:
	s_or_b64 exec, exec, s[8:9]
	s_and_b64 s[4:5], s[4:5], exec
.LBB70_64:
	s_andn2_saveexec_b64 s[6:7], s[6:7]
	s_cbranch_execnz .LBB70_70
.LBB70_65:
	s_or_b64 exec, exec, s[6:7]
	s_and_b64 s[4:5], s[4:5], exec
.LBB70_66:
	s_andn2_saveexec_b64 s[2:3], s[2:3]
	s_cbranch_execnz .LBB70_69
.LBB70_67:
	s_or_b64 exec, exec, s[2:3]
	s_and_b64 s[2:3], s[4:5], exec
	s_andn2_saveexec_b64 s[0:1], s[0:1]
	s_cbranch_execz .LBB70_57
.LBB70_68:
	s_or_b64 s[2:3], s[2:3], exec
	s_trap 2
	s_or_b64 exec, exec, s[0:1]
	s_and_b64 exec, exec, s[2:3]
	s_cbranch_execnz .LBB70_58
	s_branch .LBB70_59
.LBB70_69:
	s_or_b64 s[4:5], s[4:5], exec
	s_trap 2
	s_branch .LBB70_67
.LBB70_70:
	s_trap 2
	s_or_b64 s[4:5], s[4:5], exec
	s_branch .LBB70_65
.LBB70_71:
	s_mov_b64 s[4:5], exec
	s_trap 2
	s_branch .LBB70_63
	.section	.rodata,"a",@progbits
	.p2align	6, 0x0
	.amdhsa_kernel _ZN2at4cuda12_GLOBAL__N_121kernelPointwiseApply2IZNS_6native9templates4cuda28bernoulli_tensor_cuda_kernelIdfEEvRKNS_10TensorBaseES9_NS_15PhiloxCudaStateEEUliRdSB_SB_SB_RKfSD_SD_SD_E_dSC_jLi2ELi2ELi4ELi512ELi2EEEvNS0_6detail10TensorInfoIT0_T2_EENSG_IT1_SI_EESI_T_
		.amdhsa_group_segment_fixed_size 0
		.amdhsa_private_segment_fixed_size 0
		.amdhsa_kernarg_size 728
		.amdhsa_user_sgpr_count 6
		.amdhsa_user_sgpr_private_segment_buffer 1
		.amdhsa_user_sgpr_dispatch_ptr 0
		.amdhsa_user_sgpr_queue_ptr 0
		.amdhsa_user_sgpr_kernarg_segment_ptr 1
		.amdhsa_user_sgpr_dispatch_id 0
		.amdhsa_user_sgpr_flat_scratch_init 0
		.amdhsa_user_sgpr_kernarg_preload_length 0
		.amdhsa_user_sgpr_kernarg_preload_offset 0
		.amdhsa_user_sgpr_private_segment_size 0
		.amdhsa_uses_dynamic_stack 0
		.amdhsa_system_sgpr_private_segment_wavefront_offset 0
		.amdhsa_system_sgpr_workgroup_id_x 1
		.amdhsa_system_sgpr_workgroup_id_y 0
		.amdhsa_system_sgpr_workgroup_id_z 0
		.amdhsa_system_sgpr_workgroup_info 0
		.amdhsa_system_vgpr_workitem_id 0
		.amdhsa_next_free_vgpr 54
		.amdhsa_next_free_sgpr 62
		.amdhsa_accum_offset 56
		.amdhsa_reserve_vcc 1
		.amdhsa_reserve_flat_scratch 0
		.amdhsa_float_round_mode_32 0
		.amdhsa_float_round_mode_16_64 0
		.amdhsa_float_denorm_mode_32 3
		.amdhsa_float_denorm_mode_16_64 3
		.amdhsa_dx10_clamp 1
		.amdhsa_ieee_mode 1
		.amdhsa_fp16_overflow 0
		.amdhsa_tg_split 0
		.amdhsa_exception_fp_ieee_invalid_op 0
		.amdhsa_exception_fp_denorm_src 0
		.amdhsa_exception_fp_ieee_div_zero 0
		.amdhsa_exception_fp_ieee_overflow 0
		.amdhsa_exception_fp_ieee_underflow 0
		.amdhsa_exception_fp_ieee_inexact 0
		.amdhsa_exception_int_div_zero 0
	.end_amdhsa_kernel
	.section	.text._ZN2at4cuda12_GLOBAL__N_121kernelPointwiseApply2IZNS_6native9templates4cuda28bernoulli_tensor_cuda_kernelIdfEEvRKNS_10TensorBaseES9_NS_15PhiloxCudaStateEEUliRdSB_SB_SB_RKfSD_SD_SD_E_dSC_jLi2ELi2ELi4ELi512ELi2EEEvNS0_6detail10TensorInfoIT0_T2_EENSG_IT1_SI_EESI_T_,"axG",@progbits,_ZN2at4cuda12_GLOBAL__N_121kernelPointwiseApply2IZNS_6native9templates4cuda28bernoulli_tensor_cuda_kernelIdfEEvRKNS_10TensorBaseES9_NS_15PhiloxCudaStateEEUliRdSB_SB_SB_RKfSD_SD_SD_E_dSC_jLi2ELi2ELi4ELi512ELi2EEEvNS0_6detail10TensorInfoIT0_T2_EENSG_IT1_SI_EESI_T_,comdat
.Lfunc_end70:
	.size	_ZN2at4cuda12_GLOBAL__N_121kernelPointwiseApply2IZNS_6native9templates4cuda28bernoulli_tensor_cuda_kernelIdfEEvRKNS_10TensorBaseES9_NS_15PhiloxCudaStateEEUliRdSB_SB_SB_RKfSD_SD_SD_E_dSC_jLi2ELi2ELi4ELi512ELi2EEEvNS0_6detail10TensorInfoIT0_T2_EENSG_IT1_SI_EESI_T_, .Lfunc_end70-_ZN2at4cuda12_GLOBAL__N_121kernelPointwiseApply2IZNS_6native9templates4cuda28bernoulli_tensor_cuda_kernelIdfEEvRKNS_10TensorBaseES9_NS_15PhiloxCudaStateEEUliRdSB_SB_SB_RKfSD_SD_SD_E_dSC_jLi2ELi2ELi4ELi512ELi2EEEvNS0_6detail10TensorInfoIT0_T2_EENSG_IT1_SI_EESI_T_
                                        ; -- End function
	.section	.AMDGPU.csdata,"",@progbits
; Kernel info:
; codeLenInByte = 3460
; NumSgprs: 66
; NumVgprs: 54
; NumAgprs: 0
; TotalNumVgprs: 54
; ScratchSize: 0
; MemoryBound: 0
; FloatMode: 240
; IeeeMode: 1
; LDSByteSize: 0 bytes/workgroup (compile time only)
; SGPRBlocks: 8
; VGPRBlocks: 6
; NumSGPRsForWavesPerEU: 66
; NumVGPRsForWavesPerEU: 54
; AccumOffset: 56
; Occupancy: 8
; WaveLimiterHint : 1
; COMPUTE_PGM_RSRC2:SCRATCH_EN: 0
; COMPUTE_PGM_RSRC2:USER_SGPR: 6
; COMPUTE_PGM_RSRC2:TRAP_HANDLER: 0
; COMPUTE_PGM_RSRC2:TGID_X_EN: 1
; COMPUTE_PGM_RSRC2:TGID_Y_EN: 0
; COMPUTE_PGM_RSRC2:TGID_Z_EN: 0
; COMPUTE_PGM_RSRC2:TIDIG_COMP_CNT: 0
; COMPUTE_PGM_RSRC3_GFX90A:ACCUM_OFFSET: 13
; COMPUTE_PGM_RSRC3_GFX90A:TG_SPLIT: 0
	.section	.text._ZN2at4cuda12_GLOBAL__N_121kernelPointwiseApply2IZNS_6native9templates4cuda28bernoulli_tensor_cuda_kernelIdfEEvRKNS_10TensorBaseES9_NS_15PhiloxCudaStateEEUliRdSB_SB_SB_RKfSD_SD_SD_E_dSC_jLi2ELin1ELi4ELi512ELi2EEEvNS0_6detail10TensorInfoIT0_T2_EENSG_IT1_SI_EESI_T_,"axG",@progbits,_ZN2at4cuda12_GLOBAL__N_121kernelPointwiseApply2IZNS_6native9templates4cuda28bernoulli_tensor_cuda_kernelIdfEEvRKNS_10TensorBaseES9_NS_15PhiloxCudaStateEEUliRdSB_SB_SB_RKfSD_SD_SD_E_dSC_jLi2ELin1ELi4ELi512ELi2EEEvNS0_6detail10TensorInfoIT0_T2_EENSG_IT1_SI_EESI_T_,comdat
	.globl	_ZN2at4cuda12_GLOBAL__N_121kernelPointwiseApply2IZNS_6native9templates4cuda28bernoulli_tensor_cuda_kernelIdfEEvRKNS_10TensorBaseES9_NS_15PhiloxCudaStateEEUliRdSB_SB_SB_RKfSD_SD_SD_E_dSC_jLi2ELin1ELi4ELi512ELi2EEEvNS0_6detail10TensorInfoIT0_T2_EENSG_IT1_SI_EESI_T_ ; -- Begin function _ZN2at4cuda12_GLOBAL__N_121kernelPointwiseApply2IZNS_6native9templates4cuda28bernoulli_tensor_cuda_kernelIdfEEvRKNS_10TensorBaseES9_NS_15PhiloxCudaStateEEUliRdSB_SB_SB_RKfSD_SD_SD_E_dSC_jLi2ELin1ELi4ELi512ELi2EEEvNS0_6detail10TensorInfoIT0_T2_EENSG_IT1_SI_EESI_T_
	.p2align	8
	.type	_ZN2at4cuda12_GLOBAL__N_121kernelPointwiseApply2IZNS_6native9templates4cuda28bernoulli_tensor_cuda_kernelIdfEEvRKNS_10TensorBaseES9_NS_15PhiloxCudaStateEEUliRdSB_SB_SB_RKfSD_SD_SD_E_dSC_jLi2ELin1ELi4ELi512ELi2EEEvNS0_6detail10TensorInfoIT0_T2_EENSG_IT1_SI_EESI_T_,@function
_ZN2at4cuda12_GLOBAL__N_121kernelPointwiseApply2IZNS_6native9templates4cuda28bernoulli_tensor_cuda_kernelIdfEEvRKNS_10TensorBaseES9_NS_15PhiloxCudaStateEEUliRdSB_SB_SB_RKfSD_SD_SD_E_dSC_jLi2ELin1ELi4ELi512ELi2EEEvNS0_6detail10TensorInfoIT0_T2_EENSG_IT1_SI_EESI_T_: ; @_ZN2at4cuda12_GLOBAL__N_121kernelPointwiseApply2IZNS_6native9templates4cuda28bernoulli_tensor_cuda_kernelIdfEEvRKNS_10TensorBaseES9_NS_15PhiloxCudaStateEEUliRdSB_SB_SB_RKfSD_SD_SD_E_dSC_jLi2ELin1ELi4ELi512ELi2EEEvNS0_6detail10TensorInfoIT0_T2_EENSG_IT1_SI_EESI_T_
; %bb.0:
	s_load_dword s2, s[4:5], 0x1e4
	s_load_dword s33, s[4:5], 0x1b0
	s_add_u32 s0, s4, 0x1d8
	s_addc_u32 s1, s5, 0
	s_waitcnt lgkmcnt(0)
	s_and_b32 s2, s2, 0xffff
	s_mul_i32 s6, s6, s2
	v_add_u32_e32 v5, s6, v0
	v_lshlrev_b32_e32 v30, 2, v5
	v_cmp_gt_u32_e32 vcc, s33, v30
	s_and_saveexec_b64 s[6:7], vcc
	s_cbranch_execz .LBB71_73
; %bb.1:
	s_load_dword s3, s[0:1], 0x0
	s_load_dwordx2 s[6:7], s[4:5], 0x1c8
	s_load_dwordx4 s[8:11], s[4:5], 0x1b8
	s_load_dword s20, s[4:5], 0x1a8
	s_load_dwordx2 s[12:13], s[4:5], 0x0
	s_load_dword s54, s[4:5], 0xc
	s_waitcnt lgkmcnt(0)
	s_mul_i32 s21, s3, s2
	s_load_dword s2, s[4:5], 0x1d0
	s_load_dword s55, s[4:5], 0x144
	s_add_u32 s18, s4, 0xd8
	s_addc_u32 s19, s5, 0
	v_cvt_f32_u32_e32 v0, s54
	s_cmp_gt_i32 s20, 1
	s_mov_b32 s56, 0xcd9e8d57
	s_cselect_b64 s[0:1], -1, 0
	v_rcp_iflag_f32_e32 v2, v0
	s_waitcnt lgkmcnt(0)
	s_bitcmp1_b32 s2, 0
	v_mad_u64_u32 v[0:1], s[2:3], v5, s56, 0
	v_mul_f32_e32 v2, 0x4f7ffffe, v2
	v_cvt_u32_f32_e32 v2, v2
	s_load_dwordx2 s[14:15], s[4:5], 0x6c
	s_load_dwordx2 s[16:17], s[4:5], 0xd8
	s_cselect_b64 s[4:5], -1, 0
	s_sub_i32 s2, 0, s54
	s_mov_b32 s3, 0
	v_mov_b32_e32 v4, v1
	v_mul_lo_u32 v1, s2, v2
	s_add_i32 s2, s20, -1
	s_lshl_b32 s57, s21, 2
	s_add_i32 s58, s20, 1
	s_lshl_b64 s[2:3], s[2:3], 2
	s_add_u32 s2, s2, s18
	s_addc_u32 s3, s3, s19
	v_mul_hi_u32 v1, v2, v1
	s_add_u32 s20, s2, 8
	v_mov_b32_e32 v3, 0
	v_add_u32_e32 v1, v2, v1
	s_addc_u32 s21, s3, 0
	s_mov_b64 s[22:23], 0
	v_cndmask_b32_e64 v31, 0, 1, s[0:1]
	s_mov_b32 s59, 0xd2511f53
	s_mov_b32 s60, 0xf1bbcdc8
	v_mov_b32_e32 v32, 0x3ff00000
                                        ; implicit-def: $sgpr24_sgpr25
                                        ; implicit-def: $sgpr26_sgpr27
                                        ; implicit-def: $sgpr28_sgpr29
                                        ; implicit-def: $sgpr18_sgpr19
                                        ; implicit-def: $sgpr30_sgpr31
                                        ; implicit-def: $sgpr34_sgpr35
                                        ; implicit-def: $sgpr36_sgpr37
                                        ; implicit-def: $sgpr38_sgpr39
	s_branch .LBB71_3
.LBB71_2:                               ;   in Loop: Header=BB71_3 Depth=1
	s_or_b64 exec, exec, s[2:3]
	s_and_b64 s[0:1], exec, s[0:1]
	s_or_b64 s[22:23], s[0:1], s[22:23]
	s_andn2_b64 s[0:1], s[18:19], exec
	s_and_b64 s[2:3], s[38:39], exec
	s_or_b64 s[18:19], s[0:1], s[2:3]
	s_andn2_b64 s[0:1], s[28:29], exec
	s_and_b64 s[2:3], s[36:37], exec
	;; [unrolled: 3-line block ×4, first 2 shown]
	s_or_b64 s[24:25], s[0:1], s[2:3]
	s_andn2_b64 exec, exec, s[22:23]
	s_cbranch_execz .LBB71_69
.LBB71_3:                               ; =>This Loop Header: Depth=1
                                        ;     Child Loop BB71_8 Depth 2
                                        ;     Child Loop BB71_15 Depth 2
	;; [unrolled: 1-line block ×4, first 2 shown]
	v_sub_u32_e32 v33, s33, v30
	v_cmp_lt_i32_e32 vcc, 0, v33
	v_mov_b32_e32 v6, 0
	s_and_saveexec_b64 s[2:3], vcc
	s_cbranch_execz .LBB71_5
; %bb.4:                                ;   in Loop: Header=BB71_3 Depth=1
	s_waitcnt vmcnt(3)
	v_mul_hi_u32 v2, v30, v1
	v_mul_lo_u32 v6, v2, s54
	v_sub_u32_e32 v6, v30, v6
	s_waitcnt vmcnt(2)
	v_add_u32_e32 v7, 1, v2
	v_cmp_le_u32_e64 s[0:1], s54, v6
	v_cndmask_b32_e64 v2, v2, v7, s[0:1]
	v_subrev_u32_e32 v7, s54, v6
	v_cndmask_b32_e64 v6, v6, v7, s[0:1]
	v_add_u32_e32 v7, 1, v2
	v_cmp_le_u32_e64 s[0:1], s54, v6
	v_cndmask_b32_e64 v6, v2, v7, s[0:1]
	v_mul_lo_u32 v2, v6, s54
	v_sub_u32_e32 v2, v30, v2
	s_waitcnt lgkmcnt(0)
	v_mul_lo_u32 v2, v2, s15
	v_mad_u64_u32 v[6:7], s[0:1], v6, s14, v[2:3]
.LBB71_5:                               ;   in Loop: Header=BB71_3 Depth=1
	s_or_b64 exec, exec, s[2:3]
	s_waitcnt vmcnt(3)
	v_mov_b32_e32 v2, 0
	v_cmp_ne_u32_e64 s[0:1], 1, v31
	s_and_saveexec_b64 s[2:3], vcc
	s_cbranch_execz .LBB71_10
; %bb.6:                                ;   in Loop: Header=BB71_3 Depth=1
	s_and_b64 vcc, exec, s[0:1]
	v_mov_b32_e32 v8, 0
	v_mov_b32_e32 v2, v30
	s_cbranch_vccnz .LBB71_9
; %bb.7:                                ;   in Loop: Header=BB71_3 Depth=1
	v_mov_b32_e32 v8, 0
	s_mov_b64 s[40:41], s[20:21]
	s_mov_b32 s42, s58
	v_mov_b32_e32 v2, v30
.LBB71_8:                               ;   Parent Loop BB71_3 Depth=1
                                        ; =>  This Inner Loop Header: Depth=2
	s_load_dword s43, s[40:41], 0x0
	s_load_dword s44, s[40:41], 0x64
	s_waitcnt vmcnt(2)
	v_mov_b32_e32 v7, v2
	s_add_i32 s42, s42, -1
	s_waitcnt lgkmcnt(0)
	v_cvt_f32_u32_e32 v2, s43
	s_sub_i32 s45, 0, s43
	s_add_u32 s40, s40, -4
	s_addc_u32 s41, s41, -1
	v_rcp_iflag_f32_e32 v2, v2
	s_cmp_gt_u32 s42, 2
	v_mul_f32_e32 v2, 0x4f7ffffe, v2
	v_cvt_u32_f32_e32 v2, v2
	s_waitcnt vmcnt(1)
	v_mul_lo_u32 v9, s45, v2
	v_mul_hi_u32 v9, v2, v9
	v_add_u32_e32 v2, v2, v9
	v_mul_hi_u32 v2, v7, v2
	v_mul_lo_u32 v9, v2, s43
	v_sub_u32_e32 v9, v7, v9
	v_add_u32_e32 v10, 1, v2
	v_cmp_le_u32_e32 vcc, s43, v9
	v_cndmask_b32_e32 v2, v2, v10, vcc
	v_subrev_u32_e32 v10, s43, v9
	v_cndmask_b32_e32 v9, v9, v10, vcc
	v_add_u32_e32 v10, 1, v2
	v_cmp_le_u32_e32 vcc, s43, v9
	v_cndmask_b32_e32 v2, v2, v10, vcc
	v_mul_lo_u32 v9, v2, s43
	v_sub_u32_e32 v7, v7, v9
	v_mad_u64_u32 v[8:9], s[44:45], s44, v7, v[8:9]
	s_cbranch_scc1 .LBB71_8
.LBB71_9:                               ;   in Loop: Header=BB71_3 Depth=1
	s_waitcnt vmcnt(1)
	v_mad_u64_u32 v[8:9], s[40:41], s55, v2, v[8:9]
	v_mov_b32_e32 v2, v8
.LBB71_10:                              ;   in Loop: Header=BB71_3 Depth=1
	s_or_b64 exec, exec, s[2:3]
	s_waitcnt vmcnt(2)
	v_or_b32_e32 v7, 1, v30
	v_cmp_lt_i32_e32 vcc, 1, v33
	v_mov_b32_e32 v12, 0
	v_mov_b32_e32 v8, 0
	s_and_saveexec_b64 s[40:41], vcc
	s_cbranch_execz .LBB71_12
; %bb.11:                               ;   in Loop: Header=BB71_3 Depth=1
	v_mul_hi_u32 v8, v7, v1
	s_waitcnt vmcnt(1)
	v_mul_lo_u32 v9, v8, s54
	v_sub_u32_e32 v9, v7, v9
	v_add_u32_e32 v10, 1, v8
	v_cmp_le_u32_e64 s[2:3], s54, v9
	v_cndmask_b32_e64 v8, v8, v10, s[2:3]
	v_subrev_u32_e32 v10, s54, v9
	v_cndmask_b32_e64 v9, v9, v10, s[2:3]
	v_add_u32_e32 v10, 1, v8
	v_cmp_le_u32_e64 s[2:3], s54, v9
	v_cndmask_b32_e64 v9, v8, v10, s[2:3]
	v_mul_lo_u32 v8, v9, s54
	v_sub_u32_e32 v8, v7, v8
	s_waitcnt lgkmcnt(0)
	v_mul_lo_u32 v8, v8, s15
	v_mad_u64_u32 v[8:9], s[2:3], v9, s14, v[8:9]
.LBB71_12:                              ;   in Loop: Header=BB71_3 Depth=1
	s_or_b64 exec, exec, s[40:41]
	s_and_saveexec_b64 s[2:3], vcc
	s_cbranch_execz .LBB71_17
; %bb.13:                               ;   in Loop: Header=BB71_3 Depth=1
	s_and_b64 vcc, exec, s[0:1]
	v_mov_b32_e32 v10, 0
	s_cbranch_vccnz .LBB71_16
; %bb.14:                               ;   in Loop: Header=BB71_3 Depth=1
	v_mov_b32_e32 v10, 0
	s_mov_b64 s[40:41], s[20:21]
	s_mov_b32 s42, s58
.LBB71_15:                              ;   Parent Loop BB71_3 Depth=1
                                        ; =>  This Inner Loop Header: Depth=2
	s_load_dword s43, s[40:41], 0x0
	s_load_dword s44, s[40:41], 0x64
	s_waitcnt vmcnt(1)
	v_mov_b32_e32 v9, v7
	s_add_i32 s42, s42, -1
	s_waitcnt lgkmcnt(0)
	v_cvt_f32_u32_e32 v7, s43
	s_sub_i32 s45, 0, s43
	s_add_u32 s40, s40, -4
	s_addc_u32 s41, s41, -1
	v_rcp_iflag_f32_e32 v7, v7
	s_cmp_gt_u32 s42, 2
	v_mul_f32_e32 v7, 0x4f7ffffe, v7
	v_cvt_u32_f32_e32 v7, v7
	s_waitcnt vmcnt(0)
	v_mul_lo_u32 v11, s45, v7
	v_mul_hi_u32 v11, v7, v11
	v_add_u32_e32 v7, v7, v11
	v_mul_hi_u32 v7, v9, v7
	v_mul_lo_u32 v11, v7, s43
	v_sub_u32_e32 v11, v9, v11
	v_add_u32_e32 v12, 1, v7
	v_cmp_le_u32_e32 vcc, s43, v11
	v_cndmask_b32_e32 v7, v7, v12, vcc
	v_subrev_u32_e32 v12, s43, v11
	v_cndmask_b32_e32 v11, v11, v12, vcc
	v_add_u32_e32 v12, 1, v7
	v_cmp_le_u32_e32 vcc, s43, v11
	v_cndmask_b32_e32 v7, v7, v12, vcc
	v_mul_lo_u32 v11, v7, s43
	v_sub_u32_e32 v9, v9, v11
	v_mad_u64_u32 v[10:11], s[44:45], s44, v9, v[10:11]
	s_cbranch_scc1 .LBB71_15
.LBB71_16:                              ;   in Loop: Header=BB71_3 Depth=1
	s_waitcnt vmcnt(0)
	v_mad_u64_u32 v[12:13], s[40:41], s55, v7, v[10:11]
.LBB71_17:                              ;   in Loop: Header=BB71_3 Depth=1
	s_or_b64 exec, exec, s[2:3]
	v_or_b32_e32 v7, 2, v30
	v_cmp_lt_i32_e32 vcc, 2, v33
	v_mov_b32_e32 v10, 0
	s_and_saveexec_b64 s[40:41], vcc
	s_cbranch_execz .LBB71_19
; %bb.18:                               ;   in Loop: Header=BB71_3 Depth=1
	s_waitcnt vmcnt(1)
	v_mul_hi_u32 v9, v7, v1
	v_mul_lo_u32 v10, v9, s54
	v_sub_u32_e32 v10, v7, v10
	s_waitcnt vmcnt(0)
	v_add_u32_e32 v11, 1, v9
	v_cmp_le_u32_e64 s[2:3], s54, v10
	v_cndmask_b32_e64 v9, v9, v11, s[2:3]
	v_subrev_u32_e32 v11, s54, v10
	v_cndmask_b32_e64 v10, v10, v11, s[2:3]
	v_add_u32_e32 v11, 1, v9
	v_cmp_le_u32_e64 s[2:3], s54, v10
	v_cndmask_b32_e64 v9, v9, v11, s[2:3]
	v_mul_lo_u32 v10, v9, s54
	v_sub_u32_e32 v10, v7, v10
	s_waitcnt lgkmcnt(0)
	v_mul_lo_u32 v10, v10, s15
	v_mad_u64_u32 v[10:11], s[2:3], v9, s14, v[10:11]
.LBB71_19:                              ;   in Loop: Header=BB71_3 Depth=1
	s_or_b64 exec, exec, s[40:41]
	v_pk_mov_b32 v[16:17], 0, 0
	s_and_saveexec_b64 s[2:3], vcc
	s_cbranch_execz .LBB71_24
; %bb.20:                               ;   in Loop: Header=BB71_3 Depth=1
	s_and_b64 vcc, exec, s[0:1]
	v_mov_b32_e32 v14, 0
	s_cbranch_vccnz .LBB71_23
; %bb.21:                               ;   in Loop: Header=BB71_3 Depth=1
	v_mov_b32_e32 v14, 0
	s_mov_b64 s[40:41], s[20:21]
	s_mov_b32 s42, s58
.LBB71_22:                              ;   Parent Loop BB71_3 Depth=1
                                        ; =>  This Inner Loop Header: Depth=2
	s_load_dword s43, s[40:41], 0x0
	s_load_dword s44, s[40:41], 0x64
	s_waitcnt vmcnt(1)
	v_mov_b32_e32 v9, v7
	s_add_i32 s42, s42, -1
	s_waitcnt lgkmcnt(0)
	v_cvt_f32_u32_e32 v7, s43
	s_sub_i32 s45, 0, s43
	s_add_u32 s40, s40, -4
	s_addc_u32 s41, s41, -1
	v_rcp_iflag_f32_e32 v7, v7
	s_cmp_gt_u32 s42, 2
	v_mul_f32_e32 v7, 0x4f7ffffe, v7
	v_cvt_u32_f32_e32 v7, v7
	s_waitcnt vmcnt(0)
	v_mul_lo_u32 v11, s45, v7
	v_mul_hi_u32 v11, v7, v11
	v_add_u32_e32 v7, v7, v11
	v_mul_hi_u32 v7, v9, v7
	v_mul_lo_u32 v11, v7, s43
	v_sub_u32_e32 v11, v9, v11
	v_add_u32_e32 v13, 1, v7
	v_cmp_le_u32_e32 vcc, s43, v11
	v_cndmask_b32_e32 v7, v7, v13, vcc
	v_subrev_u32_e32 v13, s43, v11
	v_cndmask_b32_e32 v11, v11, v13, vcc
	v_add_u32_e32 v13, 1, v7
	v_cmp_le_u32_e32 vcc, s43, v11
	v_cndmask_b32_e32 v7, v7, v13, vcc
	v_mul_lo_u32 v11, v7, s43
	v_sub_u32_e32 v9, v9, v11
	v_mad_u64_u32 v[14:15], s[44:45], s44, v9, v[14:15]
	s_cbranch_scc1 .LBB71_22
.LBB71_23:                              ;   in Loop: Header=BB71_3 Depth=1
	v_mad_u64_u32 v[16:17], s[40:41], s55, v7, v[14:15]
	v_mov_b32_e32 v17, v3
.LBB71_24:                              ;   in Loop: Header=BB71_3 Depth=1
	s_or_b64 exec, exec, s[2:3]
	v_pk_mov_b32 v[18:19], 0, 0
	v_or_b32_e32 v7, 3, v30
	v_cmp_lt_i32_e32 vcc, 3, v33
	v_pk_mov_b32 v[14:15], v[18:19], v[18:19] op_sel:[0,1]
	s_and_saveexec_b64 s[40:41], vcc
	s_cbranch_execz .LBB71_26
; %bb.25:                               ;   in Loop: Header=BB71_3 Depth=1
	s_waitcnt vmcnt(1)
	v_mul_hi_u32 v9, v7, v1
	s_waitcnt vmcnt(0)
	v_mul_lo_u32 v11, v9, s54
	v_sub_u32_e32 v11, v7, v11
	v_add_u32_e32 v13, 1, v9
	v_cmp_le_u32_e64 s[2:3], s54, v11
	v_cndmask_b32_e64 v9, v9, v13, s[2:3]
	v_subrev_u32_e32 v13, s54, v11
	v_cndmask_b32_e64 v11, v11, v13, s[2:3]
	v_add_u32_e32 v13, 1, v9
	v_cmp_le_u32_e64 s[2:3], s54, v11
	v_cndmask_b32_e64 v9, v9, v13, s[2:3]
	v_mul_lo_u32 v11, v9, s54
	v_sub_u32_e32 v11, v7, v11
	s_waitcnt lgkmcnt(0)
	v_mul_lo_u32 v14, v11, s15
	v_mad_u64_u32 v[14:15], s[2:3], v9, s14, v[14:15]
	v_mov_b32_e32 v15, v3
.LBB71_26:                              ;   in Loop: Header=BB71_3 Depth=1
	s_or_b64 exec, exec, s[40:41]
	s_and_saveexec_b64 s[2:3], vcc
	s_cbranch_execz .LBB71_31
; %bb.27:                               ;   in Loop: Header=BB71_3 Depth=1
	s_and_b64 vcc, exec, s[0:1]
	v_mov_b32_e32 v18, 0
	s_cbranch_vccnz .LBB71_30
; %bb.28:                               ;   in Loop: Header=BB71_3 Depth=1
	v_mov_b32_e32 v18, 0
	s_mov_b64 s[0:1], s[20:21]
	s_mov_b32 s40, s58
.LBB71_29:                              ;   Parent Loop BB71_3 Depth=1
                                        ; =>  This Inner Loop Header: Depth=2
	s_load_dword s41, s[0:1], 0x0
	s_load_dword s42, s[0:1], 0x64
	s_waitcnt vmcnt(1)
	v_mov_b32_e32 v9, v7
	s_add_i32 s40, s40, -1
	s_waitcnt lgkmcnt(0)
	v_cvt_f32_u32_e32 v7, s41
	s_sub_i32 s43, 0, s41
	s_add_u32 s0, s0, -4
	s_addc_u32 s1, s1, -1
	v_rcp_iflag_f32_e32 v7, v7
	s_cmp_gt_u32 s40, 2
	v_mul_f32_e32 v7, 0x4f7ffffe, v7
	v_cvt_u32_f32_e32 v7, v7
	s_waitcnt vmcnt(0)
	v_mul_lo_u32 v11, s43, v7
	v_mul_hi_u32 v11, v7, v11
	v_add_u32_e32 v7, v7, v11
	v_mul_hi_u32 v7, v9, v7
	v_mul_lo_u32 v11, v7, s41
	v_sub_u32_e32 v11, v9, v11
	v_add_u32_e32 v13, 1, v7
	v_cmp_le_u32_e32 vcc, s41, v11
	v_cndmask_b32_e32 v7, v7, v13, vcc
	v_subrev_u32_e32 v13, s41, v11
	v_cndmask_b32_e32 v11, v11, v13, vcc
	v_add_u32_e32 v13, 1, v7
	v_cmp_le_u32_e32 vcc, s41, v11
	v_cndmask_b32_e32 v7, v7, v13, vcc
	v_mul_lo_u32 v11, v7, s41
	v_sub_u32_e32 v9, v9, v11
	v_mad_u64_u32 v[18:19], s[42:43], s42, v9, v[18:19]
	s_cbranch_scc1 .LBB71_29
.LBB71_30:                              ;   in Loop: Header=BB71_3 Depth=1
	v_mad_u64_u32 v[18:19], s[0:1], s55, v7, v[18:19]
	v_mov_b32_e32 v19, v3
.LBB71_31:                              ;   in Loop: Header=BB71_3 Depth=1
	s_or_b64 exec, exec, s[2:3]
	v_lshlrev_b64 v[20:21], 2, v[2:3]
	s_waitcnt lgkmcnt(0)
	v_mov_b32_e32 v2, s17
	v_add_co_u32_e32 v20, vcc, s16, v20
	v_mov_b32_e32 v13, v3
	v_addc_co_u32_e32 v21, vcc, v2, v21, vcc
	v_lshlrev_b64 v[12:13], 2, v[12:13]
	v_add_co_u32_e32 v12, vcc, s16, v12
	v_addc_co_u32_e32 v13, vcc, v2, v13, vcc
	v_lshlrev_b64 v[16:17], 2, v[16:17]
	v_add_co_u32_e32 v16, vcc, s16, v16
	;; [unrolled: 3-line block ×3, first 2 shown]
	v_addc_co_u32_e32 v19, vcc, v2, v19, vcc
	global_load_dword v2, v[20:21], off
	global_load_dword v7, v[12:13], off
	;; [unrolled: 1-line block ×4, first 2 shown]
	s_andn2_b64 vcc, exec, s[4:5]
	v_pk_mov_b32 v[12:13], s[10:11], s[10:11] op_sel:[0,1]
	v_pk_mov_b32 v[16:17], s[8:9], s[8:9] op_sel:[0,1]
	s_cbranch_vccnz .LBB71_33
; %bb.32:                               ;   in Loop: Header=BB71_3 Depth=1
	v_pk_mov_b32 v[12:13], s[10:11], s[10:11] op_sel:[0,1]
	flat_load_dwordx2 v[12:13], v[12:13]
	v_pk_mov_b32 v[16:17], s[8:9], s[8:9] op_sel:[0,1]
	flat_load_dwordx2 v[16:17], v[16:17]
	v_mov_b32_e32 v18, s7
	s_waitcnt vmcnt(0) lgkmcnt(0)
	v_add_co_u32_e32 v12, vcc, s6, v12
	v_addc_co_u32_e32 v13, vcc, v13, v18, vcc
.LBB71_33:                              ;   in Loop: Header=BB71_3 Depth=1
	v_alignbit_b32 v26, v13, v12, 2
	v_lshrrev_b32_e32 v27, 2, v13
	v_xor_b32_e32 v18, v4, v16
	v_and_b32_e32 v34, 3, v12
	v_mad_u64_u32 v[12:13], s[0:1], v26, s59, 0
	v_xor_b32_e32 v18, v18, v27
	v_xor_b32_e32 v13, v13, v17
	v_add_u32_e32 v39, 0xbb67ae85, v17
	v_mad_u64_u32 v[18:19], s[0:1], v18, s59, 0
	v_mad_u64_u32 v[20:21], s[0:1], v13, s56, 0
	v_xor_b32_e32 v19, v39, v19
	v_add_u32_e32 v38, 0x9e3779b9, v16
	v_xor_b32_e32 v13, v0, v21
	v_xor_b32_e32 v19, v19, v12
	v_xor_b32_e32 v13, v13, v38
	v_add_u32_e32 v40, 0x3c6ef372, v16
	v_mad_u64_u32 v[22:23], s[0:1], v19, s56, 0
	v_add_u32_e32 v41, 0x76cf5d0a, v17
	v_mad_u64_u32 v[12:13], s[0:1], v13, s59, 0
	v_xor_b32_e32 v19, v40, v23
	v_xor_b32_e32 v19, v19, v20
	v_xor_b32_e32 v13, v41, v13
	v_xor_b32_e32 v13, v13, v18
	v_add_u32_e32 v43, 0x32370b8f, v17
	v_mad_u64_u32 v[18:19], s[0:1], v19, s59, 0
	v_add_u32_e32 v42, 0xdaa66d2b, v16
	v_mad_u64_u32 v[20:21], s[0:1], v13, s56, 0
	v_xor_b32_e32 v19, v43, v19
	;; [unrolled: 8-line block ×5, first 2 shown]
	v_xor_b32_e32 v19, v19, v20
	v_xor_b32_e32 v13, v49, v13
	v_xor_b32_e32 v13, v13, v18
	v_add_u32_e32 v51, 0x1fd5c5a3, v17
	v_mad_u64_u32 v[18:19], s[0:1], v19, s59, 0
	v_xor_b32_e32 v19, v51, v19
	v_xor_b32_e32 v12, v19, v12
	v_add_u32_e32 v50, 0x5384540f, v16
	v_mad_u64_u32 v[24:25], s[0:1], v13, s56, 0
	v_add_co_u32_e32 v36, vcc, s60, v16
	v_mad_u64_u32 v[20:21], s[0:1], v12, s56, 0
	v_xor_b32_e32 v13, v50, v25
	v_xor_b32_e32 v12, v36, v21
	;; [unrolled: 1-line block ×4, first 2 shown]
	v_mad_u64_u32 v[22:23], s[0:1], v13, s59, 0
	v_mad_u64_u32 v[12:13], s[0:1], v12, s59, 0
	v_add_u32_e32 v37, 0x96a522ad, v17
	v_xor_b32_e32 v13, v13, v22
	v_xor_b32_e32 v35, v37, v13
	v_add_co_u32_e32 v13, vcc, 1, v26
	v_cndmask_b32_e64 v22, 0, 1, vcc
	v_addc_co_u32_e32 v28, vcc, 0, v27, vcc
	v_cmp_eq_u32_e32 vcc, 0, v28
	v_cndmask_b32_e32 v22, 0, v22, vcc
	v_add_u32_e32 v26, v22, v5
	v_cmp_eq_u32_e32 vcc, 0, v26
	v_mad_u64_u32 v[24:25], s[0:1], v13, s59, 0
	v_mad_u64_u32 v[26:27], s[0:1], v26, s56, 0
	v_add_u32_e32 v21, 0x8ff34781, v16
	v_cndmask_b32_e32 v22, 0, v22, vcc
	v_xor_b32_e32 v13, v27, v16
	v_xor_b32_e32 v16, v25, v17
	;; [unrolled: 1-line block ×4, first 2 shown]
	v_mad_u64_u32 v[28:29], s[0:1], v22, s56, 0
	v_add_u32_e32 v19, 0xdb3d7428, v17
	v_mad_u64_u32 v[16:17], s[0:1], v13, s59, 0
	v_xor_b32_e32 v13, v38, v29
	v_xor_b32_e32 v13, v13, v26
	v_xor_b32_e32 v17, v39, v17
	v_xor_b32_e32 v17, v17, v24
	v_mad_u64_u32 v[24:25], s[0:1], v13, s59, 0
	v_mad_u64_u32 v[26:27], s[0:1], v17, s56, 0
	v_xor_b32_e32 v17, v41, v25
	v_xor_b32_e32 v13, v40, v27
	v_xor_b32_e32 v22, v17, v16
	v_xor_b32_e32 v13, v13, v28
	v_mad_u64_u32 v[28:29], s[0:1], v22, s56, 0
	v_mad_u64_u32 v[16:17], s[0:1], v13, s59, 0
	v_xor_b32_e32 v13, v42, v29
	v_xor_b32_e32 v13, v13, v26
	v_xor_b32_e32 v17, v43, v17
	v_xor_b32_e32 v17, v17, v24
	v_mad_u64_u32 v[24:25], s[0:1], v13, s59, 0
	v_mad_u64_u32 v[26:27], s[0:1], v17, s56, 0
	v_xor_b32_e32 v17, v45, v25
	v_xor_b32_e32 v13, v44, v27
	v_xor_b32_e32 v22, v17, v16
	v_xor_b32_e32 v13, v13, v28
	v_mad_u64_u32 v[28:29], s[0:1], v22, s56, 0
	v_mad_u64_u32 v[16:17], s[0:1], v13, s59, 0
	v_xor_b32_e32 v13, v46, v29
	v_xor_b32_e32 v13, v13, v26
	v_xor_b32_e32 v17, v47, v17
	v_xor_b32_e32 v17, v17, v24
	v_mad_u64_u32 v[26:27], s[0:1], v13, s59, 0
	v_mad_u64_u32 v[38:39], s[0:1], v17, s56, 0
	v_xor_b32_e32 v17, v49, v27
	v_xor_b32_e32 v13, v48, v39
	v_xor_b32_e32 v22, v17, v16
	v_xor_b32_e32 v13, v13, v28
	v_mad_u64_u32 v[24:25], s[0:1], v22, s56, 0
	v_mad_u64_u32 v[16:17], s[0:1], v13, s59, 0
	v_xor_b32_e32 v13, v50, v25
	v_xor_b32_e32 v13, v13, v38
	v_xor_b32_e32 v17, v51, v17
	v_xor_b32_e32 v17, v17, v26
	v_mad_u64_u32 v[26:27], s[0:1], v13, s59, 0
	v_xor_b32_e32 v13, v19, v27
	v_xor_b32_e32 v13, v13, v16
	v_mad_u64_u32 v[28:29], s[0:1], v17, s56, 0
	v_mad_u64_u32 v[16:17], s[0:1], v13, s56, 0
	v_xor_b32_e32 v13, v17, v28
	v_xor_b32_e32 v13, v21, v13
	v_cmp_lt_i32_e32 vcc, 1, v34
                                        ; implicit-def: $vgpr25
	s_and_saveexec_b64 s[0:1], vcc
	s_xor_b64 s[0:1], exec, s[0:1]
	s_cbranch_execz .LBB71_39
; %bb.34:                               ;   in Loop: Header=BB71_3 Depth=1
	v_cmp_lt_i32_e32 vcc, 2, v34
                                        ; implicit-def: $vgpr25
	s_and_saveexec_b64 s[2:3], vcc
	s_xor_b64 s[2:3], exec, s[2:3]
; %bb.35:                               ;   in Loop: Header=BB71_3 Depth=1
	v_xor_b32_e32 v17, v36, v29
	v_xor_b32_e32 v17, v17, v24
	v_mul_hi_u32 v17, v17, s59
	v_xor_b32_e32 v17, v17, v26
	v_xor_b32_e32 v25, v37, v17
                                        ; implicit-def: $vgpr35
; %bb.36:                               ;   in Loop: Header=BB71_3 Depth=1
	s_andn2_saveexec_b64 s[2:3], s[2:3]
; %bb.37:                               ;   in Loop: Header=BB71_3 Depth=1
	v_mov_b32_e32 v25, v16
	v_mov_b32_e32 v16, v13
	;; [unrolled: 1-line block ×4, first 2 shown]
; %bb.38:                               ;   in Loop: Header=BB71_3 Depth=1
	s_or_b64 exec, exec, s[2:3]
                                        ; implicit-def: $vgpr18_vgpr19
                                        ; implicit-def: $vgpr20_vgpr21
                                        ; implicit-def: $vgpr34
                                        ; implicit-def: $vgpr35
                                        ; implicit-def: $vgpr22_vgpr23
                                        ; implicit-def: $vgpr19
                                        ; implicit-def: $vgpr21
.LBB71_39:                              ;   in Loop: Header=BB71_3 Depth=1
	s_andn2_saveexec_b64 s[0:1], s[0:1]
	s_cbranch_execz .LBB71_43
; %bb.40:                               ;   in Loop: Header=BB71_3 Depth=1
	v_xor_b32_e32 v16, v19, v23
	v_xor_b32_e32 v16, v16, v18
	v_mad_u64_u32 v[18:19], s[2:3], v16, s56, 0
	v_xor_b32_e32 v16, v19, v20
	v_xor_b32_e32 v17, v21, v16
	v_cmp_eq_u32_e32 vcc, 1, v34
	v_mov_b32_e32 v25, v12
	v_mov_b32_e32 v16, v35
	;; [unrolled: 1-line block ×3, first 2 shown]
	s_and_saveexec_b64 s[2:3], vcc
; %bb.41:                               ;   in Loop: Header=BB71_3 Depth=1
	v_mov_b32_e32 v25, v13
	v_mov_b32_e32 v16, v12
	;; [unrolled: 1-line block ×4, first 2 shown]
; %bb.42:                               ;   in Loop: Header=BB71_3 Depth=1
	s_or_b64 exec, exec, s[2:3]
	v_mov_b32_e32 v12, v17
	v_mov_b32_e32 v13, v19
.LBB71_43:                              ;   in Loop: Header=BB71_3 Depth=1
	s_or_b64 exec, exec, s[0:1]
	v_min_i32_e32 v17, 4, v33
	v_cmp_lt_i32_e32 vcc, 2, v17
	s_mov_b64 s[2:3], 0
	s_mov_b64 s[50:51], 0
	;; [unrolled: 1-line block ×3, first 2 shown]
                                        ; implicit-def: $sgpr42_sgpr43
                                        ; implicit-def: $sgpr44_sgpr45
                                        ; implicit-def: $sgpr46_sgpr47
	s_and_saveexec_b64 s[0:1], vcc
	s_xor_b64 s[48:49], exec, s[0:1]
	s_cbranch_execz .LBB71_55
; %bb.44:                               ;   in Loop: Header=BB71_3 Depth=1
	v_cmp_lt_i32_e32 vcc, 3, v17
	s_mov_b64 s[0:1], -1
	s_mov_b64 s[52:53], 0
                                        ; implicit-def: $sgpr40_sgpr41
                                        ; implicit-def: $sgpr42_sgpr43
	s_and_saveexec_b64 s[44:45], vcc
	s_cbranch_execz .LBB71_50
; %bb.45:                               ;   in Loop: Header=BB71_3 Depth=1
	v_cmp_eq_u32_e32 vcc, 4, v17
	s_mov_b64 s[0:1], 0
	s_mov_b64 s[52:53], -1
                                        ; implicit-def: $sgpr40_sgpr41
                                        ; implicit-def: $sgpr42_sgpr43
	s_and_saveexec_b64 s[46:47], vcc
	s_cbranch_execz .LBB71_49
; %bb.46:                               ;   in Loop: Header=BB71_3 Depth=1
	s_waitcnt vmcnt(0)
	v_cmp_le_f32_e32 vcc, 0, v11
	v_cmp_ge_f32_e64 s[0:1], 1.0, v11
	s_and_b64 s[52:53], vcc, s[0:1]
	s_mov_b64 s[40:41], 0
	s_mov_b64 s[0:1], 0
	s_and_saveexec_b64 s[42:43], s[52:53]
	s_cbranch_execz .LBB71_48
; %bb.47:                               ;   in Loop: Header=BB71_3 Depth=1
	v_cvt_f32_u32_e32 v18, v25
	v_mov_b32_e32 v19, 0x2f800000
	v_lshlrev_b64 v[14:15], 3, v[14:15]
	v_add_co_u32_e32 v14, vcc, s12, v14
	v_fmac_f32_e32 v19, 0x2f800000, v18
	v_mov_b32_e32 v18, s13
	v_addc_co_u32_e32 v15, vcc, v18, v15, vcc
	v_cmp_le_f32_e32 vcc, v19, v11
	s_mov_b64 s[0:1], exec
	v_cndmask_b32_e32 v19, 0, v32, vcc
	v_mov_b32_e32 v18, v3
	global_store_dwordx2 v[14:15], v[18:19], off
.LBB71_48:                              ;   in Loop: Header=BB71_3 Depth=1
	s_or_b64 exec, exec, s[42:43]
	s_mov_b64 s[42:43], -1
	s_xor_b64 s[52:53], exec, -1
	s_and_b64 s[0:1], s[0:1], exec
.LBB71_49:                              ;   in Loop: Header=BB71_3 Depth=1
	s_or_b64 exec, exec, s[46:47]
	s_and_b64 s[52:53], s[52:53], exec
	s_orn2_b64 s[0:1], s[0:1], exec
.LBB71_50:                              ;   in Loop: Header=BB71_3 Depth=1
	s_or_b64 exec, exec, s[44:45]
	s_mov_b64 s[46:47], s[40:41]
	s_and_saveexec_b64 s[44:45], s[0:1]
	s_cbranch_execz .LBB71_54
; %bb.51:                               ;   in Loop: Header=BB71_3 Depth=1
	s_waitcnt vmcnt(1)
	v_cmp_le_f32_e32 vcc, 0, v9
	v_cmp_ge_f32_e64 s[0:1], 1.0, v9
	s_and_b64 s[46:47], vcc, s[0:1]
	s_mov_b64 s[0:1], 0
	s_and_saveexec_b64 s[50:51], s[46:47]
	s_xor_b64 s[46:47], exec, s[50:51]
	s_cbranch_execz .LBB71_53
; %bb.52:                               ;   in Loop: Header=BB71_3 Depth=1
	v_cvt_f32_u32_e32 v14, v16
	s_waitcnt vmcnt(0)
	v_mov_b32_e32 v11, v3
	v_mov_b32_e32 v15, 0x2f800000
	v_lshlrev_b64 v[10:11], 3, v[10:11]
	v_fmac_f32_e32 v15, 0x2f800000, v14
	v_mov_b32_e32 v14, s13
	v_add_co_u32_e32 v10, vcc, s12, v10
	v_addc_co_u32_e32 v11, vcc, v14, v11, vcc
	v_cmp_le_f32_e32 vcc, v15, v9
	v_cndmask_b32_e32 v15, 0, v32, vcc
	v_mov_b32_e32 v14, v3
	s_mov_b64 s[0:1], exec
	global_store_dwordx2 v[10:11], v[14:15], off
.LBB71_53:                              ;   in Loop: Header=BB71_3 Depth=1
	s_or_b64 exec, exec, s[46:47]
	s_andn2_b64 s[46:47], s[40:41], exec
	s_or_b64 s[40:41], s[40:41], exec
	s_andn2_b64 s[42:43], s[42:43], exec
	s_and_b64 s[50:51], s[0:1], exec
.LBB71_54:                              ;   in Loop: Header=BB71_3 Depth=1
	s_or_b64 exec, exec, s[44:45]
	s_and_b64 s[46:47], s[46:47], exec
	s_and_b64 s[44:45], s[40:41], exec
	;; [unrolled: 1-line block ×5, first 2 shown]
.LBB71_55:                              ;   in Loop: Header=BB71_3 Depth=1
	s_andn2_saveexec_b64 s[0:1], s[48:49]
; %bb.56:                               ;   in Loop: Header=BB71_3 Depth=1
	v_cmp_lt_i32_e32 vcc, 1, v17
	s_andn2_b64 s[48:49], s[50:51], exec
	s_and_b64 s[50:51], vcc, exec
	s_mov_b64 s[2:3], exec
	s_andn2_b64 s[46:47], s[46:47], exec
	s_andn2_b64 s[44:45], s[44:45], exec
	;; [unrolled: 1-line block ×3, first 2 shown]
	s_or_b64 s[50:51], s[48:49], s[50:51]
; %bb.57:                               ;   in Loop: Header=BB71_3 Depth=1
	s_or_b64 exec, exec, s[0:1]
	s_mov_b64 s[0:1], 0
	s_mov_b64 s[48:49], s[46:47]
	s_and_saveexec_b64 s[52:53], s[50:51]
	s_cbranch_execnz .LBB71_60
; %bb.58:                               ;   in Loop: Header=BB71_3 Depth=1
	s_or_b64 exec, exec, s[52:53]
	s_and_saveexec_b64 s[50:51], s[2:3]
	s_cbranch_execnz .LBB71_63
.LBB71_59:                              ;   in Loop: Header=BB71_3 Depth=1
	s_or_b64 exec, exec, s[50:51]
	s_and_saveexec_b64 s[2:3], s[0:1]
	s_cbranch_execnz .LBB71_64
	s_branch .LBB71_67
.LBB71_60:                              ;   in Loop: Header=BB71_3 Depth=1
	s_waitcnt vmcnt(2)
	v_cmp_le_f32_e32 vcc, 0, v7
	v_cmp_ge_f32_e64 s[0:1], 1.0, v7
	s_and_b64 s[48:49], vcc, s[0:1]
	s_mov_b64 s[0:1], 0
	s_and_saveexec_b64 s[50:51], s[48:49]
	s_xor_b64 s[48:49], exec, s[50:51]
	s_cbranch_execz .LBB71_62
; %bb.61:                               ;   in Loop: Header=BB71_3 Depth=1
	v_cvt_f32_u32_e32 v10, v13
	s_waitcnt vmcnt(1)
	v_mov_b32_e32 v9, v3
	s_waitcnt vmcnt(0)
	v_mov_b32_e32 v11, 0x2f800000
	v_lshlrev_b64 v[8:9], 3, v[8:9]
	v_fmac_f32_e32 v11, 0x2f800000, v10
	v_mov_b32_e32 v10, s13
	v_add_co_u32_e32 v8, vcc, s12, v8
	v_addc_co_u32_e32 v9, vcc, v10, v9, vcc
	v_cmp_le_f32_e32 vcc, v11, v7
	v_cndmask_b32_e32 v11, 0, v32, vcc
	v_mov_b32_e32 v10, v3
	s_mov_b64 s[0:1], exec
	global_store_dwordx2 v[8:9], v[10:11], off
.LBB71_62:                              ;   in Loop: Header=BB71_3 Depth=1
	s_or_b64 exec, exec, s[48:49]
	s_andn2_b64 s[48:49], s[46:47], exec
	s_or_b64 s[46:47], s[46:47], exec
	s_andn2_b64 s[44:45], s[44:45], exec
	s_andn2_b64 s[42:43], s[42:43], exec
	s_and_b64 s[0:1], s[0:1], exec
	s_andn2_b64 s[2:3], s[2:3], exec
	s_or_b64 exec, exec, s[52:53]
	s_and_saveexec_b64 s[50:51], s[2:3]
	s_cbranch_execz .LBB71_59
.LBB71_63:                              ;   in Loop: Header=BB71_3 Depth=1
	v_cmp_eq_u32_e32 vcc, 1, v17
	s_andn2_b64 s[0:1], s[0:1], exec
	s_and_b64 s[2:3], vcc, exec
	s_andn2_b64 s[48:49], s[48:49], exec
	s_andn2_b64 s[46:47], s[46:47], exec
	;; [unrolled: 1-line block ×4, first 2 shown]
	s_or_b64 s[40:41], s[40:41], exec
	s_or_b64 s[0:1], s[0:1], s[2:3]
	s_or_b64 exec, exec, s[50:51]
	s_and_saveexec_b64 s[2:3], s[0:1]
	s_cbranch_execz .LBB71_67
.LBB71_64:                              ;   in Loop: Header=BB71_3 Depth=1
	s_waitcnt vmcnt(3)
	v_cmp_le_f32_e32 vcc, 0, v2
	v_cmp_ge_f32_e64 s[0:1], 1.0, v2
	s_and_b64 s[52:53], vcc, s[0:1]
	s_mov_b64 s[0:1], 0
	s_and_saveexec_b64 s[50:51], s[52:53]
	s_cbranch_execz .LBB71_66
; %bb.65:                               ;   in Loop: Header=BB71_3 Depth=1
	v_cvt_f32_u32_e32 v8, v12
	s_waitcnt vmcnt(2)
	v_mov_b32_e32 v7, v3
	s_waitcnt vmcnt(1)
	v_mov_b32_e32 v9, 0x2f800000
	v_lshlrev_b64 v[6:7], 3, v[6:7]
	v_fmac_f32_e32 v9, 0x2f800000, v8
	v_mov_b32_e32 v8, s13
	v_add_co_u32_e32 v6, vcc, s12, v6
	v_addc_co_u32_e32 v7, vcc, v8, v7, vcc
	v_cmp_le_f32_e32 vcc, v9, v2
	s_mov_b64 s[0:1], exec
	v_cndmask_b32_e32 v9, 0, v32, vcc
	v_mov_b32_e32 v8, v3
	global_store_dwordx2 v[6:7], v[8:9], off
.LBB71_66:                              ;   in Loop: Header=BB71_3 Depth=1
	s_or_b64 exec, exec, s[50:51]
	s_andn2_b64 s[40:41], s[40:41], exec
	s_and_b64 s[0:1], s[0:1], exec
	s_or_b64 s[48:49], s[48:49], exec
	s_andn2_b64 s[46:47], s[46:47], exec
	s_andn2_b64 s[44:45], s[44:45], exec
	;; [unrolled: 1-line block ×3, first 2 shown]
	s_or_b64 s[40:41], s[40:41], s[0:1]
.LBB71_67:                              ;   in Loop: Header=BB71_3 Depth=1
	s_or_b64 exec, exec, s[2:3]
	s_andn2_b64 s[2:3], s[38:39], exec
	s_and_b64 s[38:39], s[48:49], exec
	s_or_b64 s[38:39], s[2:3], s[38:39]
	s_andn2_b64 s[2:3], s[36:37], exec
	s_and_b64 s[36:37], s[46:47], exec
	s_or_b64 s[36:37], s[2:3], s[36:37]
	;; [unrolled: 3-line block ×3, first 2 shown]
	s_andn2_b64 s[2:3], s[30:31], exec
	s_and_b64 s[30:31], s[42:43], exec
	s_mov_b64 s[0:1], -1
	s_or_b64 s[30:31], s[2:3], s[30:31]
	s_and_saveexec_b64 s[2:3], s[40:41]
	s_cbranch_execz .LBB71_2
; %bb.68:                               ;   in Loop: Header=BB71_3 Depth=1
	v_add_u32_e32 v30, s57, v30
	v_cmp_le_u32_e32 vcc, s33, v30
	s_andn2_b64 s[38:39], s[38:39], exec
	s_andn2_b64 s[36:37], s[36:37], exec
	;; [unrolled: 1-line block ×4, first 2 shown]
	s_orn2_b64 s[0:1], vcc, exec
	s_branch .LBB71_2
.LBB71_69:
	s_or_b64 exec, exec, s[22:23]
	s_xor_b64 s[6:7], s[28:29], -1
	s_xor_b64 s[8:9], s[26:27], -1
	;; [unrolled: 1-line block ×3, first 2 shown]
	s_mov_b64 s[2:3], 0
	s_and_saveexec_b64 s[4:5], s[0:1]
	s_xor_b64 s[0:1], exec, s[4:5]
	s_cbranch_execnz .LBB71_74
; %bb.70:
	s_andn2_saveexec_b64 s[0:1], s[0:1]
	s_cbranch_execnz .LBB71_82
.LBB71_71:
	s_or_b64 exec, exec, s[0:1]
	s_and_b64 exec, exec, s[2:3]
.LBB71_72:
	; divergent unreachable
.LBB71_73:
	s_endpgm
.LBB71_74:
	s_mov_b64 s[4:5], 0
	s_and_saveexec_b64 s[2:3], s[8:9]
	s_xor_b64 s[2:3], exec, s[2:3]
	s_cbranch_execz .LBB71_80
; %bb.75:
	s_and_saveexec_b64 s[8:9], s[6:7]
	s_xor_b64 s[6:7], exec, s[8:9]
	s_cbranch_execz .LBB71_78
; %bb.76:
	s_and_saveexec_b64 s[8:9], s[18:19]
	s_xor_b64 s[8:9], exec, s[8:9]
	s_cbranch_execnz .LBB71_85
.LBB71_77:
	s_or_b64 exec, exec, s[8:9]
	s_and_b64 s[4:5], s[4:5], exec
.LBB71_78:
	s_andn2_saveexec_b64 s[6:7], s[6:7]
	s_cbranch_execnz .LBB71_84
.LBB71_79:
	s_or_b64 exec, exec, s[6:7]
	s_and_b64 s[4:5], s[4:5], exec
.LBB71_80:
	s_andn2_saveexec_b64 s[2:3], s[2:3]
	s_cbranch_execnz .LBB71_83
.LBB71_81:
	s_or_b64 exec, exec, s[2:3]
	s_and_b64 s[2:3], s[4:5], exec
	s_andn2_saveexec_b64 s[0:1], s[0:1]
	s_cbranch_execz .LBB71_71
.LBB71_82:
	s_or_b64 s[2:3], s[2:3], exec
	s_trap 2
	s_or_b64 exec, exec, s[0:1]
	s_and_b64 exec, exec, s[2:3]
	s_cbranch_execnz .LBB71_72
	s_branch .LBB71_73
.LBB71_83:
	s_or_b64 s[4:5], s[4:5], exec
	s_trap 2
	s_branch .LBB71_81
.LBB71_84:
	s_trap 2
	s_or_b64 s[4:5], s[4:5], exec
	s_branch .LBB71_79
.LBB71_85:
	s_mov_b64 s[4:5], exec
	s_trap 2
	s_branch .LBB71_77
	.section	.rodata,"a",@progbits
	.p2align	6, 0x0
	.amdhsa_kernel _ZN2at4cuda12_GLOBAL__N_121kernelPointwiseApply2IZNS_6native9templates4cuda28bernoulli_tensor_cuda_kernelIdfEEvRKNS_10TensorBaseES9_NS_15PhiloxCudaStateEEUliRdSB_SB_SB_RKfSD_SD_SD_E_dSC_jLi2ELin1ELi4ELi512ELi2EEEvNS0_6detail10TensorInfoIT0_T2_EENSG_IT1_SI_EESI_T_
		.amdhsa_group_segment_fixed_size 0
		.amdhsa_private_segment_fixed_size 0
		.amdhsa_kernarg_size 728
		.amdhsa_user_sgpr_count 6
		.amdhsa_user_sgpr_private_segment_buffer 1
		.amdhsa_user_sgpr_dispatch_ptr 0
		.amdhsa_user_sgpr_queue_ptr 0
		.amdhsa_user_sgpr_kernarg_segment_ptr 1
		.amdhsa_user_sgpr_dispatch_id 0
		.amdhsa_user_sgpr_flat_scratch_init 0
		.amdhsa_user_sgpr_kernarg_preload_length 0
		.amdhsa_user_sgpr_kernarg_preload_offset 0
		.amdhsa_user_sgpr_private_segment_size 0
		.amdhsa_uses_dynamic_stack 0
		.amdhsa_system_sgpr_private_segment_wavefront_offset 0
		.amdhsa_system_sgpr_workgroup_id_x 1
		.amdhsa_system_sgpr_workgroup_id_y 0
		.amdhsa_system_sgpr_workgroup_id_z 0
		.amdhsa_system_sgpr_workgroup_info 0
		.amdhsa_system_vgpr_workitem_id 0
		.amdhsa_next_free_vgpr 52
		.amdhsa_next_free_sgpr 61
		.amdhsa_accum_offset 52
		.amdhsa_reserve_vcc 1
		.amdhsa_reserve_flat_scratch 0
		.amdhsa_float_round_mode_32 0
		.amdhsa_float_round_mode_16_64 0
		.amdhsa_float_denorm_mode_32 3
		.amdhsa_float_denorm_mode_16_64 3
		.amdhsa_dx10_clamp 1
		.amdhsa_ieee_mode 1
		.amdhsa_fp16_overflow 0
		.amdhsa_tg_split 0
		.amdhsa_exception_fp_ieee_invalid_op 0
		.amdhsa_exception_fp_denorm_src 0
		.amdhsa_exception_fp_ieee_div_zero 0
		.amdhsa_exception_fp_ieee_overflow 0
		.amdhsa_exception_fp_ieee_underflow 0
		.amdhsa_exception_fp_ieee_inexact 0
		.amdhsa_exception_int_div_zero 0
	.end_amdhsa_kernel
	.section	.text._ZN2at4cuda12_GLOBAL__N_121kernelPointwiseApply2IZNS_6native9templates4cuda28bernoulli_tensor_cuda_kernelIdfEEvRKNS_10TensorBaseES9_NS_15PhiloxCudaStateEEUliRdSB_SB_SB_RKfSD_SD_SD_E_dSC_jLi2ELin1ELi4ELi512ELi2EEEvNS0_6detail10TensorInfoIT0_T2_EENSG_IT1_SI_EESI_T_,"axG",@progbits,_ZN2at4cuda12_GLOBAL__N_121kernelPointwiseApply2IZNS_6native9templates4cuda28bernoulli_tensor_cuda_kernelIdfEEvRKNS_10TensorBaseES9_NS_15PhiloxCudaStateEEUliRdSB_SB_SB_RKfSD_SD_SD_E_dSC_jLi2ELin1ELi4ELi512ELi2EEEvNS0_6detail10TensorInfoIT0_T2_EENSG_IT1_SI_EESI_T_,comdat
.Lfunc_end71:
	.size	_ZN2at4cuda12_GLOBAL__N_121kernelPointwiseApply2IZNS_6native9templates4cuda28bernoulli_tensor_cuda_kernelIdfEEvRKNS_10TensorBaseES9_NS_15PhiloxCudaStateEEUliRdSB_SB_SB_RKfSD_SD_SD_E_dSC_jLi2ELin1ELi4ELi512ELi2EEEvNS0_6detail10TensorInfoIT0_T2_EENSG_IT1_SI_EESI_T_, .Lfunc_end71-_ZN2at4cuda12_GLOBAL__N_121kernelPointwiseApply2IZNS_6native9templates4cuda28bernoulli_tensor_cuda_kernelIdfEEvRKNS_10TensorBaseES9_NS_15PhiloxCudaStateEEUliRdSB_SB_SB_RKfSD_SD_SD_E_dSC_jLi2ELin1ELi4ELi512ELi2EEEvNS0_6detail10TensorInfoIT0_T2_EENSG_IT1_SI_EESI_T_
                                        ; -- End function
	.section	.AMDGPU.csdata,"",@progbits
; Kernel info:
; codeLenInByte = 4060
; NumSgprs: 65
; NumVgprs: 52
; NumAgprs: 0
; TotalNumVgprs: 52
; ScratchSize: 0
; MemoryBound: 0
; FloatMode: 240
; IeeeMode: 1
; LDSByteSize: 0 bytes/workgroup (compile time only)
; SGPRBlocks: 8
; VGPRBlocks: 6
; NumSGPRsForWavesPerEU: 65
; NumVGPRsForWavesPerEU: 52
; AccumOffset: 52
; Occupancy: 8
; WaveLimiterHint : 1
; COMPUTE_PGM_RSRC2:SCRATCH_EN: 0
; COMPUTE_PGM_RSRC2:USER_SGPR: 6
; COMPUTE_PGM_RSRC2:TRAP_HANDLER: 0
; COMPUTE_PGM_RSRC2:TGID_X_EN: 1
; COMPUTE_PGM_RSRC2:TGID_Y_EN: 0
; COMPUTE_PGM_RSRC2:TGID_Z_EN: 0
; COMPUTE_PGM_RSRC2:TIDIG_COMP_CNT: 0
; COMPUTE_PGM_RSRC3_GFX90A:ACCUM_OFFSET: 12
; COMPUTE_PGM_RSRC3_GFX90A:TG_SPLIT: 0
	.section	.text._ZN2at4cuda12_GLOBAL__N_121kernelPointwiseApply2IZNS_6native9templates4cuda28bernoulli_tensor_cuda_kernelIdfEEvRKNS_10TensorBaseES9_NS_15PhiloxCudaStateEEUliRdSB_SB_SB_RKfSD_SD_SD_E_dSC_jLin1ELi1ELi4ELi512ELi2EEEvNS0_6detail10TensorInfoIT0_T2_EENSG_IT1_SI_EESI_T_,"axG",@progbits,_ZN2at4cuda12_GLOBAL__N_121kernelPointwiseApply2IZNS_6native9templates4cuda28bernoulli_tensor_cuda_kernelIdfEEvRKNS_10TensorBaseES9_NS_15PhiloxCudaStateEEUliRdSB_SB_SB_RKfSD_SD_SD_E_dSC_jLin1ELi1ELi4ELi512ELi2EEEvNS0_6detail10TensorInfoIT0_T2_EENSG_IT1_SI_EESI_T_,comdat
	.globl	_ZN2at4cuda12_GLOBAL__N_121kernelPointwiseApply2IZNS_6native9templates4cuda28bernoulli_tensor_cuda_kernelIdfEEvRKNS_10TensorBaseES9_NS_15PhiloxCudaStateEEUliRdSB_SB_SB_RKfSD_SD_SD_E_dSC_jLin1ELi1ELi4ELi512ELi2EEEvNS0_6detail10TensorInfoIT0_T2_EENSG_IT1_SI_EESI_T_ ; -- Begin function _ZN2at4cuda12_GLOBAL__N_121kernelPointwiseApply2IZNS_6native9templates4cuda28bernoulli_tensor_cuda_kernelIdfEEvRKNS_10TensorBaseES9_NS_15PhiloxCudaStateEEUliRdSB_SB_SB_RKfSD_SD_SD_E_dSC_jLin1ELi1ELi4ELi512ELi2EEEvNS0_6detail10TensorInfoIT0_T2_EENSG_IT1_SI_EESI_T_
	.p2align	8
	.type	_ZN2at4cuda12_GLOBAL__N_121kernelPointwiseApply2IZNS_6native9templates4cuda28bernoulli_tensor_cuda_kernelIdfEEvRKNS_10TensorBaseES9_NS_15PhiloxCudaStateEEUliRdSB_SB_SB_RKfSD_SD_SD_E_dSC_jLin1ELi1ELi4ELi512ELi2EEEvNS0_6detail10TensorInfoIT0_T2_EENSG_IT1_SI_EESI_T_,@function
_ZN2at4cuda12_GLOBAL__N_121kernelPointwiseApply2IZNS_6native9templates4cuda28bernoulli_tensor_cuda_kernelIdfEEvRKNS_10TensorBaseES9_NS_15PhiloxCudaStateEEUliRdSB_SB_SB_RKfSD_SD_SD_E_dSC_jLin1ELi1ELi4ELi512ELi2EEEvNS0_6detail10TensorInfoIT0_T2_EENSG_IT1_SI_EESI_T_: ; @_ZN2at4cuda12_GLOBAL__N_121kernelPointwiseApply2IZNS_6native9templates4cuda28bernoulli_tensor_cuda_kernelIdfEEvRKNS_10TensorBaseES9_NS_15PhiloxCudaStateEEUliRdSB_SB_SB_RKfSD_SD_SD_E_dSC_jLin1ELi1ELi4ELi512ELi2EEEvNS0_6detail10TensorInfoIT0_T2_EENSG_IT1_SI_EESI_T_
; %bb.0:
	s_load_dword s2, s[4:5], 0x1e4
	s_load_dword s33, s[4:5], 0x1b0
	s_add_u32 s0, s4, 0x1d8
	s_addc_u32 s1, s5, 0
	s_waitcnt lgkmcnt(0)
	s_and_b32 s2, s2, 0xffff
	s_mul_i32 s6, s6, s2
	v_add_u32_e32 v5, s6, v0
	v_lshlrev_b32_e32 v30, 2, v5
	v_cmp_gt_u32_e32 vcc, s33, v30
	s_and_saveexec_b64 s[6:7], vcc
	s_cbranch_execz .LBB72_65
; %bb.1:
	s_load_dword s3, s[0:1], 0x0
	s_load_dword s54, s[4:5], 0x144
	s_load_dwordx4 s[12:15], s[4:5], 0x1b8
	s_load_dwordx2 s[10:11], s[4:5], 0xd8
	s_load_dword s6, s[4:5], 0xd0
	s_waitcnt lgkmcnt(0)
	s_mul_i32 s7, s3, s2
	s_load_dwordx2 s[16:17], s[4:5], 0x1c8
	s_load_dword s2, s[4:5], 0x1d0
	s_load_dword s55, s[4:5], 0x6c
	s_mov_b32 s56, 0xcd9e8d57
	s_load_dwordx2 s[20:21], s[4:5], 0x0
	s_cmp_gt_i32 s6, 1
	s_cselect_b64 s[0:1], -1, 0
	s_waitcnt lgkmcnt(0)
	s_bitcmp1_b32 s2, 0
	v_mad_u64_u32 v[0:1], s[2:3], v5, s56, 0
	s_cselect_b64 s[22:23], -1, 0
	s_add_i32 s2, s6, -1
	s_mov_b32 s3, 0
	s_lshl_b32 s57, s7, 2
	s_add_i32 s58, s6, 1
	s_lshl_b64 s[2:3], s[2:3], 2
	s_add_u32 s2, s2, s4
	s_addc_u32 s3, s3, s5
	v_mov_b32_e32 v4, v1
	s_add_u32 s24, s2, 8
	v_cndmask_b32_e64 v1, 0, 1, s[0:1]
	v_mov_b32_e32 v3, 0
	s_addc_u32 s25, s3, 0
	s_mov_b64 s[26:27], 0
	s_mov_b32 s59, 0xd2511f53
	v_cmp_ne_u32_e64 s[0:1], 1, v1
	s_mov_b32 s60, 0xf1bbcdc8
	v_mov_b32_e32 v1, 0x3ff00000
                                        ; implicit-def: $sgpr28_sgpr29
                                        ; implicit-def: $sgpr30_sgpr31
                                        ; implicit-def: $sgpr34_sgpr35
                                        ; implicit-def: $sgpr18_sgpr19
                                        ; implicit-def: $sgpr36_sgpr37
                                        ; implicit-def: $sgpr38_sgpr39
                                        ; implicit-def: $sgpr40_sgpr41
                                        ; implicit-def: $sgpr42_sgpr43
	s_branch .LBB72_3
.LBB72_2:                               ;   in Loop: Header=BB72_3 Depth=1
	s_or_b64 exec, exec, s[4:5]
	s_and_b64 s[2:3], exec, s[2:3]
	s_or_b64 s[26:27], s[2:3], s[26:27]
	s_andn2_b64 s[2:3], s[18:19], exec
	s_and_b64 s[4:5], s[42:43], exec
	s_or_b64 s[18:19], s[2:3], s[4:5]
	s_andn2_b64 s[2:3], s[34:35], exec
	s_and_b64 s[4:5], s[40:41], exec
	;; [unrolled: 3-line block ×4, first 2 shown]
	s_or_b64 s[28:29], s[2:3], s[4:5]
	s_andn2_b64 exec, exec, s[26:27]
	s_cbranch_execz .LBB72_61
.LBB72_3:                               ; =>This Loop Header: Depth=1
                                        ;     Child Loop BB72_6 Depth 2
                                        ;     Child Loop BB72_11 Depth 2
	;; [unrolled: 1-line block ×4, first 2 shown]
	v_sub_u32_e32 v31, s33, v30
	v_cmp_lt_i32_e64 s[2:3], 0, v31
	v_mov_b32_e32 v6, 0
	s_and_saveexec_b64 s[4:5], s[2:3]
	s_cbranch_execz .LBB72_8
; %bb.4:                                ;   in Loop: Header=BB72_3 Depth=1
	s_and_b64 vcc, exec, s[0:1]
	v_mov_b32_e32 v6, 0
	s_waitcnt vmcnt(3)
	v_mov_b32_e32 v2, v30
	s_cbranch_vccnz .LBB72_7
; %bb.5:                                ;   in Loop: Header=BB72_3 Depth=1
	v_mov_b32_e32 v6, 0
	s_mov_b64 s[6:7], s[24:25]
	s_mov_b32 s8, s58
	v_mov_b32_e32 v2, v30
.LBB72_6:                               ;   Parent Loop BB72_3 Depth=1
                                        ; =>  This Inner Loop Header: Depth=2
	s_load_dword s9, s[6:7], 0x0
	s_load_dword s44, s[6:7], 0x64
	s_waitcnt vmcnt(2)
	v_mov_b32_e32 v7, v2
	s_add_i32 s8, s8, -1
	s_waitcnt lgkmcnt(0)
	v_cvt_f32_u32_e32 v2, s9
	s_sub_i32 s45, 0, s9
	s_add_u32 s6, s6, -4
	s_addc_u32 s7, s7, -1
	v_rcp_iflag_f32_e32 v2, v2
	s_cmp_gt_u32 s8, 2
	v_mul_f32_e32 v2, 0x4f7ffffe, v2
	v_cvt_u32_f32_e32 v2, v2
	v_mul_lo_u32 v8, s45, v2
	v_mul_hi_u32 v8, v2, v8
	v_add_u32_e32 v2, v2, v8
	v_mul_hi_u32 v2, v7, v2
	v_mul_lo_u32 v8, v2, s9
	v_sub_u32_e32 v8, v7, v8
	v_add_u32_e32 v9, 1, v2
	v_cmp_le_u32_e32 vcc, s9, v8
	v_cndmask_b32_e32 v2, v2, v9, vcc
	v_subrev_u32_e32 v9, s9, v8
	v_cndmask_b32_e32 v8, v8, v9, vcc
	v_add_u32_e32 v9, 1, v2
	v_cmp_le_u32_e32 vcc, s9, v8
	v_cndmask_b32_e32 v2, v2, v9, vcc
	v_mul_lo_u32 v8, v2, s9
	v_sub_u32_e32 v7, v7, v8
	v_mad_u64_u32 v[6:7], s[44:45], s44, v7, v[6:7]
	s_cbranch_scc1 .LBB72_6
.LBB72_7:                               ;   in Loop: Header=BB72_3 Depth=1
	s_waitcnt vmcnt(2)
	v_mad_u64_u32 v[6:7], s[6:7], s55, v2, v[6:7]
.LBB72_8:                               ;   in Loop: Header=BB72_3 Depth=1
	s_or_b64 exec, exec, s[4:5]
	v_cmp_lt_i32_e64 s[4:5], 1, v31
	v_pk_mov_b32 v[8:9], 0, 0
	s_and_saveexec_b64 s[6:7], s[4:5]
	s_cbranch_execz .LBB72_13
; %bb.9:                                ;   in Loop: Header=BB72_3 Depth=1
	s_waitcnt vmcnt(3)
	v_or_b32_e32 v2, 1, v30
	s_and_b64 vcc, exec, s[0:1]
	v_mov_b32_e32 v8, 0
	s_cbranch_vccnz .LBB72_12
; %bb.10:                               ;   in Loop: Header=BB72_3 Depth=1
	v_mov_b32_e32 v8, 0
	s_mov_b64 s[8:9], s[24:25]
	s_mov_b32 s44, s58
.LBB72_11:                              ;   Parent Loop BB72_3 Depth=1
                                        ; =>  This Inner Loop Header: Depth=2
	s_load_dword s45, s[8:9], 0x0
	s_load_dword s46, s[8:9], 0x64
	s_waitcnt vmcnt(2)
	v_mov_b32_e32 v7, v2
	s_add_i32 s44, s44, -1
	s_waitcnt lgkmcnt(0)
	v_cvt_f32_u32_e32 v2, s45
	s_sub_i32 s47, 0, s45
	s_add_u32 s8, s8, -4
	s_addc_u32 s9, s9, -1
	v_rcp_iflag_f32_e32 v2, v2
	s_cmp_gt_u32 s44, 2
	v_mul_f32_e32 v2, 0x4f7ffffe, v2
	v_cvt_u32_f32_e32 v2, v2
	v_mul_lo_u32 v9, s47, v2
	v_mul_hi_u32 v9, v2, v9
	v_add_u32_e32 v2, v2, v9
	v_mul_hi_u32 v2, v7, v2
	v_mul_lo_u32 v9, v2, s45
	v_sub_u32_e32 v9, v7, v9
	v_add_u32_e32 v10, 1, v2
	v_cmp_le_u32_e32 vcc, s45, v9
	v_cndmask_b32_e32 v2, v2, v10, vcc
	v_subrev_u32_e32 v10, s45, v9
	v_cndmask_b32_e32 v9, v9, v10, vcc
	v_add_u32_e32 v10, 1, v2
	v_cmp_le_u32_e32 vcc, s45, v9
	v_cndmask_b32_e32 v2, v2, v10, vcc
	v_mul_lo_u32 v9, v2, s45
	v_sub_u32_e32 v7, v7, v9
	v_mad_u64_u32 v[8:9], s[46:47], s46, v7, v[8:9]
	s_cbranch_scc1 .LBB72_11
.LBB72_12:                              ;   in Loop: Header=BB72_3 Depth=1
	v_mad_u64_u32 v[8:9], s[8:9], s55, v2, v[8:9]
	v_mov_b32_e32 v9, v3
.LBB72_13:                              ;   in Loop: Header=BB72_3 Depth=1
	s_or_b64 exec, exec, s[6:7]
	v_cmp_lt_i32_e64 s[6:7], 2, v31
	v_pk_mov_b32 v[10:11], 0, 0
	s_and_saveexec_b64 s[8:9], s[6:7]
	s_cbranch_execz .LBB72_18
; %bb.14:                               ;   in Loop: Header=BB72_3 Depth=1
	s_waitcnt vmcnt(3)
	v_or_b32_e32 v2, 2, v30
	s_and_b64 vcc, exec, s[0:1]
	v_mov_b32_e32 v10, 0
	s_cbranch_vccnz .LBB72_17
; %bb.15:                               ;   in Loop: Header=BB72_3 Depth=1
	v_mov_b32_e32 v10, 0
	s_mov_b64 s[44:45], s[24:25]
	s_mov_b32 s46, s58
.LBB72_16:                              ;   Parent Loop BB72_3 Depth=1
                                        ; =>  This Inner Loop Header: Depth=2
	s_load_dword s47, s[44:45], 0x0
	s_load_dword s48, s[44:45], 0x64
	s_waitcnt vmcnt(2)
	v_mov_b32_e32 v7, v2
	s_add_i32 s46, s46, -1
	s_waitcnt lgkmcnt(0)
	v_cvt_f32_u32_e32 v2, s47
	s_sub_i32 s49, 0, s47
	s_add_u32 s44, s44, -4
	s_addc_u32 s45, s45, -1
	v_rcp_iflag_f32_e32 v2, v2
	s_cmp_gt_u32 s46, 2
	v_mul_f32_e32 v2, 0x4f7ffffe, v2
	v_cvt_u32_f32_e32 v2, v2
	v_mul_lo_u32 v11, s49, v2
	v_mul_hi_u32 v11, v2, v11
	v_add_u32_e32 v2, v2, v11
	v_mul_hi_u32 v2, v7, v2
	v_mul_lo_u32 v11, v2, s47
	v_sub_u32_e32 v11, v7, v11
	v_add_u32_e32 v12, 1, v2
	v_cmp_le_u32_e32 vcc, s47, v11
	v_cndmask_b32_e32 v2, v2, v12, vcc
	v_subrev_u32_e32 v12, s47, v11
	v_cndmask_b32_e32 v11, v11, v12, vcc
	v_add_u32_e32 v12, 1, v2
	v_cmp_le_u32_e32 vcc, s47, v11
	v_cndmask_b32_e32 v2, v2, v12, vcc
	v_mul_lo_u32 v11, v2, s47
	v_sub_u32_e32 v7, v7, v11
	v_mad_u64_u32 v[10:11], s[48:49], s48, v7, v[10:11]
	s_cbranch_scc1 .LBB72_16
.LBB72_17:                              ;   in Loop: Header=BB72_3 Depth=1
	v_mad_u64_u32 v[10:11], s[44:45], s55, v2, v[10:11]
	v_mov_b32_e32 v11, v3
.LBB72_18:                              ;   in Loop: Header=BB72_3 Depth=1
	s_or_b64 exec, exec, s[8:9]
	v_cmp_lt_i32_e64 s[8:9], 3, v31
	v_pk_mov_b32 v[14:15], 0, 0
	s_and_saveexec_b64 s[44:45], s[8:9]
	s_cbranch_execz .LBB72_23
; %bb.19:                               ;   in Loop: Header=BB72_3 Depth=1
	s_waitcnt vmcnt(3)
	v_or_b32_e32 v2, 3, v30
	s_and_b64 vcc, exec, s[0:1]
	v_mov_b32_e32 v12, 0
	s_cbranch_vccnz .LBB72_22
; %bb.20:                               ;   in Loop: Header=BB72_3 Depth=1
	v_mov_b32_e32 v12, 0
	s_mov_b64 s[46:47], s[24:25]
	s_mov_b32 s48, s58
.LBB72_21:                              ;   Parent Loop BB72_3 Depth=1
                                        ; =>  This Inner Loop Header: Depth=2
	s_load_dword s49, s[46:47], 0x0
	s_load_dword s50, s[46:47], 0x64
	s_waitcnt vmcnt(2)
	v_mov_b32_e32 v7, v2
	s_add_i32 s48, s48, -1
	s_waitcnt lgkmcnt(0)
	v_cvt_f32_u32_e32 v2, s49
	s_sub_i32 s51, 0, s49
	s_add_u32 s46, s46, -4
	s_addc_u32 s47, s47, -1
	v_rcp_iflag_f32_e32 v2, v2
	s_cmp_gt_u32 s48, 2
	v_mul_f32_e32 v2, 0x4f7ffffe, v2
	v_cvt_u32_f32_e32 v2, v2
	v_mul_lo_u32 v13, s51, v2
	v_mul_hi_u32 v13, v2, v13
	v_add_u32_e32 v2, v2, v13
	v_mul_hi_u32 v2, v7, v2
	v_mul_lo_u32 v13, v2, s49
	v_sub_u32_e32 v13, v7, v13
	v_add_u32_e32 v14, 1, v2
	v_cmp_le_u32_e32 vcc, s49, v13
	v_cndmask_b32_e32 v2, v2, v14, vcc
	v_subrev_u32_e32 v14, s49, v13
	v_cndmask_b32_e32 v13, v13, v14, vcc
	v_add_u32_e32 v14, 1, v2
	v_cmp_le_u32_e32 vcc, s49, v13
	v_cndmask_b32_e32 v2, v2, v14, vcc
	v_mul_lo_u32 v13, v2, s49
	v_sub_u32_e32 v7, v7, v13
	v_mad_u64_u32 v[12:13], s[50:51], s50, v7, v[12:13]
	s_cbranch_scc1 .LBB72_21
.LBB72_22:                              ;   in Loop: Header=BB72_3 Depth=1
	v_mad_u64_u32 v[14:15], s[46:47], s55, v2, v[12:13]
	v_mov_b32_e32 v15, v3
.LBB72_23:                              ;   in Loop: Header=BB72_3 Depth=1
	s_or_b64 exec, exec, s[44:45]
	s_waitcnt vmcnt(3)
	v_mul_lo_u32 v2, v30, s54
	s_waitcnt vmcnt(2)
	v_add_u32_e32 v7, s54, v2
	v_cndmask_b32_e64 v2, 0, v2, s[2:3]
	v_lshlrev_b64 v[12:13], 2, v[2:3]
	v_mov_b32_e32 v22, s11
	v_add_co_u32_e32 v12, vcc, s10, v12
	v_cndmask_b32_e64 v2, 0, v7, s[4:5]
	v_add_u32_e32 v18, s54, v7
	v_addc_co_u32_e32 v13, vcc, v22, v13, vcc
	v_lshlrev_b64 v[16:17], 2, v[2:3]
	v_add_co_u32_e32 v16, vcc, s10, v16
	v_cndmask_b32_e64 v2, 0, v18, s[6:7]
	v_add_u32_e32 v20, s54, v18
	v_addc_co_u32_e32 v17, vcc, v22, v17, vcc
	v_lshlrev_b64 v[18:19], 2, v[2:3]
	v_add_co_u32_e32 v18, vcc, s10, v18
	v_cndmask_b32_e64 v2, 0, v20, s[8:9]
	v_addc_co_u32_e32 v19, vcc, v22, v19, vcc
	v_lshlrev_b64 v[20:21], 2, v[2:3]
	v_add_co_u32_e32 v20, vcc, s10, v20
	v_addc_co_u32_e32 v21, vcc, v22, v21, vcc
	global_load_dword v2, v[12:13], off
	global_load_dword v7, v[16:17], off
	;; [unrolled: 1-line block ×4, first 2 shown]
	s_andn2_b64 vcc, exec, s[22:23]
	v_pk_mov_b32 v[12:13], s[14:15], s[14:15] op_sel:[0,1]
	v_pk_mov_b32 v[16:17], s[12:13], s[12:13] op_sel:[0,1]
	s_cbranch_vccnz .LBB72_25
; %bb.24:                               ;   in Loop: Header=BB72_3 Depth=1
	v_pk_mov_b32 v[12:13], s[14:15], s[14:15] op_sel:[0,1]
	flat_load_dwordx2 v[12:13], v[12:13]
	v_pk_mov_b32 v[16:17], s[12:13], s[12:13] op_sel:[0,1]
	flat_load_dwordx2 v[16:17], v[16:17]
	v_mov_b32_e32 v18, s17
	s_waitcnt vmcnt(0) lgkmcnt(0)
	v_add_co_u32_e32 v12, vcc, s16, v12
	v_addc_co_u32_e32 v13, vcc, v13, v18, vcc
.LBB72_25:                              ;   in Loop: Header=BB72_3 Depth=1
	v_alignbit_b32 v26, v13, v12, 2
	v_lshrrev_b32_e32 v27, 2, v13
	v_xor_b32_e32 v18, v4, v16
	v_and_b32_e32 v34, 3, v12
	v_mad_u64_u32 v[12:13], s[2:3], v26, s59, 0
	v_xor_b32_e32 v18, v18, v27
	v_xor_b32_e32 v13, v13, v17
	v_add_u32_e32 v39, 0xbb67ae85, v17
	v_mad_u64_u32 v[18:19], s[2:3], v18, s59, 0
	v_mad_u64_u32 v[20:21], s[2:3], v13, s56, 0
	v_xor_b32_e32 v19, v39, v19
	v_add_u32_e32 v38, 0x9e3779b9, v16
	v_xor_b32_e32 v13, v0, v21
	v_xor_b32_e32 v19, v19, v12
	v_xor_b32_e32 v13, v13, v38
	v_add_u32_e32 v40, 0x3c6ef372, v16
	v_mad_u64_u32 v[22:23], s[2:3], v19, s56, 0
	v_add_u32_e32 v41, 0x76cf5d0a, v17
	v_mad_u64_u32 v[12:13], s[2:3], v13, s59, 0
	v_xor_b32_e32 v19, v40, v23
	v_xor_b32_e32 v19, v19, v20
	v_xor_b32_e32 v13, v41, v13
	v_xor_b32_e32 v13, v13, v18
	v_add_u32_e32 v43, 0x32370b8f, v17
	v_mad_u64_u32 v[18:19], s[2:3], v19, s59, 0
	v_add_u32_e32 v42, 0xdaa66d2b, v16
	v_mad_u64_u32 v[20:21], s[2:3], v13, s56, 0
	v_xor_b32_e32 v19, v43, v19
	;; [unrolled: 8-line block ×5, first 2 shown]
	v_xor_b32_e32 v19, v19, v20
	v_xor_b32_e32 v13, v49, v13
	;; [unrolled: 1-line block ×3, first 2 shown]
	v_add_u32_e32 v51, 0x1fd5c5a3, v17
	v_mad_u64_u32 v[18:19], s[2:3], v19, s59, 0
	v_xor_b32_e32 v19, v51, v19
	v_xor_b32_e32 v12, v19, v12
	v_add_u32_e32 v50, 0x5384540f, v16
	v_mad_u64_u32 v[24:25], s[2:3], v13, s56, 0
	v_add_co_u32_e32 v36, vcc, s60, v16
	v_mad_u64_u32 v[20:21], s[2:3], v12, s56, 0
	v_xor_b32_e32 v13, v50, v25
	v_xor_b32_e32 v12, v36, v21
	;; [unrolled: 1-line block ×4, first 2 shown]
	v_mad_u64_u32 v[22:23], s[2:3], v13, s59, 0
	v_mad_u64_u32 v[12:13], s[2:3], v12, s59, 0
	v_add_u32_e32 v37, 0x96a522ad, v17
	v_xor_b32_e32 v13, v13, v22
	v_xor_b32_e32 v35, v37, v13
	v_add_co_u32_e32 v13, vcc, 1, v26
	v_cndmask_b32_e64 v22, 0, 1, vcc
	v_addc_co_u32_e32 v28, vcc, 0, v27, vcc
	v_cmp_eq_u32_e32 vcc, 0, v28
	v_cndmask_b32_e32 v22, 0, v22, vcc
	v_add_u32_e32 v26, v22, v5
	v_cmp_eq_u32_e32 vcc, 0, v26
	v_mad_u64_u32 v[24:25], s[2:3], v13, s59, 0
	v_mad_u64_u32 v[26:27], s[2:3], v26, s56, 0
	v_add_u32_e32 v21, 0x8ff34781, v16
	v_cndmask_b32_e32 v22, 0, v22, vcc
	v_xor_b32_e32 v13, v27, v16
	v_xor_b32_e32 v16, v25, v17
	;; [unrolled: 1-line block ×4, first 2 shown]
	v_mad_u64_u32 v[28:29], s[2:3], v22, s56, 0
	v_add_u32_e32 v19, 0xdb3d7428, v17
	v_mad_u64_u32 v[16:17], s[2:3], v13, s59, 0
	v_xor_b32_e32 v13, v38, v29
	v_xor_b32_e32 v13, v13, v26
	v_xor_b32_e32 v17, v39, v17
	v_xor_b32_e32 v17, v17, v24
	v_mad_u64_u32 v[24:25], s[2:3], v13, s59, 0
	v_mad_u64_u32 v[26:27], s[2:3], v17, s56, 0
	v_xor_b32_e32 v17, v41, v25
	v_xor_b32_e32 v13, v40, v27
	v_xor_b32_e32 v22, v17, v16
	v_xor_b32_e32 v13, v13, v28
	v_mad_u64_u32 v[28:29], s[2:3], v22, s56, 0
	;; [unrolled: 6-line block ×7, first 2 shown]
	v_xor_b32_e32 v13, v19, v27
	v_xor_b32_e32 v13, v13, v16
	v_mad_u64_u32 v[28:29], s[2:3], v17, s56, 0
	v_mad_u64_u32 v[16:17], s[2:3], v13, s56, 0
	v_xor_b32_e32 v13, v17, v28
	v_xor_b32_e32 v13, v21, v13
	v_cmp_lt_i32_e32 vcc, 1, v34
                                        ; implicit-def: $vgpr25
	s_and_saveexec_b64 s[2:3], vcc
	s_xor_b64 s[2:3], exec, s[2:3]
	s_cbranch_execz .LBB72_31
; %bb.26:                               ;   in Loop: Header=BB72_3 Depth=1
	v_cmp_lt_i32_e32 vcc, 2, v34
                                        ; implicit-def: $vgpr25
	s_and_saveexec_b64 s[4:5], vcc
	s_xor_b64 s[4:5], exec, s[4:5]
; %bb.27:                               ;   in Loop: Header=BB72_3 Depth=1
	v_xor_b32_e32 v17, v36, v29
	v_xor_b32_e32 v17, v17, v24
	v_mul_hi_u32 v17, v17, s59
	v_xor_b32_e32 v17, v17, v26
	v_xor_b32_e32 v25, v37, v17
                                        ; implicit-def: $vgpr35
; %bb.28:                               ;   in Loop: Header=BB72_3 Depth=1
	s_andn2_saveexec_b64 s[4:5], s[4:5]
; %bb.29:                               ;   in Loop: Header=BB72_3 Depth=1
	v_mov_b32_e32 v25, v16
	v_mov_b32_e32 v16, v13
	;; [unrolled: 1-line block ×4, first 2 shown]
; %bb.30:                               ;   in Loop: Header=BB72_3 Depth=1
	s_or_b64 exec, exec, s[4:5]
                                        ; implicit-def: $vgpr18_vgpr19
                                        ; implicit-def: $vgpr20_vgpr21
                                        ; implicit-def: $vgpr34
                                        ; implicit-def: $vgpr35
                                        ; implicit-def: $vgpr22_vgpr23
                                        ; implicit-def: $vgpr19
                                        ; implicit-def: $vgpr21
.LBB72_31:                              ;   in Loop: Header=BB72_3 Depth=1
	s_andn2_saveexec_b64 s[2:3], s[2:3]
	s_cbranch_execz .LBB72_35
; %bb.32:                               ;   in Loop: Header=BB72_3 Depth=1
	v_xor_b32_e32 v16, v19, v23
	v_xor_b32_e32 v16, v16, v18
	v_mad_u64_u32 v[18:19], s[4:5], v16, s56, 0
	v_xor_b32_e32 v16, v19, v20
	v_xor_b32_e32 v17, v21, v16
	v_cmp_eq_u32_e32 vcc, 1, v34
	v_mov_b32_e32 v25, v12
	v_mov_b32_e32 v16, v35
	;; [unrolled: 1-line block ×3, first 2 shown]
	s_and_saveexec_b64 s[4:5], vcc
; %bb.33:                               ;   in Loop: Header=BB72_3 Depth=1
	v_mov_b32_e32 v25, v13
	v_mov_b32_e32 v16, v12
	v_mov_b32_e32 v19, v35
	v_mov_b32_e32 v17, v18
; %bb.34:                               ;   in Loop: Header=BB72_3 Depth=1
	s_or_b64 exec, exec, s[4:5]
	v_mov_b32_e32 v12, v17
	v_mov_b32_e32 v13, v19
.LBB72_35:                              ;   in Loop: Header=BB72_3 Depth=1
	s_or_b64 exec, exec, s[2:3]
	v_min_i32_e32 v17, 4, v31
	v_cmp_lt_i32_e32 vcc, 2, v17
	s_mov_b64 s[4:5], 0
	s_mov_b64 s[50:51], 0
	;; [unrolled: 1-line block ×3, first 2 shown]
                                        ; implicit-def: $sgpr8_sgpr9
                                        ; implicit-def: $sgpr44_sgpr45
                                        ; implicit-def: $sgpr46_sgpr47
	s_and_saveexec_b64 s[2:3], vcc
	s_xor_b64 s[48:49], exec, s[2:3]
	s_cbranch_execz .LBB72_47
; %bb.36:                               ;   in Loop: Header=BB72_3 Depth=1
	v_cmp_lt_i32_e32 vcc, 3, v17
	s_mov_b64 s[2:3], -1
	s_mov_b64 s[52:53], 0
                                        ; implicit-def: $sgpr6_sgpr7
                                        ; implicit-def: $sgpr8_sgpr9
	s_and_saveexec_b64 s[44:45], vcc
	s_cbranch_execz .LBB72_42
; %bb.37:                               ;   in Loop: Header=BB72_3 Depth=1
	v_cmp_eq_u32_e32 vcc, 4, v17
	s_mov_b64 s[2:3], 0
	s_mov_b64 s[52:53], -1
                                        ; implicit-def: $sgpr6_sgpr7
                                        ; implicit-def: $sgpr8_sgpr9
	s_and_saveexec_b64 s[46:47], vcc
	s_cbranch_execz .LBB72_41
; %bb.38:                               ;   in Loop: Header=BB72_3 Depth=1
	s_waitcnt vmcnt(0)
	v_cmp_le_f32_e32 vcc, 0, v33
	v_cmp_ge_f32_e64 s[2:3], 1.0, v33
	s_and_b64 s[52:53], vcc, s[2:3]
	s_mov_b64 s[6:7], 0
	s_mov_b64 s[2:3], 0
	s_and_saveexec_b64 s[8:9], s[52:53]
	s_cbranch_execz .LBB72_40
; %bb.39:                               ;   in Loop: Header=BB72_3 Depth=1
	v_cvt_f32_u32_e32 v18, v25
	v_mov_b32_e32 v19, 0x2f800000
	v_lshlrev_b64 v[14:15], 3, v[14:15]
	v_add_co_u32_e32 v14, vcc, s20, v14
	v_fmac_f32_e32 v19, 0x2f800000, v18
	v_mov_b32_e32 v18, s21
	v_addc_co_u32_e32 v15, vcc, v18, v15, vcc
	v_cmp_le_f32_e32 vcc, v19, v33
	s_mov_b64 s[2:3], exec
	v_cndmask_b32_e32 v19, 0, v1, vcc
	v_mov_b32_e32 v18, v3
	global_store_dwordx2 v[14:15], v[18:19], off
.LBB72_40:                              ;   in Loop: Header=BB72_3 Depth=1
	s_or_b64 exec, exec, s[8:9]
	s_mov_b64 s[8:9], -1
	s_xor_b64 s[52:53], exec, -1
	s_and_b64 s[2:3], s[2:3], exec
.LBB72_41:                              ;   in Loop: Header=BB72_3 Depth=1
	s_or_b64 exec, exec, s[46:47]
	s_and_b64 s[52:53], s[52:53], exec
	s_orn2_b64 s[2:3], s[2:3], exec
.LBB72_42:                              ;   in Loop: Header=BB72_3 Depth=1
	s_or_b64 exec, exec, s[44:45]
	s_mov_b64 s[46:47], s[6:7]
	s_and_saveexec_b64 s[44:45], s[2:3]
	s_cbranch_execz .LBB72_46
; %bb.43:                               ;   in Loop: Header=BB72_3 Depth=1
	s_waitcnt vmcnt(1)
	v_cmp_le_f32_e32 vcc, 0, v32
	v_cmp_ge_f32_e64 s[2:3], 1.0, v32
	s_and_b64 s[46:47], vcc, s[2:3]
	s_mov_b64 s[2:3], 0
	s_and_saveexec_b64 s[50:51], s[46:47]
	s_xor_b64 s[46:47], exec, s[50:51]
	s_cbranch_execz .LBB72_45
; %bb.44:                               ;   in Loop: Header=BB72_3 Depth=1
	v_cvt_f32_u32_e32 v14, v16
	v_mov_b32_e32 v15, 0x2f800000
	v_lshlrev_b64 v[10:11], 3, v[10:11]
	v_add_co_u32_e32 v10, vcc, s20, v10
	v_fmac_f32_e32 v15, 0x2f800000, v14
	v_mov_b32_e32 v14, s21
	v_addc_co_u32_e32 v11, vcc, v14, v11, vcc
	v_cmp_le_f32_e32 vcc, v15, v32
	v_cndmask_b32_e32 v15, 0, v1, vcc
	v_mov_b32_e32 v14, v3
	s_mov_b64 s[2:3], exec
	global_store_dwordx2 v[10:11], v[14:15], off
.LBB72_45:                              ;   in Loop: Header=BB72_3 Depth=1
	s_or_b64 exec, exec, s[46:47]
	s_andn2_b64 s[46:47], s[6:7], exec
	s_or_b64 s[6:7], s[6:7], exec
	s_andn2_b64 s[8:9], s[8:9], exec
	s_and_b64 s[50:51], s[2:3], exec
.LBB72_46:                              ;   in Loop: Header=BB72_3 Depth=1
	s_or_b64 exec, exec, s[44:45]
	s_and_b64 s[46:47], s[46:47], exec
	s_and_b64 s[44:45], s[6:7], exec
	;; [unrolled: 1-line block ×5, first 2 shown]
.LBB72_47:                              ;   in Loop: Header=BB72_3 Depth=1
	s_andn2_saveexec_b64 s[2:3], s[48:49]
; %bb.48:                               ;   in Loop: Header=BB72_3 Depth=1
	v_cmp_lt_i32_e32 vcc, 1, v17
	s_andn2_b64 s[48:49], s[50:51], exec
	s_and_b64 s[50:51], vcc, exec
	s_mov_b64 s[4:5], exec
	s_andn2_b64 s[46:47], s[46:47], exec
	s_andn2_b64 s[44:45], s[44:45], exec
	s_andn2_b64 s[8:9], s[8:9], exec
	s_or_b64 s[50:51], s[48:49], s[50:51]
; %bb.49:                               ;   in Loop: Header=BB72_3 Depth=1
	s_or_b64 exec, exec, s[2:3]
	s_mov_b64 s[2:3], 0
	s_mov_b64 s[48:49], s[46:47]
	s_and_saveexec_b64 s[52:53], s[50:51]
	s_cbranch_execnz .LBB72_52
; %bb.50:                               ;   in Loop: Header=BB72_3 Depth=1
	s_or_b64 exec, exec, s[52:53]
	s_and_saveexec_b64 s[50:51], s[4:5]
	s_cbranch_execnz .LBB72_55
.LBB72_51:                              ;   in Loop: Header=BB72_3 Depth=1
	s_or_b64 exec, exec, s[50:51]
	s_and_saveexec_b64 s[4:5], s[2:3]
	s_cbranch_execnz .LBB72_56
	s_branch .LBB72_59
.LBB72_52:                              ;   in Loop: Header=BB72_3 Depth=1
	s_waitcnt vmcnt(2)
	v_cmp_le_f32_e32 vcc, 0, v7
	v_cmp_ge_f32_e64 s[2:3], 1.0, v7
	s_and_b64 s[48:49], vcc, s[2:3]
	s_mov_b64 s[2:3], 0
	s_and_saveexec_b64 s[50:51], s[48:49]
	s_xor_b64 s[48:49], exec, s[50:51]
	s_cbranch_execz .LBB72_54
; %bb.53:                               ;   in Loop: Header=BB72_3 Depth=1
	v_cvt_f32_u32_e32 v10, v13
	v_mov_b32_e32 v11, 0x2f800000
	v_lshlrev_b64 v[8:9], 3, v[8:9]
	v_add_co_u32_e32 v8, vcc, s20, v8
	v_fmac_f32_e32 v11, 0x2f800000, v10
	v_mov_b32_e32 v10, s21
	v_addc_co_u32_e32 v9, vcc, v10, v9, vcc
	v_cmp_le_f32_e32 vcc, v11, v7
	v_cndmask_b32_e32 v11, 0, v1, vcc
	v_mov_b32_e32 v10, v3
	s_mov_b64 s[2:3], exec
	global_store_dwordx2 v[8:9], v[10:11], off
.LBB72_54:                              ;   in Loop: Header=BB72_3 Depth=1
	s_or_b64 exec, exec, s[48:49]
	s_andn2_b64 s[48:49], s[46:47], exec
	s_or_b64 s[46:47], s[46:47], exec
	s_andn2_b64 s[44:45], s[44:45], exec
	s_andn2_b64 s[8:9], s[8:9], exec
	s_and_b64 s[2:3], s[2:3], exec
	s_andn2_b64 s[4:5], s[4:5], exec
	s_or_b64 exec, exec, s[52:53]
	s_and_saveexec_b64 s[50:51], s[4:5]
	s_cbranch_execz .LBB72_51
.LBB72_55:                              ;   in Loop: Header=BB72_3 Depth=1
	v_cmp_eq_u32_e32 vcc, 1, v17
	s_andn2_b64 s[2:3], s[2:3], exec
	s_and_b64 s[4:5], vcc, exec
	s_andn2_b64 s[48:49], s[48:49], exec
	s_andn2_b64 s[46:47], s[46:47], exec
	;; [unrolled: 1-line block ×4, first 2 shown]
	s_or_b64 s[6:7], s[6:7], exec
	s_or_b64 s[2:3], s[2:3], s[4:5]
	s_or_b64 exec, exec, s[50:51]
	s_and_saveexec_b64 s[4:5], s[2:3]
	s_cbranch_execz .LBB72_59
.LBB72_56:                              ;   in Loop: Header=BB72_3 Depth=1
	s_waitcnt vmcnt(3)
	v_cmp_le_f32_e32 vcc, 0, v2
	v_cmp_ge_f32_e64 s[2:3], 1.0, v2
	s_and_b64 s[52:53], vcc, s[2:3]
	s_mov_b64 s[2:3], 0
	s_and_saveexec_b64 s[50:51], s[52:53]
	s_cbranch_execz .LBB72_58
; %bb.57:                               ;   in Loop: Header=BB72_3 Depth=1
	v_cvt_f32_u32_e32 v8, v12
	s_waitcnt vmcnt(2)
	v_mov_b32_e32 v7, v3
	v_mov_b32_e32 v9, 0x2f800000
	v_lshlrev_b64 v[6:7], 3, v[6:7]
	v_fmac_f32_e32 v9, 0x2f800000, v8
	v_mov_b32_e32 v8, s21
	v_add_co_u32_e32 v6, vcc, s20, v6
	v_addc_co_u32_e32 v7, vcc, v8, v7, vcc
	v_cmp_le_f32_e32 vcc, v9, v2
	s_mov_b64 s[2:3], exec
	v_cndmask_b32_e32 v9, 0, v1, vcc
	v_mov_b32_e32 v8, v3
	global_store_dwordx2 v[6:7], v[8:9], off
.LBB72_58:                              ;   in Loop: Header=BB72_3 Depth=1
	s_or_b64 exec, exec, s[50:51]
	s_andn2_b64 s[6:7], s[6:7], exec
	s_and_b64 s[2:3], s[2:3], exec
	s_or_b64 s[48:49], s[48:49], exec
	s_andn2_b64 s[46:47], s[46:47], exec
	s_andn2_b64 s[44:45], s[44:45], exec
	;; [unrolled: 1-line block ×3, first 2 shown]
	s_or_b64 s[6:7], s[6:7], s[2:3]
.LBB72_59:                              ;   in Loop: Header=BB72_3 Depth=1
	s_or_b64 exec, exec, s[4:5]
	s_andn2_b64 s[4:5], s[42:43], exec
	s_and_b64 s[42:43], s[48:49], exec
	s_or_b64 s[42:43], s[4:5], s[42:43]
	s_andn2_b64 s[4:5], s[40:41], exec
	s_and_b64 s[40:41], s[46:47], exec
	s_or_b64 s[40:41], s[4:5], s[40:41]
	;; [unrolled: 3-line block ×3, first 2 shown]
	s_andn2_b64 s[4:5], s[36:37], exec
	s_and_b64 s[8:9], s[8:9], exec
	s_mov_b64 s[2:3], -1
	s_or_b64 s[36:37], s[4:5], s[8:9]
	s_and_saveexec_b64 s[4:5], s[6:7]
	s_cbranch_execz .LBB72_2
; %bb.60:                               ;   in Loop: Header=BB72_3 Depth=1
	v_add_u32_e32 v30, s57, v30
	v_cmp_le_u32_e32 vcc, s33, v30
	s_andn2_b64 s[42:43], s[42:43], exec
	s_andn2_b64 s[40:41], s[40:41], exec
	;; [unrolled: 1-line block ×4, first 2 shown]
	s_orn2_b64 s[2:3], vcc, exec
	s_branch .LBB72_2
.LBB72_61:
	s_or_b64 exec, exec, s[26:27]
	s_xor_b64 s[6:7], s[34:35], -1
	s_xor_b64 s[8:9], s[30:31], -1
	s_xor_b64 s[0:1], s[28:29], -1
	s_mov_b64 s[2:3], 0
	s_and_saveexec_b64 s[4:5], s[0:1]
	s_xor_b64 s[0:1], exec, s[4:5]
	s_cbranch_execnz .LBB72_66
; %bb.62:
	s_andn2_saveexec_b64 s[0:1], s[0:1]
	s_cbranch_execnz .LBB72_74
.LBB72_63:
	s_or_b64 exec, exec, s[0:1]
	s_and_b64 exec, exec, s[2:3]
.LBB72_64:
	; divergent unreachable
.LBB72_65:
	s_endpgm
.LBB72_66:
	s_mov_b64 s[4:5], 0
	s_and_saveexec_b64 s[2:3], s[8:9]
	s_xor_b64 s[2:3], exec, s[2:3]
	s_cbranch_execz .LBB72_72
; %bb.67:
	s_and_saveexec_b64 s[8:9], s[6:7]
	s_xor_b64 s[6:7], exec, s[8:9]
	s_cbranch_execz .LBB72_70
; %bb.68:
	s_and_saveexec_b64 s[8:9], s[18:19]
	s_xor_b64 s[8:9], exec, s[8:9]
	s_cbranch_execnz .LBB72_77
.LBB72_69:
	s_or_b64 exec, exec, s[8:9]
	s_and_b64 s[4:5], s[4:5], exec
.LBB72_70:
	s_andn2_saveexec_b64 s[6:7], s[6:7]
	s_cbranch_execnz .LBB72_76
.LBB72_71:
	s_or_b64 exec, exec, s[6:7]
	s_and_b64 s[4:5], s[4:5], exec
.LBB72_72:
	s_andn2_saveexec_b64 s[2:3], s[2:3]
	s_cbranch_execnz .LBB72_75
.LBB72_73:
	s_or_b64 exec, exec, s[2:3]
	s_and_b64 s[2:3], s[4:5], exec
	s_andn2_saveexec_b64 s[0:1], s[0:1]
	s_cbranch_execz .LBB72_63
.LBB72_74:
	s_or_b64 s[2:3], s[2:3], exec
	s_trap 2
	s_or_b64 exec, exec, s[0:1]
	s_and_b64 exec, exec, s[2:3]
	s_cbranch_execnz .LBB72_64
	s_branch .LBB72_65
.LBB72_75:
	s_or_b64 s[4:5], s[4:5], exec
	s_trap 2
	s_branch .LBB72_73
.LBB72_76:
	s_trap 2
	s_or_b64 s[4:5], s[4:5], exec
	s_branch .LBB72_71
.LBB72_77:
	s_mov_b64 s[4:5], exec
	s_trap 2
	s_branch .LBB72_69
	.section	.rodata,"a",@progbits
	.p2align	6, 0x0
	.amdhsa_kernel _ZN2at4cuda12_GLOBAL__N_121kernelPointwiseApply2IZNS_6native9templates4cuda28bernoulli_tensor_cuda_kernelIdfEEvRKNS_10TensorBaseES9_NS_15PhiloxCudaStateEEUliRdSB_SB_SB_RKfSD_SD_SD_E_dSC_jLin1ELi1ELi4ELi512ELi2EEEvNS0_6detail10TensorInfoIT0_T2_EENSG_IT1_SI_EESI_T_
		.amdhsa_group_segment_fixed_size 0
		.amdhsa_private_segment_fixed_size 0
		.amdhsa_kernarg_size 728
		.amdhsa_user_sgpr_count 6
		.amdhsa_user_sgpr_private_segment_buffer 1
		.amdhsa_user_sgpr_dispatch_ptr 0
		.amdhsa_user_sgpr_queue_ptr 0
		.amdhsa_user_sgpr_kernarg_segment_ptr 1
		.amdhsa_user_sgpr_dispatch_id 0
		.amdhsa_user_sgpr_flat_scratch_init 0
		.amdhsa_user_sgpr_kernarg_preload_length 0
		.amdhsa_user_sgpr_kernarg_preload_offset 0
		.amdhsa_user_sgpr_private_segment_size 0
		.amdhsa_uses_dynamic_stack 0
		.amdhsa_system_sgpr_private_segment_wavefront_offset 0
		.amdhsa_system_sgpr_workgroup_id_x 1
		.amdhsa_system_sgpr_workgroup_id_y 0
		.amdhsa_system_sgpr_workgroup_id_z 0
		.amdhsa_system_sgpr_workgroup_info 0
		.amdhsa_system_vgpr_workitem_id 0
		.amdhsa_next_free_vgpr 52
		.amdhsa_next_free_sgpr 61
		.amdhsa_accum_offset 52
		.amdhsa_reserve_vcc 1
		.amdhsa_reserve_flat_scratch 0
		.amdhsa_float_round_mode_32 0
		.amdhsa_float_round_mode_16_64 0
		.amdhsa_float_denorm_mode_32 3
		.amdhsa_float_denorm_mode_16_64 3
		.amdhsa_dx10_clamp 1
		.amdhsa_ieee_mode 1
		.amdhsa_fp16_overflow 0
		.amdhsa_tg_split 0
		.amdhsa_exception_fp_ieee_invalid_op 0
		.amdhsa_exception_fp_denorm_src 0
		.amdhsa_exception_fp_ieee_div_zero 0
		.amdhsa_exception_fp_ieee_overflow 0
		.amdhsa_exception_fp_ieee_underflow 0
		.amdhsa_exception_fp_ieee_inexact 0
		.amdhsa_exception_int_div_zero 0
	.end_amdhsa_kernel
	.section	.text._ZN2at4cuda12_GLOBAL__N_121kernelPointwiseApply2IZNS_6native9templates4cuda28bernoulli_tensor_cuda_kernelIdfEEvRKNS_10TensorBaseES9_NS_15PhiloxCudaStateEEUliRdSB_SB_SB_RKfSD_SD_SD_E_dSC_jLin1ELi1ELi4ELi512ELi2EEEvNS0_6detail10TensorInfoIT0_T2_EENSG_IT1_SI_EESI_T_,"axG",@progbits,_ZN2at4cuda12_GLOBAL__N_121kernelPointwiseApply2IZNS_6native9templates4cuda28bernoulli_tensor_cuda_kernelIdfEEvRKNS_10TensorBaseES9_NS_15PhiloxCudaStateEEUliRdSB_SB_SB_RKfSD_SD_SD_E_dSC_jLin1ELi1ELi4ELi512ELi2EEEvNS0_6detail10TensorInfoIT0_T2_EENSG_IT1_SI_EESI_T_,comdat
.Lfunc_end72:
	.size	_ZN2at4cuda12_GLOBAL__N_121kernelPointwiseApply2IZNS_6native9templates4cuda28bernoulli_tensor_cuda_kernelIdfEEvRKNS_10TensorBaseES9_NS_15PhiloxCudaStateEEUliRdSB_SB_SB_RKfSD_SD_SD_E_dSC_jLin1ELi1ELi4ELi512ELi2EEEvNS0_6detail10TensorInfoIT0_T2_EENSG_IT1_SI_EESI_T_, .Lfunc_end72-_ZN2at4cuda12_GLOBAL__N_121kernelPointwiseApply2IZNS_6native9templates4cuda28bernoulli_tensor_cuda_kernelIdfEEvRKNS_10TensorBaseES9_NS_15PhiloxCudaStateEEUliRdSB_SB_SB_RKfSD_SD_SD_E_dSC_jLin1ELi1ELi4ELi512ELi2EEEvNS0_6detail10TensorInfoIT0_T2_EENSG_IT1_SI_EESI_T_
                                        ; -- End function
	.section	.AMDGPU.csdata,"",@progbits
; Kernel info:
; codeLenInByte = 3516
; NumSgprs: 65
; NumVgprs: 52
; NumAgprs: 0
; TotalNumVgprs: 52
; ScratchSize: 0
; MemoryBound: 0
; FloatMode: 240
; IeeeMode: 1
; LDSByteSize: 0 bytes/workgroup (compile time only)
; SGPRBlocks: 8
; VGPRBlocks: 6
; NumSGPRsForWavesPerEU: 65
; NumVGPRsForWavesPerEU: 52
; AccumOffset: 52
; Occupancy: 8
; WaveLimiterHint : 1
; COMPUTE_PGM_RSRC2:SCRATCH_EN: 0
; COMPUTE_PGM_RSRC2:USER_SGPR: 6
; COMPUTE_PGM_RSRC2:TRAP_HANDLER: 0
; COMPUTE_PGM_RSRC2:TGID_X_EN: 1
; COMPUTE_PGM_RSRC2:TGID_Y_EN: 0
; COMPUTE_PGM_RSRC2:TGID_Z_EN: 0
; COMPUTE_PGM_RSRC2:TIDIG_COMP_CNT: 0
; COMPUTE_PGM_RSRC3_GFX90A:ACCUM_OFFSET: 12
; COMPUTE_PGM_RSRC3_GFX90A:TG_SPLIT: 0
	.section	.text._ZN2at4cuda12_GLOBAL__N_121kernelPointwiseApply2IZNS_6native9templates4cuda28bernoulli_tensor_cuda_kernelIdfEEvRKNS_10TensorBaseES9_NS_15PhiloxCudaStateEEUliRdSB_SB_SB_RKfSD_SD_SD_E_dSC_jLin1ELi2ELi4ELi512ELi2EEEvNS0_6detail10TensorInfoIT0_T2_EENSG_IT1_SI_EESI_T_,"axG",@progbits,_ZN2at4cuda12_GLOBAL__N_121kernelPointwiseApply2IZNS_6native9templates4cuda28bernoulli_tensor_cuda_kernelIdfEEvRKNS_10TensorBaseES9_NS_15PhiloxCudaStateEEUliRdSB_SB_SB_RKfSD_SD_SD_E_dSC_jLin1ELi2ELi4ELi512ELi2EEEvNS0_6detail10TensorInfoIT0_T2_EENSG_IT1_SI_EESI_T_,comdat
	.globl	_ZN2at4cuda12_GLOBAL__N_121kernelPointwiseApply2IZNS_6native9templates4cuda28bernoulli_tensor_cuda_kernelIdfEEvRKNS_10TensorBaseES9_NS_15PhiloxCudaStateEEUliRdSB_SB_SB_RKfSD_SD_SD_E_dSC_jLin1ELi2ELi4ELi512ELi2EEEvNS0_6detail10TensorInfoIT0_T2_EENSG_IT1_SI_EESI_T_ ; -- Begin function _ZN2at4cuda12_GLOBAL__N_121kernelPointwiseApply2IZNS_6native9templates4cuda28bernoulli_tensor_cuda_kernelIdfEEvRKNS_10TensorBaseES9_NS_15PhiloxCudaStateEEUliRdSB_SB_SB_RKfSD_SD_SD_E_dSC_jLin1ELi2ELi4ELi512ELi2EEEvNS0_6detail10TensorInfoIT0_T2_EENSG_IT1_SI_EESI_T_
	.p2align	8
	.type	_ZN2at4cuda12_GLOBAL__N_121kernelPointwiseApply2IZNS_6native9templates4cuda28bernoulli_tensor_cuda_kernelIdfEEvRKNS_10TensorBaseES9_NS_15PhiloxCudaStateEEUliRdSB_SB_SB_RKfSD_SD_SD_E_dSC_jLin1ELi2ELi4ELi512ELi2EEEvNS0_6detail10TensorInfoIT0_T2_EENSG_IT1_SI_EESI_T_,@function
_ZN2at4cuda12_GLOBAL__N_121kernelPointwiseApply2IZNS_6native9templates4cuda28bernoulli_tensor_cuda_kernelIdfEEvRKNS_10TensorBaseES9_NS_15PhiloxCudaStateEEUliRdSB_SB_SB_RKfSD_SD_SD_E_dSC_jLin1ELi2ELi4ELi512ELi2EEEvNS0_6detail10TensorInfoIT0_T2_EENSG_IT1_SI_EESI_T_: ; @_ZN2at4cuda12_GLOBAL__N_121kernelPointwiseApply2IZNS_6native9templates4cuda28bernoulli_tensor_cuda_kernelIdfEEvRKNS_10TensorBaseES9_NS_15PhiloxCudaStateEEUliRdSB_SB_SB_RKfSD_SD_SD_E_dSC_jLin1ELi2ELi4ELi512ELi2EEEvNS0_6detail10TensorInfoIT0_T2_EENSG_IT1_SI_EESI_T_
; %bb.0:
	s_load_dword s2, s[4:5], 0x1e4
	s_load_dword s33, s[4:5], 0x1b0
	s_add_u32 s0, s4, 0x1d8
	s_addc_u32 s1, s5, 0
	s_waitcnt lgkmcnt(0)
	s_and_b32 s2, s2, 0xffff
	s_mul_i32 s6, s6, s2
	v_add_u32_e32 v5, s6, v0
	v_lshlrev_b32_e32 v30, 2, v5
	v_cmp_gt_u32_e32 vcc, s33, v30
	s_and_saveexec_b64 s[6:7], vcc
	s_cbranch_execz .LBB73_73
; %bb.1:
	s_load_dword s56, s[4:5], 0xe4
	s_load_dwordx2 s[6:7], s[4:5], 0x144
	s_load_dword s3, s[0:1], 0x0
	s_load_dwordx2 s[12:13], s[4:5], 0xd8
	;; [unrolled: 2-line block ×3, first 2 shown]
	s_load_dwordx4 s[8:11], s[4:5], 0x1b8
	s_waitcnt lgkmcnt(0)
	v_cvt_f32_u32_e32 v0, s56
	s_mul_i32 s21, s3, s2
	s_load_dword s2, s[4:5], 0x1d0
	s_load_dword s57, s[4:5], 0x6c
	s_cmp_gt_i32 s20, 1
	v_rcp_iflag_f32_e32 v2, v0
	s_mov_b32 s58, 0xcd9e8d57
	s_cselect_b64 s[0:1], -1, 0
	s_waitcnt lgkmcnt(0)
	s_bitcmp1_b32 s2, 0
	v_mul_f32_e32 v2, 0x4f7ffffe, v2
	v_cvt_u32_f32_e32 v2, v2
	v_mad_u64_u32 v[0:1], s[2:3], v5, s58, 0
	s_cselect_b64 s[18:19], -1, 0
	s_sub_i32 s2, 0, s56
	s_mov_b32 s3, 0
	v_mov_b32_e32 v4, v1
	v_mul_lo_u32 v1, s2, v2
	s_add_i32 s2, s20, -1
	s_load_dwordx2 s[16:17], s[4:5], 0x0
	s_lshl_b32 s59, s21, 2
	s_add_i32 s60, s20, 1
	s_lshl_b64 s[2:3], s[2:3], 2
	s_add_u32 s2, s2, s4
	v_mul_hi_u32 v1, v2, v1
	s_addc_u32 s3, s3, s5
	v_add_u32_e32 v1, v2, v1
	s_add_u32 s20, s2, 8
	v_cndmask_b32_e64 v2, 0, 1, s[0:1]
	v_mov_b32_e32 v3, 0
	s_addc_u32 s21, s3, 0
	s_mov_b64 s[22:23], 0
	s_mov_b32 s61, 0xd2511f53
	v_cmp_ne_u32_e64 s[0:1], 1, v2
	s_mov_b32 s62, 0xf1bbcdc8
	v_mov_b32_e32 v31, 0x3ff00000
                                        ; implicit-def: $sgpr24_sgpr25
                                        ; implicit-def: $sgpr26_sgpr27
                                        ; implicit-def: $sgpr28_sgpr29
                                        ; implicit-def: $sgpr4_sgpr5
                                        ; implicit-def: $sgpr30_sgpr31
                                        ; implicit-def: $sgpr34_sgpr35
                                        ; implicit-def: $sgpr36_sgpr37
                                        ; implicit-def: $sgpr38_sgpr39
	s_branch .LBB73_3
.LBB73_2:                               ;   in Loop: Header=BB73_3 Depth=1
	s_or_b64 exec, exec, s[40:41]
	s_and_b64 s[2:3], exec, s[2:3]
	s_or_b64 s[22:23], s[2:3], s[22:23]
	s_andn2_b64 s[2:3], s[4:5], exec
	s_and_b64 s[4:5], s[38:39], exec
	s_or_b64 s[4:5], s[2:3], s[4:5]
	s_andn2_b64 s[2:3], s[28:29], exec
	s_and_b64 s[28:29], s[36:37], exec
	;; [unrolled: 3-line block ×4, first 2 shown]
	s_or_b64 s[24:25], s[2:3], s[24:25]
	s_andn2_b64 exec, exec, s[22:23]
	s_cbranch_execz .LBB73_69
.LBB73_3:                               ; =>This Loop Header: Depth=1
                                        ;     Child Loop BB73_6 Depth 2
                                        ;     Child Loop BB73_13 Depth 2
	;; [unrolled: 1-line block ×4, first 2 shown]
	v_sub_u32_e32 v32, s33, v30
	v_cmp_lt_i32_e64 s[2:3], 0, v32
	v_mov_b32_e32 v6, 0
	s_and_saveexec_b64 s[40:41], s[2:3]
	s_cbranch_execz .LBB73_8
; %bb.4:                                ;   in Loop: Header=BB73_3 Depth=1
	s_and_b64 vcc, exec, s[0:1]
	v_mov_b32_e32 v6, 0
	s_waitcnt vmcnt(3)
	v_mov_b32_e32 v2, v30
	s_cbranch_vccnz .LBB73_7
; %bb.5:                                ;   in Loop: Header=BB73_3 Depth=1
	v_mov_b32_e32 v6, 0
	s_mov_b64 s[42:43], s[20:21]
	s_mov_b32 s44, s60
	v_mov_b32_e32 v2, v30
.LBB73_6:                               ;   Parent Loop BB73_3 Depth=1
                                        ; =>  This Inner Loop Header: Depth=2
	s_load_dword s45, s[42:43], 0x0
	s_load_dword s46, s[42:43], 0x64
	s_waitcnt vmcnt(2)
	v_mov_b32_e32 v7, v2
	s_add_i32 s44, s44, -1
	s_waitcnt lgkmcnt(0)
	v_cvt_f32_u32_e32 v2, s45
	s_sub_i32 s47, 0, s45
	s_add_u32 s42, s42, -4
	s_addc_u32 s43, s43, -1
	v_rcp_iflag_f32_e32 v2, v2
	s_cmp_gt_u32 s44, 2
	v_mul_f32_e32 v2, 0x4f7ffffe, v2
	v_cvt_u32_f32_e32 v2, v2
	v_mul_lo_u32 v8, s47, v2
	v_mul_hi_u32 v8, v2, v8
	v_add_u32_e32 v2, v2, v8
	v_mul_hi_u32 v2, v7, v2
	v_mul_lo_u32 v8, v2, s45
	v_sub_u32_e32 v8, v7, v8
	s_waitcnt vmcnt(1)
	v_add_u32_e32 v9, 1, v2
	v_cmp_le_u32_e32 vcc, s45, v8
	v_cndmask_b32_e32 v2, v2, v9, vcc
	v_subrev_u32_e32 v9, s45, v8
	v_cndmask_b32_e32 v8, v8, v9, vcc
	v_add_u32_e32 v9, 1, v2
	v_cmp_le_u32_e32 vcc, s45, v8
	v_cndmask_b32_e32 v2, v2, v9, vcc
	v_mul_lo_u32 v8, v2, s45
	v_sub_u32_e32 v7, v7, v8
	v_mad_u64_u32 v[6:7], s[46:47], s46, v7, v[6:7]
	s_cbranch_scc1 .LBB73_6
.LBB73_7:                               ;   in Loop: Header=BB73_3 Depth=1
	s_waitcnt vmcnt(2)
	v_mad_u64_u32 v[6:7], s[42:43], s57, v2, v[6:7]
.LBB73_8:                               ;   in Loop: Header=BB73_3 Depth=1
	s_or_b64 exec, exec, s[40:41]
	v_mov_b32_e32 v8, 0
	s_waitcnt vmcnt(3)
	v_mov_b32_e32 v2, 0
	s_and_saveexec_b64 s[40:41], s[2:3]
	s_cbranch_execz .LBB73_10
; %bb.9:                                ;   in Loop: Header=BB73_3 Depth=1
	v_mul_hi_u32 v2, v30, v1
	s_waitcnt vmcnt(2)
	v_mul_lo_u32 v7, v2, s56
	v_sub_u32_e32 v7, v30, v7
	s_waitcnt vmcnt(1)
	v_add_u32_e32 v9, 1, v2
	v_cmp_le_u32_e32 vcc, s56, v7
	v_cndmask_b32_e32 v2, v2, v9, vcc
	v_subrev_u32_e32 v9, s56, v7
	v_cndmask_b32_e32 v7, v7, v9, vcc
	v_add_u32_e32 v9, 1, v2
	v_cmp_le_u32_e32 vcc, s56, v7
	v_cndmask_b32_e32 v7, v2, v9, vcc
	v_mul_lo_u32 v2, v7, s56
	v_sub_u32_e32 v2, v30, v2
	v_mul_lo_u32 v2, v2, s7
	v_mad_u64_u32 v[10:11], s[2:3], v7, s6, v[2:3]
	v_mov_b32_e32 v2, v10
.LBB73_10:                              ;   in Loop: Header=BB73_3 Depth=1
	s_or_b64 exec, exec, s[40:41]
	s_waitcnt vmcnt(2)
	v_or_b32_e32 v7, 1, v30
	v_cmp_lt_i32_e64 s[2:3], 1, v32
	s_and_saveexec_b64 s[40:41], s[2:3]
	s_cbranch_execz .LBB73_15
; %bb.11:                               ;   in Loop: Header=BB73_3 Depth=1
	s_and_b64 vcc, exec, s[0:1]
	v_mov_b32_e32 v8, 0
	v_mov_b32_e32 v10, v7
	s_cbranch_vccnz .LBB73_14
; %bb.12:                               ;   in Loop: Header=BB73_3 Depth=1
	v_mov_b32_e32 v8, 0
	s_mov_b64 s[42:43], s[20:21]
	s_mov_b32 s44, s60
	v_mov_b32_e32 v10, v7
.LBB73_13:                              ;   Parent Loop BB73_3 Depth=1
                                        ; =>  This Inner Loop Header: Depth=2
	s_load_dword s45, s[42:43], 0x0
	s_load_dword s46, s[42:43], 0x64
	s_waitcnt vmcnt(1)
	v_mov_b32_e32 v9, v10
	s_add_i32 s44, s44, -1
	s_waitcnt lgkmcnt(0)
	v_cvt_f32_u32_e32 v10, s45
	s_sub_i32 s47, 0, s45
	s_add_u32 s42, s42, -4
	s_addc_u32 s43, s43, -1
	v_rcp_iflag_f32_e32 v10, v10
	s_cmp_gt_u32 s44, 2
	v_mul_f32_e32 v10, 0x4f7ffffe, v10
	v_cvt_u32_f32_e32 v10, v10
	v_mul_lo_u32 v11, s47, v10
	v_mul_hi_u32 v11, v10, v11
	v_add_u32_e32 v10, v10, v11
	v_mul_hi_u32 v10, v9, v10
	v_mul_lo_u32 v11, v10, s45
	v_sub_u32_e32 v11, v9, v11
	v_add_u32_e32 v12, 1, v10
	v_cmp_le_u32_e32 vcc, s45, v11
	v_cndmask_b32_e32 v10, v10, v12, vcc
	v_subrev_u32_e32 v12, s45, v11
	v_cndmask_b32_e32 v11, v11, v12, vcc
	v_add_u32_e32 v12, 1, v10
	v_cmp_le_u32_e32 vcc, s45, v11
	v_cndmask_b32_e32 v10, v10, v12, vcc
	v_mul_lo_u32 v11, v10, s45
	v_sub_u32_e32 v9, v9, v11
	v_mad_u64_u32 v[8:9], s[46:47], s46, v9, v[8:9]
	s_cbranch_scc1 .LBB73_13
.LBB73_14:                              ;   in Loop: Header=BB73_3 Depth=1
	s_waitcnt vmcnt(1)
	v_mad_u64_u32 v[8:9], s[42:43], s57, v10, v[8:9]
.LBB73_15:                              ;   in Loop: Header=BB73_3 Depth=1
	s_or_b64 exec, exec, s[40:41]
	v_mov_b32_e32 v12, 0
	s_and_saveexec_b64 s[40:41], s[2:3]
	s_cbranch_execz .LBB73_17
; %bb.16:                               ;   in Loop: Header=BB73_3 Depth=1
	s_waitcnt vmcnt(1)
	v_mul_hi_u32 v9, v7, v1
	v_mul_lo_u32 v10, v9, s56
	v_sub_u32_e32 v10, v7, v10
	v_add_u32_e32 v11, 1, v9
	v_cmp_le_u32_e32 vcc, s56, v10
	v_cndmask_b32_e32 v9, v9, v11, vcc
	v_subrev_u32_e32 v11, s56, v10
	v_cndmask_b32_e32 v10, v10, v11, vcc
	v_add_u32_e32 v11, 1, v9
	v_cmp_le_u32_e32 vcc, s56, v10
	v_cndmask_b32_e32 v9, v9, v11, vcc
	v_mul_lo_u32 v10, v9, s56
	v_sub_u32_e32 v7, v7, v10
	v_mul_lo_u32 v10, v7, s7
	v_mad_u64_u32 v[12:13], s[2:3], v9, s6, v[10:11]
.LBB73_17:                              ;   in Loop: Header=BB73_3 Depth=1
	s_or_b64 exec, exec, s[40:41]
	v_or_b32_e32 v7, 2, v30
	v_cmp_lt_i32_e64 s[2:3], 2, v32
	v_pk_mov_b32 v[10:11], 0, 0
	s_and_saveexec_b64 s[40:41], s[2:3]
	s_cbranch_execz .LBB73_22
; %bb.18:                               ;   in Loop: Header=BB73_3 Depth=1
	s_and_b64 vcc, exec, s[0:1]
	v_mov_b32_e32 v10, 0
	s_waitcnt vmcnt(1)
	v_mov_b32_e32 v9, v7
	s_cbranch_vccnz .LBB73_21
; %bb.19:                               ;   in Loop: Header=BB73_3 Depth=1
	v_mov_b32_e32 v10, 0
	s_mov_b64 s[42:43], s[20:21]
	s_mov_b32 s44, s60
	v_mov_b32_e32 v9, v7
.LBB73_20:                              ;   Parent Loop BB73_3 Depth=1
                                        ; =>  This Inner Loop Header: Depth=2
	s_load_dword s45, s[42:43], 0x0
	s_load_dword s46, s[42:43], 0x64
	v_mov_b32_e32 v11, v9
	s_add_i32 s44, s44, -1
	s_waitcnt lgkmcnt(0)
	v_cvt_f32_u32_e32 v9, s45
	s_sub_i32 s47, 0, s45
	s_add_u32 s42, s42, -4
	s_addc_u32 s43, s43, -1
	v_rcp_iflag_f32_e32 v9, v9
	s_cmp_gt_u32 s44, 2
	v_mul_f32_e32 v9, 0x4f7ffffe, v9
	v_cvt_u32_f32_e32 v9, v9
	v_mul_lo_u32 v13, s47, v9
	v_mul_hi_u32 v13, v9, v13
	v_add_u32_e32 v9, v9, v13
	v_mul_hi_u32 v9, v11, v9
	v_mul_lo_u32 v13, v9, s45
	v_sub_u32_e32 v13, v11, v13
	v_add_u32_e32 v14, 1, v9
	v_cmp_le_u32_e32 vcc, s45, v13
	v_cndmask_b32_e32 v9, v9, v14, vcc
	v_subrev_u32_e32 v14, s45, v13
	v_cndmask_b32_e32 v13, v13, v14, vcc
	v_add_u32_e32 v14, 1, v9
	v_cmp_le_u32_e32 vcc, s45, v13
	v_cndmask_b32_e32 v9, v9, v14, vcc
	v_mul_lo_u32 v13, v9, s45
	v_sub_u32_e32 v11, v11, v13
	v_mad_u64_u32 v[10:11], s[46:47], s46, v11, v[10:11]
	s_cbranch_scc1 .LBB73_20
.LBB73_21:                              ;   in Loop: Header=BB73_3 Depth=1
	v_mad_u64_u32 v[10:11], s[42:43], s57, v9, v[10:11]
	v_mov_b32_e32 v11, v3
.LBB73_22:                              ;   in Loop: Header=BB73_3 Depth=1
	s_or_b64 exec, exec, s[40:41]
	v_pk_mov_b32 v[14:15], 0, 0
	v_pk_mov_b32 v[16:17], v[14:15], v[14:15] op_sel:[0,1]
	s_and_saveexec_b64 s[40:41], s[2:3]
	s_cbranch_execz .LBB73_24
; %bb.23:                               ;   in Loop: Header=BB73_3 Depth=1
	s_waitcnt vmcnt(1)
	v_mul_hi_u32 v9, v7, v1
	v_mul_lo_u32 v13, v9, s56
	v_sub_u32_e32 v13, v7, v13
	v_add_u32_e32 v16, 1, v9
	v_cmp_le_u32_e32 vcc, s56, v13
	v_cndmask_b32_e32 v9, v9, v16, vcc
	v_subrev_u32_e32 v16, s56, v13
	v_cndmask_b32_e32 v13, v13, v16, vcc
	v_add_u32_e32 v16, 1, v9
	v_cmp_le_u32_e32 vcc, s56, v13
	v_cndmask_b32_e32 v9, v9, v16, vcc
	v_mul_lo_u32 v13, v9, s56
	v_sub_u32_e32 v7, v7, v13
	v_mul_lo_u32 v16, v7, s7
	v_mad_u64_u32 v[16:17], s[2:3], v9, s6, v[16:17]
	v_mov_b32_e32 v17, v3
.LBB73_24:                              ;   in Loop: Header=BB73_3 Depth=1
	s_or_b64 exec, exec, s[40:41]
	v_or_b32_e32 v7, 3, v30
	v_cmp_lt_i32_e64 s[2:3], 3, v32
	s_and_saveexec_b64 s[40:41], s[2:3]
	s_cbranch_execz .LBB73_29
; %bb.25:                               ;   in Loop: Header=BB73_3 Depth=1
	s_and_b64 vcc, exec, s[0:1]
	v_mov_b32_e32 v14, 0
	s_waitcnt vmcnt(1)
	v_mov_b32_e32 v9, v7
	s_cbranch_vccnz .LBB73_28
; %bb.26:                               ;   in Loop: Header=BB73_3 Depth=1
	v_mov_b32_e32 v14, 0
	s_mov_b64 s[42:43], s[20:21]
	s_mov_b32 s44, s60
	v_mov_b32_e32 v9, v7
.LBB73_27:                              ;   Parent Loop BB73_3 Depth=1
                                        ; =>  This Inner Loop Header: Depth=2
	s_load_dword s45, s[42:43], 0x0
	s_load_dword s46, s[42:43], 0x64
	v_mov_b32_e32 v13, v9
	s_add_i32 s44, s44, -1
	s_waitcnt lgkmcnt(0)
	v_cvt_f32_u32_e32 v9, s45
	s_sub_i32 s47, 0, s45
	s_add_u32 s42, s42, -4
	s_addc_u32 s43, s43, -1
	v_rcp_iflag_f32_e32 v9, v9
	s_cmp_gt_u32 s44, 2
	v_mul_f32_e32 v9, 0x4f7ffffe, v9
	v_cvt_u32_f32_e32 v9, v9
	v_mul_lo_u32 v15, s47, v9
	v_mul_hi_u32 v15, v9, v15
	v_add_u32_e32 v9, v9, v15
	v_mul_hi_u32 v9, v13, v9
	v_mul_lo_u32 v15, v9, s45
	v_sub_u32_e32 v15, v13, v15
	v_add_u32_e32 v18, 1, v9
	v_cmp_le_u32_e32 vcc, s45, v15
	v_cndmask_b32_e32 v9, v9, v18, vcc
	v_subrev_u32_e32 v18, s45, v15
	v_cndmask_b32_e32 v15, v15, v18, vcc
	v_add_u32_e32 v18, 1, v9
	v_cmp_le_u32_e32 vcc, s45, v15
	v_cndmask_b32_e32 v9, v9, v18, vcc
	v_mul_lo_u32 v15, v9, s45
	v_sub_u32_e32 v13, v13, v15
	v_mad_u64_u32 v[14:15], s[46:47], s46, v13, v[14:15]
	s_cbranch_scc1 .LBB73_27
.LBB73_28:                              ;   in Loop: Header=BB73_3 Depth=1
	v_mad_u64_u32 v[14:15], s[42:43], s57, v9, v[14:15]
	v_mov_b32_e32 v15, v3
.LBB73_29:                              ;   in Loop: Header=BB73_3 Depth=1
	s_or_b64 exec, exec, s[40:41]
	v_pk_mov_b32 v[18:19], 0, 0
	s_and_saveexec_b64 s[40:41], s[2:3]
	s_cbranch_execz .LBB73_31
; %bb.30:                               ;   in Loop: Header=BB73_3 Depth=1
	s_waitcnt vmcnt(1)
	v_mul_hi_u32 v9, v7, v1
	v_mul_lo_u32 v13, v9, s56
	v_sub_u32_e32 v13, v7, v13
	v_add_u32_e32 v18, 1, v9
	v_cmp_le_u32_e32 vcc, s56, v13
	v_cndmask_b32_e32 v9, v9, v18, vcc
	v_subrev_u32_e32 v18, s56, v13
	v_cndmask_b32_e32 v13, v13, v18, vcc
	v_add_u32_e32 v18, 1, v9
	v_cmp_le_u32_e32 vcc, s56, v13
	v_cndmask_b32_e32 v9, v9, v18, vcc
	v_mul_lo_u32 v13, v9, s56
	v_sub_u32_e32 v7, v7, v13
	v_mul_lo_u32 v18, v7, s7
	v_mad_u64_u32 v[18:19], s[2:3], v9, s6, v[18:19]
	v_mov_b32_e32 v19, v3
.LBB73_31:                              ;   in Loop: Header=BB73_3 Depth=1
	s_or_b64 exec, exec, s[40:41]
	v_lshlrev_b64 v[20:21], 2, v[2:3]
	v_mov_b32_e32 v2, s13
	v_add_co_u32_e32 v20, vcc, s12, v20
	v_mov_b32_e32 v13, v3
	v_addc_co_u32_e32 v21, vcc, v2, v21, vcc
	v_lshlrev_b64 v[12:13], 2, v[12:13]
	v_add_co_u32_e32 v12, vcc, s12, v12
	v_addc_co_u32_e32 v13, vcc, v2, v13, vcc
	v_lshlrev_b64 v[16:17], 2, v[16:17]
	v_add_co_u32_e32 v16, vcc, s12, v16
	v_addc_co_u32_e32 v17, vcc, v2, v17, vcc
	v_lshlrev_b64 v[18:19], 2, v[18:19]
	v_add_co_u32_e32 v18, vcc, s12, v18
	v_addc_co_u32_e32 v19, vcc, v2, v19, vcc
	global_load_dword v2, v[20:21], off
	global_load_dword v7, v[12:13], off
	global_load_dword v9, v[16:17], off
	global_load_dword v33, v[18:19], off
	s_andn2_b64 vcc, exec, s[18:19]
	v_pk_mov_b32 v[12:13], s[10:11], s[10:11] op_sel:[0,1]
	v_pk_mov_b32 v[16:17], s[8:9], s[8:9] op_sel:[0,1]
	s_cbranch_vccnz .LBB73_33
; %bb.32:                               ;   in Loop: Header=BB73_3 Depth=1
	v_pk_mov_b32 v[12:13], s[10:11], s[10:11] op_sel:[0,1]
	flat_load_dwordx2 v[12:13], v[12:13]
	v_pk_mov_b32 v[16:17], s[8:9], s[8:9] op_sel:[0,1]
	flat_load_dwordx2 v[16:17], v[16:17]
	v_mov_b32_e32 v18, s15
	s_waitcnt vmcnt(0) lgkmcnt(0)
	v_add_co_u32_e32 v12, vcc, s14, v12
	v_addc_co_u32_e32 v13, vcc, v13, v18, vcc
.LBB73_33:                              ;   in Loop: Header=BB73_3 Depth=1
	v_alignbit_b32 v26, v13, v12, 2
	v_lshrrev_b32_e32 v27, 2, v13
	v_xor_b32_e32 v18, v4, v16
	v_and_b32_e32 v34, 3, v12
	v_mad_u64_u32 v[12:13], s[2:3], v26, s61, 0
	v_xor_b32_e32 v18, v18, v27
	v_xor_b32_e32 v13, v13, v17
	v_add_u32_e32 v39, 0xbb67ae85, v17
	v_mad_u64_u32 v[18:19], s[2:3], v18, s61, 0
	v_mad_u64_u32 v[20:21], s[2:3], v13, s58, 0
	v_xor_b32_e32 v19, v39, v19
	v_add_u32_e32 v38, 0x9e3779b9, v16
	v_xor_b32_e32 v13, v0, v21
	v_xor_b32_e32 v19, v19, v12
	v_xor_b32_e32 v13, v13, v38
	v_add_u32_e32 v40, 0x3c6ef372, v16
	v_mad_u64_u32 v[22:23], s[2:3], v19, s58, 0
	v_add_u32_e32 v41, 0x76cf5d0a, v17
	v_mad_u64_u32 v[12:13], s[2:3], v13, s61, 0
	v_xor_b32_e32 v19, v40, v23
	v_xor_b32_e32 v19, v19, v20
	v_xor_b32_e32 v13, v41, v13
	v_xor_b32_e32 v13, v13, v18
	v_add_u32_e32 v43, 0x32370b8f, v17
	v_mad_u64_u32 v[18:19], s[2:3], v19, s61, 0
	v_add_u32_e32 v42, 0xdaa66d2b, v16
	v_mad_u64_u32 v[20:21], s[2:3], v13, s58, 0
	v_xor_b32_e32 v19, v43, v19
	;; [unrolled: 8-line block ×5, first 2 shown]
	v_xor_b32_e32 v19, v19, v20
	v_xor_b32_e32 v13, v49, v13
	;; [unrolled: 1-line block ×3, first 2 shown]
	v_add_u32_e32 v51, 0x1fd5c5a3, v17
	v_mad_u64_u32 v[18:19], s[2:3], v19, s61, 0
	v_xor_b32_e32 v19, v51, v19
	v_xor_b32_e32 v12, v19, v12
	v_add_u32_e32 v50, 0x5384540f, v16
	v_mad_u64_u32 v[24:25], s[2:3], v13, s58, 0
	v_add_co_u32_e32 v36, vcc, s62, v16
	v_mad_u64_u32 v[20:21], s[2:3], v12, s58, 0
	v_xor_b32_e32 v13, v50, v25
	v_xor_b32_e32 v12, v36, v21
	;; [unrolled: 1-line block ×4, first 2 shown]
	v_mad_u64_u32 v[22:23], s[2:3], v13, s61, 0
	v_mad_u64_u32 v[12:13], s[2:3], v12, s61, 0
	v_add_u32_e32 v37, 0x96a522ad, v17
	v_xor_b32_e32 v13, v13, v22
	v_xor_b32_e32 v35, v37, v13
	v_add_co_u32_e32 v13, vcc, 1, v26
	v_cndmask_b32_e64 v22, 0, 1, vcc
	v_addc_co_u32_e32 v28, vcc, 0, v27, vcc
	v_cmp_eq_u32_e32 vcc, 0, v28
	v_cndmask_b32_e32 v22, 0, v22, vcc
	v_add_u32_e32 v26, v22, v5
	v_cmp_eq_u32_e32 vcc, 0, v26
	v_mad_u64_u32 v[24:25], s[2:3], v13, s61, 0
	v_mad_u64_u32 v[26:27], s[2:3], v26, s58, 0
	v_add_u32_e32 v21, 0x8ff34781, v16
	v_cndmask_b32_e32 v22, 0, v22, vcc
	v_xor_b32_e32 v13, v27, v16
	v_xor_b32_e32 v16, v25, v17
	;; [unrolled: 1-line block ×4, first 2 shown]
	v_mad_u64_u32 v[28:29], s[2:3], v22, s58, 0
	v_add_u32_e32 v19, 0xdb3d7428, v17
	v_mad_u64_u32 v[16:17], s[2:3], v13, s61, 0
	v_xor_b32_e32 v13, v38, v29
	v_xor_b32_e32 v13, v13, v26
	v_xor_b32_e32 v17, v39, v17
	v_xor_b32_e32 v17, v17, v24
	v_mad_u64_u32 v[24:25], s[2:3], v13, s61, 0
	v_mad_u64_u32 v[26:27], s[2:3], v17, s58, 0
	v_xor_b32_e32 v17, v41, v25
	v_xor_b32_e32 v13, v40, v27
	v_xor_b32_e32 v22, v17, v16
	v_xor_b32_e32 v13, v13, v28
	v_mad_u64_u32 v[28:29], s[2:3], v22, s58, 0
	;; [unrolled: 6-line block ×7, first 2 shown]
	v_xor_b32_e32 v13, v19, v27
	v_xor_b32_e32 v13, v13, v16
	v_mad_u64_u32 v[28:29], s[2:3], v17, s58, 0
	v_mad_u64_u32 v[16:17], s[2:3], v13, s58, 0
	v_xor_b32_e32 v13, v17, v28
	v_xor_b32_e32 v13, v21, v13
	v_cmp_lt_i32_e32 vcc, 1, v34
                                        ; implicit-def: $vgpr25
	s_and_saveexec_b64 s[2:3], vcc
	s_xor_b64 s[2:3], exec, s[2:3]
	s_cbranch_execz .LBB73_39
; %bb.34:                               ;   in Loop: Header=BB73_3 Depth=1
	v_cmp_lt_i32_e32 vcc, 2, v34
                                        ; implicit-def: $vgpr25
	s_and_saveexec_b64 s[40:41], vcc
	s_xor_b64 s[40:41], exec, s[40:41]
; %bb.35:                               ;   in Loop: Header=BB73_3 Depth=1
	v_xor_b32_e32 v17, v36, v29
	v_xor_b32_e32 v17, v17, v24
	v_mul_hi_u32 v17, v17, s61
	v_xor_b32_e32 v17, v17, v26
	v_xor_b32_e32 v25, v37, v17
                                        ; implicit-def: $vgpr35
; %bb.36:                               ;   in Loop: Header=BB73_3 Depth=1
	s_andn2_saveexec_b64 s[40:41], s[40:41]
; %bb.37:                               ;   in Loop: Header=BB73_3 Depth=1
	v_mov_b32_e32 v25, v16
	v_mov_b32_e32 v16, v13
	;; [unrolled: 1-line block ×4, first 2 shown]
; %bb.38:                               ;   in Loop: Header=BB73_3 Depth=1
	s_or_b64 exec, exec, s[40:41]
                                        ; implicit-def: $vgpr18_vgpr19
                                        ; implicit-def: $vgpr20_vgpr21
                                        ; implicit-def: $vgpr34
                                        ; implicit-def: $vgpr35
                                        ; implicit-def: $vgpr22_vgpr23
                                        ; implicit-def: $vgpr19
                                        ; implicit-def: $vgpr21
.LBB73_39:                              ;   in Loop: Header=BB73_3 Depth=1
	s_andn2_saveexec_b64 s[2:3], s[2:3]
	s_cbranch_execz .LBB73_43
; %bb.40:                               ;   in Loop: Header=BB73_3 Depth=1
	v_xor_b32_e32 v16, v19, v23
	v_xor_b32_e32 v16, v16, v18
	v_mad_u64_u32 v[18:19], s[40:41], v16, s58, 0
	v_xor_b32_e32 v16, v19, v20
	v_xor_b32_e32 v17, v21, v16
	v_cmp_eq_u32_e32 vcc, 1, v34
	v_mov_b32_e32 v25, v12
	v_mov_b32_e32 v16, v35
	;; [unrolled: 1-line block ×3, first 2 shown]
	s_and_saveexec_b64 s[40:41], vcc
; %bb.41:                               ;   in Loop: Header=BB73_3 Depth=1
	v_mov_b32_e32 v25, v13
	v_mov_b32_e32 v16, v12
	;; [unrolled: 1-line block ×4, first 2 shown]
; %bb.42:                               ;   in Loop: Header=BB73_3 Depth=1
	s_or_b64 exec, exec, s[40:41]
	v_mov_b32_e32 v12, v17
	v_mov_b32_e32 v13, v19
.LBB73_43:                              ;   in Loop: Header=BB73_3 Depth=1
	s_or_b64 exec, exec, s[2:3]
	v_min_i32_e32 v17, 4, v32
	v_cmp_lt_i32_e32 vcc, 2, v17
	s_mov_b64 s[40:41], 0
	s_mov_b64 s[52:53], 0
	;; [unrolled: 1-line block ×3, first 2 shown]
                                        ; implicit-def: $sgpr44_sgpr45
                                        ; implicit-def: $sgpr46_sgpr47
                                        ; implicit-def: $sgpr48_sgpr49
	s_and_saveexec_b64 s[2:3], vcc
	s_xor_b64 s[50:51], exec, s[2:3]
	s_cbranch_execz .LBB73_55
; %bb.44:                               ;   in Loop: Header=BB73_3 Depth=1
	v_cmp_lt_i32_e32 vcc, 3, v17
	s_mov_b64 s[2:3], -1
	s_mov_b64 s[54:55], 0
                                        ; implicit-def: $sgpr42_sgpr43
                                        ; implicit-def: $sgpr44_sgpr45
	s_and_saveexec_b64 s[46:47], vcc
	s_cbranch_execz .LBB73_50
; %bb.45:                               ;   in Loop: Header=BB73_3 Depth=1
	v_cmp_eq_u32_e32 vcc, 4, v17
	s_mov_b64 s[2:3], 0
	s_mov_b64 s[54:55], -1
                                        ; implicit-def: $sgpr42_sgpr43
                                        ; implicit-def: $sgpr44_sgpr45
	s_and_saveexec_b64 s[48:49], vcc
	s_cbranch_execz .LBB73_49
; %bb.46:                               ;   in Loop: Header=BB73_3 Depth=1
	s_waitcnt vmcnt(0)
	v_cmp_le_f32_e32 vcc, 0, v33
	v_cmp_ge_f32_e64 s[2:3], 1.0, v33
	s_and_b64 s[54:55], vcc, s[2:3]
	s_mov_b64 s[42:43], 0
	s_mov_b64 s[2:3], 0
	s_and_saveexec_b64 s[44:45], s[54:55]
	s_cbranch_execz .LBB73_48
; %bb.47:                               ;   in Loop: Header=BB73_3 Depth=1
	v_cvt_f32_u32_e32 v18, v25
	v_mov_b32_e32 v19, 0x2f800000
	v_lshlrev_b64 v[14:15], 3, v[14:15]
	s_waitcnt lgkmcnt(0)
	v_add_co_u32_e32 v14, vcc, s16, v14
	v_fmac_f32_e32 v19, 0x2f800000, v18
	v_mov_b32_e32 v18, s17
	v_addc_co_u32_e32 v15, vcc, v18, v15, vcc
	v_cmp_le_f32_e32 vcc, v19, v33
	s_mov_b64 s[2:3], exec
	v_cndmask_b32_e32 v19, 0, v31, vcc
	v_mov_b32_e32 v18, v3
	global_store_dwordx2 v[14:15], v[18:19], off
.LBB73_48:                              ;   in Loop: Header=BB73_3 Depth=1
	s_or_b64 exec, exec, s[44:45]
	s_mov_b64 s[44:45], -1
	s_xor_b64 s[54:55], exec, -1
	s_and_b64 s[2:3], s[2:3], exec
.LBB73_49:                              ;   in Loop: Header=BB73_3 Depth=1
	s_or_b64 exec, exec, s[48:49]
	s_and_b64 s[54:55], s[54:55], exec
	s_orn2_b64 s[2:3], s[2:3], exec
.LBB73_50:                              ;   in Loop: Header=BB73_3 Depth=1
	s_or_b64 exec, exec, s[46:47]
	s_mov_b64 s[48:49], s[42:43]
	s_and_saveexec_b64 s[46:47], s[2:3]
	s_cbranch_execz .LBB73_54
; %bb.51:                               ;   in Loop: Header=BB73_3 Depth=1
	s_waitcnt vmcnt(1)
	v_cmp_le_f32_e32 vcc, 0, v9
	v_cmp_ge_f32_e64 s[2:3], 1.0, v9
	s_and_b64 s[48:49], vcc, s[2:3]
	s_mov_b64 s[2:3], 0
	s_and_saveexec_b64 s[52:53], s[48:49]
	s_xor_b64 s[48:49], exec, s[52:53]
	s_cbranch_execz .LBB73_53
; %bb.52:                               ;   in Loop: Header=BB73_3 Depth=1
	v_cvt_f32_u32_e32 v14, v16
	v_mov_b32_e32 v15, 0x2f800000
	v_lshlrev_b64 v[10:11], 3, v[10:11]
	s_waitcnt lgkmcnt(0)
	v_add_co_u32_e32 v10, vcc, s16, v10
	v_fmac_f32_e32 v15, 0x2f800000, v14
	v_mov_b32_e32 v14, s17
	v_addc_co_u32_e32 v11, vcc, v14, v11, vcc
	v_cmp_le_f32_e32 vcc, v15, v9
	v_cndmask_b32_e32 v15, 0, v31, vcc
	v_mov_b32_e32 v14, v3
	s_mov_b64 s[2:3], exec
	global_store_dwordx2 v[10:11], v[14:15], off
.LBB73_53:                              ;   in Loop: Header=BB73_3 Depth=1
	s_or_b64 exec, exec, s[48:49]
	s_andn2_b64 s[48:49], s[42:43], exec
	s_or_b64 s[42:43], s[42:43], exec
	s_andn2_b64 s[44:45], s[44:45], exec
	s_and_b64 s[52:53], s[2:3], exec
.LBB73_54:                              ;   in Loop: Header=BB73_3 Depth=1
	s_or_b64 exec, exec, s[46:47]
	s_and_b64 s[48:49], s[48:49], exec
	s_and_b64 s[46:47], s[42:43], exec
	;; [unrolled: 1-line block ×5, first 2 shown]
.LBB73_55:                              ;   in Loop: Header=BB73_3 Depth=1
	s_andn2_saveexec_b64 s[2:3], s[50:51]
; %bb.56:                               ;   in Loop: Header=BB73_3 Depth=1
	v_cmp_lt_i32_e32 vcc, 1, v17
	s_andn2_b64 s[50:51], s[52:53], exec
	s_and_b64 s[52:53], vcc, exec
	s_mov_b64 s[40:41], exec
	s_andn2_b64 s[48:49], s[48:49], exec
	s_andn2_b64 s[46:47], s[46:47], exec
	s_andn2_b64 s[44:45], s[44:45], exec
	s_or_b64 s[52:53], s[50:51], s[52:53]
; %bb.57:                               ;   in Loop: Header=BB73_3 Depth=1
	s_or_b64 exec, exec, s[2:3]
	s_mov_b64 s[2:3], 0
	s_mov_b64 s[50:51], s[48:49]
	s_and_saveexec_b64 s[54:55], s[52:53]
	s_cbranch_execnz .LBB73_60
; %bb.58:                               ;   in Loop: Header=BB73_3 Depth=1
	s_or_b64 exec, exec, s[54:55]
	s_and_saveexec_b64 s[52:53], s[40:41]
	s_cbranch_execnz .LBB73_63
.LBB73_59:                              ;   in Loop: Header=BB73_3 Depth=1
	s_or_b64 exec, exec, s[52:53]
	s_and_saveexec_b64 s[40:41], s[2:3]
	s_cbranch_execnz .LBB73_64
	s_branch .LBB73_67
.LBB73_60:                              ;   in Loop: Header=BB73_3 Depth=1
	s_waitcnt vmcnt(2)
	v_cmp_le_f32_e32 vcc, 0, v7
	v_cmp_ge_f32_e64 s[2:3], 1.0, v7
	s_and_b64 s[50:51], vcc, s[2:3]
	s_mov_b64 s[2:3], 0
	s_and_saveexec_b64 s[52:53], s[50:51]
	s_xor_b64 s[50:51], exec, s[52:53]
	s_cbranch_execz .LBB73_62
; %bb.61:                               ;   in Loop: Header=BB73_3 Depth=1
	v_cvt_f32_u32_e32 v10, v13
	s_waitcnt vmcnt(1)
	v_mov_b32_e32 v9, v3
	v_mov_b32_e32 v11, 0x2f800000
	v_lshlrev_b64 v[8:9], 3, v[8:9]
	v_fmac_f32_e32 v11, 0x2f800000, v10
	s_waitcnt lgkmcnt(0)
	v_mov_b32_e32 v10, s17
	v_add_co_u32_e32 v8, vcc, s16, v8
	v_addc_co_u32_e32 v9, vcc, v10, v9, vcc
	v_cmp_le_f32_e32 vcc, v11, v7
	v_cndmask_b32_e32 v11, 0, v31, vcc
	v_mov_b32_e32 v10, v3
	s_mov_b64 s[2:3], exec
	global_store_dwordx2 v[8:9], v[10:11], off
.LBB73_62:                              ;   in Loop: Header=BB73_3 Depth=1
	s_or_b64 exec, exec, s[50:51]
	s_andn2_b64 s[50:51], s[48:49], exec
	s_or_b64 s[48:49], s[48:49], exec
	s_andn2_b64 s[46:47], s[46:47], exec
	s_andn2_b64 s[44:45], s[44:45], exec
	s_and_b64 s[2:3], s[2:3], exec
	s_andn2_b64 s[40:41], s[40:41], exec
	s_or_b64 exec, exec, s[54:55]
	s_and_saveexec_b64 s[52:53], s[40:41]
	s_cbranch_execz .LBB73_59
.LBB73_63:                              ;   in Loop: Header=BB73_3 Depth=1
	v_cmp_eq_u32_e32 vcc, 1, v17
	s_andn2_b64 s[2:3], s[2:3], exec
	s_and_b64 s[40:41], vcc, exec
	s_andn2_b64 s[50:51], s[50:51], exec
	s_andn2_b64 s[48:49], s[48:49], exec
	;; [unrolled: 1-line block ×4, first 2 shown]
	s_or_b64 s[42:43], s[42:43], exec
	s_or_b64 s[2:3], s[2:3], s[40:41]
	s_or_b64 exec, exec, s[52:53]
	s_and_saveexec_b64 s[40:41], s[2:3]
	s_cbranch_execz .LBB73_67
.LBB73_64:                              ;   in Loop: Header=BB73_3 Depth=1
	s_waitcnt vmcnt(3)
	v_cmp_le_f32_e32 vcc, 0, v2
	v_cmp_ge_f32_e64 s[2:3], 1.0, v2
	s_and_b64 s[54:55], vcc, s[2:3]
	s_mov_b64 s[2:3], 0
	s_and_saveexec_b64 s[52:53], s[54:55]
	s_cbranch_execz .LBB73_66
; %bb.65:                               ;   in Loop: Header=BB73_3 Depth=1
	v_cvt_f32_u32_e32 v8, v12
	s_waitcnt vmcnt(2)
	v_mov_b32_e32 v7, v3
	s_waitcnt vmcnt(1)
	v_mov_b32_e32 v9, 0x2f800000
	v_lshlrev_b64 v[6:7], 3, v[6:7]
	v_fmac_f32_e32 v9, 0x2f800000, v8
	s_waitcnt lgkmcnt(0)
	v_mov_b32_e32 v8, s17
	v_add_co_u32_e32 v6, vcc, s16, v6
	v_addc_co_u32_e32 v7, vcc, v8, v7, vcc
	v_cmp_le_f32_e32 vcc, v9, v2
	s_mov_b64 s[2:3], exec
	v_cndmask_b32_e32 v9, 0, v31, vcc
	v_mov_b32_e32 v8, v3
	global_store_dwordx2 v[6:7], v[8:9], off
.LBB73_66:                              ;   in Loop: Header=BB73_3 Depth=1
	s_or_b64 exec, exec, s[52:53]
	s_andn2_b64 s[42:43], s[42:43], exec
	s_and_b64 s[2:3], s[2:3], exec
	s_or_b64 s[50:51], s[50:51], exec
	s_andn2_b64 s[48:49], s[48:49], exec
	s_andn2_b64 s[46:47], s[46:47], exec
	;; [unrolled: 1-line block ×3, first 2 shown]
	s_or_b64 s[42:43], s[42:43], s[2:3]
.LBB73_67:                              ;   in Loop: Header=BB73_3 Depth=1
	s_or_b64 exec, exec, s[40:41]
	s_andn2_b64 s[38:39], s[38:39], exec
	s_and_b64 s[40:41], s[50:51], exec
	s_or_b64 s[38:39], s[38:39], s[40:41]
	s_andn2_b64 s[36:37], s[36:37], exec
	s_and_b64 s[40:41], s[48:49], exec
	s_or_b64 s[36:37], s[36:37], s[40:41]
	;; [unrolled: 3-line block ×3, first 2 shown]
	s_andn2_b64 s[30:31], s[30:31], exec
	s_and_b64 s[40:41], s[44:45], exec
	s_mov_b64 s[2:3], -1
	s_or_b64 s[30:31], s[30:31], s[40:41]
	s_and_saveexec_b64 s[40:41], s[42:43]
	s_cbranch_execz .LBB73_2
; %bb.68:                               ;   in Loop: Header=BB73_3 Depth=1
	v_add_u32_e32 v30, s59, v30
	v_cmp_le_u32_e32 vcc, s33, v30
	s_andn2_b64 s[38:39], s[38:39], exec
	s_andn2_b64 s[36:37], s[36:37], exec
	;; [unrolled: 1-line block ×4, first 2 shown]
	s_orn2_b64 s[2:3], vcc, exec
	s_branch .LBB73_2
.LBB73_69:
	s_or_b64 exec, exec, s[22:23]
	s_xor_b64 s[8:9], s[28:29], -1
	s_xor_b64 s[10:11], s[26:27], -1
	;; [unrolled: 1-line block ×3, first 2 shown]
	s_mov_b64 s[2:3], 0
	s_and_saveexec_b64 s[6:7], s[0:1]
	s_xor_b64 s[0:1], exec, s[6:7]
	s_cbranch_execnz .LBB73_74
; %bb.70:
	s_andn2_saveexec_b64 s[0:1], s[0:1]
	s_cbranch_execnz .LBB73_82
.LBB73_71:
	s_or_b64 exec, exec, s[0:1]
	s_and_b64 exec, exec, s[2:3]
.LBB73_72:
	; divergent unreachable
.LBB73_73:
	s_endpgm
.LBB73_74:
	s_mov_b64 s[6:7], 0
	s_and_saveexec_b64 s[2:3], s[10:11]
	s_xor_b64 s[2:3], exec, s[2:3]
	s_cbranch_execz .LBB73_80
; %bb.75:
	s_and_saveexec_b64 s[10:11], s[8:9]
	s_xor_b64 s[8:9], exec, s[10:11]
	s_cbranch_execz .LBB73_78
; %bb.76:
	s_and_saveexec_b64 s[10:11], s[4:5]
	s_xor_b64 s[4:5], exec, s[10:11]
	s_cbranch_execnz .LBB73_85
.LBB73_77:
	s_or_b64 exec, exec, s[4:5]
	s_and_b64 s[6:7], s[6:7], exec
.LBB73_78:
	s_andn2_saveexec_b64 s[4:5], s[8:9]
	s_cbranch_execnz .LBB73_84
.LBB73_79:
	s_or_b64 exec, exec, s[4:5]
	s_and_b64 s[6:7], s[6:7], exec
.LBB73_80:
	s_andn2_saveexec_b64 s[2:3], s[2:3]
	s_cbranch_execnz .LBB73_83
.LBB73_81:
	s_or_b64 exec, exec, s[2:3]
	s_and_b64 s[2:3], s[6:7], exec
	s_andn2_saveexec_b64 s[0:1], s[0:1]
	s_cbranch_execz .LBB73_71
.LBB73_82:
	s_or_b64 s[2:3], s[2:3], exec
	s_trap 2
	s_or_b64 exec, exec, s[0:1]
	s_and_b64 exec, exec, s[2:3]
	s_cbranch_execnz .LBB73_72
	s_branch .LBB73_73
.LBB73_83:
	s_or_b64 s[6:7], s[6:7], exec
	s_trap 2
	s_branch .LBB73_81
.LBB73_84:
	s_trap 2
	s_or_b64 s[6:7], s[6:7], exec
	s_branch .LBB73_79
.LBB73_85:
	s_mov_b64 s[6:7], exec
	s_trap 2
	s_branch .LBB73_77
	.section	.rodata,"a",@progbits
	.p2align	6, 0x0
	.amdhsa_kernel _ZN2at4cuda12_GLOBAL__N_121kernelPointwiseApply2IZNS_6native9templates4cuda28bernoulli_tensor_cuda_kernelIdfEEvRKNS_10TensorBaseES9_NS_15PhiloxCudaStateEEUliRdSB_SB_SB_RKfSD_SD_SD_E_dSC_jLin1ELi2ELi4ELi512ELi2EEEvNS0_6detail10TensorInfoIT0_T2_EENSG_IT1_SI_EESI_T_
		.amdhsa_group_segment_fixed_size 0
		.amdhsa_private_segment_fixed_size 0
		.amdhsa_kernarg_size 728
		.amdhsa_user_sgpr_count 6
		.amdhsa_user_sgpr_private_segment_buffer 1
		.amdhsa_user_sgpr_dispatch_ptr 0
		.amdhsa_user_sgpr_queue_ptr 0
		.amdhsa_user_sgpr_kernarg_segment_ptr 1
		.amdhsa_user_sgpr_dispatch_id 0
		.amdhsa_user_sgpr_flat_scratch_init 0
		.amdhsa_user_sgpr_kernarg_preload_length 0
		.amdhsa_user_sgpr_kernarg_preload_offset 0
		.amdhsa_user_sgpr_private_segment_size 0
		.amdhsa_uses_dynamic_stack 0
		.amdhsa_system_sgpr_private_segment_wavefront_offset 0
		.amdhsa_system_sgpr_workgroup_id_x 1
		.amdhsa_system_sgpr_workgroup_id_y 0
		.amdhsa_system_sgpr_workgroup_id_z 0
		.amdhsa_system_sgpr_workgroup_info 0
		.amdhsa_system_vgpr_workitem_id 0
		.amdhsa_next_free_vgpr 52
		.amdhsa_next_free_sgpr 63
		.amdhsa_accum_offset 52
		.amdhsa_reserve_vcc 1
		.amdhsa_reserve_flat_scratch 0
		.amdhsa_float_round_mode_32 0
		.amdhsa_float_round_mode_16_64 0
		.amdhsa_float_denorm_mode_32 3
		.amdhsa_float_denorm_mode_16_64 3
		.amdhsa_dx10_clamp 1
		.amdhsa_ieee_mode 1
		.amdhsa_fp16_overflow 0
		.amdhsa_tg_split 0
		.amdhsa_exception_fp_ieee_invalid_op 0
		.amdhsa_exception_fp_denorm_src 0
		.amdhsa_exception_fp_ieee_div_zero 0
		.amdhsa_exception_fp_ieee_overflow 0
		.amdhsa_exception_fp_ieee_underflow 0
		.amdhsa_exception_fp_ieee_inexact 0
		.amdhsa_exception_int_div_zero 0
	.end_amdhsa_kernel
	.section	.text._ZN2at4cuda12_GLOBAL__N_121kernelPointwiseApply2IZNS_6native9templates4cuda28bernoulli_tensor_cuda_kernelIdfEEvRKNS_10TensorBaseES9_NS_15PhiloxCudaStateEEUliRdSB_SB_SB_RKfSD_SD_SD_E_dSC_jLin1ELi2ELi4ELi512ELi2EEEvNS0_6detail10TensorInfoIT0_T2_EENSG_IT1_SI_EESI_T_,"axG",@progbits,_ZN2at4cuda12_GLOBAL__N_121kernelPointwiseApply2IZNS_6native9templates4cuda28bernoulli_tensor_cuda_kernelIdfEEvRKNS_10TensorBaseES9_NS_15PhiloxCudaStateEEUliRdSB_SB_SB_RKfSD_SD_SD_E_dSC_jLin1ELi2ELi4ELi512ELi2EEEvNS0_6detail10TensorInfoIT0_T2_EENSG_IT1_SI_EESI_T_,comdat
.Lfunc_end73:
	.size	_ZN2at4cuda12_GLOBAL__N_121kernelPointwiseApply2IZNS_6native9templates4cuda28bernoulli_tensor_cuda_kernelIdfEEvRKNS_10TensorBaseES9_NS_15PhiloxCudaStateEEUliRdSB_SB_SB_RKfSD_SD_SD_E_dSC_jLin1ELi2ELi4ELi512ELi2EEEvNS0_6detail10TensorInfoIT0_T2_EENSG_IT1_SI_EESI_T_, .Lfunc_end73-_ZN2at4cuda12_GLOBAL__N_121kernelPointwiseApply2IZNS_6native9templates4cuda28bernoulli_tensor_cuda_kernelIdfEEvRKNS_10TensorBaseES9_NS_15PhiloxCudaStateEEUliRdSB_SB_SB_RKfSD_SD_SD_E_dSC_jLin1ELi2ELi4ELi512ELi2EEEvNS0_6detail10TensorInfoIT0_T2_EENSG_IT1_SI_EESI_T_
                                        ; -- End function
	.section	.AMDGPU.csdata,"",@progbits
; Kernel info:
; codeLenInByte = 3984
; NumSgprs: 67
; NumVgprs: 52
; NumAgprs: 0
; TotalNumVgprs: 52
; ScratchSize: 0
; MemoryBound: 0
; FloatMode: 240
; IeeeMode: 1
; LDSByteSize: 0 bytes/workgroup (compile time only)
; SGPRBlocks: 8
; VGPRBlocks: 6
; NumSGPRsForWavesPerEU: 67
; NumVGPRsForWavesPerEU: 52
; AccumOffset: 52
; Occupancy: 8
; WaveLimiterHint : 1
; COMPUTE_PGM_RSRC2:SCRATCH_EN: 0
; COMPUTE_PGM_RSRC2:USER_SGPR: 6
; COMPUTE_PGM_RSRC2:TRAP_HANDLER: 0
; COMPUTE_PGM_RSRC2:TGID_X_EN: 1
; COMPUTE_PGM_RSRC2:TGID_Y_EN: 0
; COMPUTE_PGM_RSRC2:TGID_Z_EN: 0
; COMPUTE_PGM_RSRC2:TIDIG_COMP_CNT: 0
; COMPUTE_PGM_RSRC3_GFX90A:ACCUM_OFFSET: 12
; COMPUTE_PGM_RSRC3_GFX90A:TG_SPLIT: 0
	.section	.text._ZN2at4cuda12_GLOBAL__N_121kernelPointwiseApply2IZNS_6native9templates4cuda28bernoulli_tensor_cuda_kernelIdfEEvRKNS_10TensorBaseES9_NS_15PhiloxCudaStateEEUliRdSB_SB_SB_RKfSD_SD_SD_E_dSC_jLin1ELin1ELi4ELi512ELi2EEEvNS0_6detail10TensorInfoIT0_T2_EENSG_IT1_SI_EESI_T_,"axG",@progbits,_ZN2at4cuda12_GLOBAL__N_121kernelPointwiseApply2IZNS_6native9templates4cuda28bernoulli_tensor_cuda_kernelIdfEEvRKNS_10TensorBaseES9_NS_15PhiloxCudaStateEEUliRdSB_SB_SB_RKfSD_SD_SD_E_dSC_jLin1ELin1ELi4ELi512ELi2EEEvNS0_6detail10TensorInfoIT0_T2_EENSG_IT1_SI_EESI_T_,comdat
	.globl	_ZN2at4cuda12_GLOBAL__N_121kernelPointwiseApply2IZNS_6native9templates4cuda28bernoulli_tensor_cuda_kernelIdfEEvRKNS_10TensorBaseES9_NS_15PhiloxCudaStateEEUliRdSB_SB_SB_RKfSD_SD_SD_E_dSC_jLin1ELin1ELi4ELi512ELi2EEEvNS0_6detail10TensorInfoIT0_T2_EENSG_IT1_SI_EESI_T_ ; -- Begin function _ZN2at4cuda12_GLOBAL__N_121kernelPointwiseApply2IZNS_6native9templates4cuda28bernoulli_tensor_cuda_kernelIdfEEvRKNS_10TensorBaseES9_NS_15PhiloxCudaStateEEUliRdSB_SB_SB_RKfSD_SD_SD_E_dSC_jLin1ELin1ELi4ELi512ELi2EEEvNS0_6detail10TensorInfoIT0_T2_EENSG_IT1_SI_EESI_T_
	.p2align	8
	.type	_ZN2at4cuda12_GLOBAL__N_121kernelPointwiseApply2IZNS_6native9templates4cuda28bernoulli_tensor_cuda_kernelIdfEEvRKNS_10TensorBaseES9_NS_15PhiloxCudaStateEEUliRdSB_SB_SB_RKfSD_SD_SD_E_dSC_jLin1ELin1ELi4ELi512ELi2EEEvNS0_6detail10TensorInfoIT0_T2_EENSG_IT1_SI_EESI_T_,@function
_ZN2at4cuda12_GLOBAL__N_121kernelPointwiseApply2IZNS_6native9templates4cuda28bernoulli_tensor_cuda_kernelIdfEEvRKNS_10TensorBaseES9_NS_15PhiloxCudaStateEEUliRdSB_SB_SB_RKfSD_SD_SD_E_dSC_jLin1ELin1ELi4ELi512ELi2EEEvNS0_6detail10TensorInfoIT0_T2_EENSG_IT1_SI_EESI_T_: ; @_ZN2at4cuda12_GLOBAL__N_121kernelPointwiseApply2IZNS_6native9templates4cuda28bernoulli_tensor_cuda_kernelIdfEEvRKNS_10TensorBaseES9_NS_15PhiloxCudaStateEEUliRdSB_SB_SB_RKfSD_SD_SD_E_dSC_jLin1ELin1ELi4ELi512ELi2EEEvNS0_6detail10TensorInfoIT0_T2_EENSG_IT1_SI_EESI_T_
; %bb.0:
	s_load_dword s2, s[4:5], 0x1e4
	s_load_dword s33, s[4:5], 0x1b0
	s_add_u32 s0, s4, 0x1d8
	s_addc_u32 s1, s5, 0
	s_waitcnt lgkmcnt(0)
	s_and_b32 s2, s2, 0xffff
	s_mul_i32 s6, s6, s2
	v_add_u32_e32 v5, s6, v0
	v_lshlrev_b32_e32 v30, 2, v5
	v_cmp_gt_u32_e32 vcc, s33, v30
	s_and_saveexec_b64 s[6:7], vcc
	s_cbranch_execz .LBB74_85
; %bb.1:
	s_load_dword s0, s[0:1], 0x0
	s_nop 0
	s_load_dword s16, s[4:5], 0x1d0
	s_load_dword s20, s[4:5], 0xd0
	s_add_u32 s22, s4, 0xd8
	s_load_dwordx2 s[6:7], s[4:5], 0x1c8
	s_load_dwordx4 s[8:11], s[4:5], 0x1b8
	s_load_dword s24, s[4:5], 0x1a8
	s_load_dwordx2 s[12:13], s[4:5], 0xd8
	s_load_dword s56, s[4:5], 0x6c
	s_addc_u32 s23, s5, 0
	s_waitcnt lgkmcnt(0)
	s_mul_i32 s21, s0, s2
	s_cmp_gt_i32 s20, 1
	s_cselect_b64 s[0:1], -1, 0
	s_cmp_gt_i32 s24, 1
	s_mov_b32 s58, 0xcd9e8d57
	s_cselect_b64 s[2:3], -1, 0
	s_bitcmp1_b32 s16, 0
	v_mad_u64_u32 v[0:1], s[18:19], v5, s58, 0
	s_cselect_b64 s[16:17], -1, 0
	s_add_i32 s18, s20, -1
	s_mov_b32 s19, 0
	s_lshl_b32 s59, s21, 2
	s_add_i32 s60, s20, 1
	s_lshl_b64 s[20:21], s[18:19], 2
	s_load_dword s57, s[4:5], 0x144
	s_load_dwordx2 s[14:15], s[4:5], 0x0
	s_add_u32 s4, s20, s4
	s_addc_u32 s5, s21, s5
	s_add_u32 s20, s4, 8
	s_addc_u32 s21, s5, 0
	s_add_i32 s18, s24, -1
	s_add_i32 s61, s24, 1
	s_lshl_b64 s[4:5], s[18:19], 2
	s_add_u32 s4, s4, s22
	s_addc_u32 s5, s5, s23
	s_add_u32 s22, s4, 8
	v_cndmask_b32_e64 v2, 0, 1, s[0:1]
	v_mov_b32_e32 v3, 0
	v_mov_b32_e32 v4, v1
	s_addc_u32 s23, s5, 0
	s_mov_b64 s[24:25], 0
	v_cndmask_b32_e64 v1, 0, 1, s[2:3]
	s_mov_b32 s62, 0xd2511f53
	v_cmp_ne_u32_e64 s[0:1], 1, v2
	s_mov_b32 s63, 0xf1bbcdc8
	v_mov_b32_e32 v31, 0x3ff00000
                                        ; implicit-def: $sgpr26_sgpr27
                                        ; implicit-def: $sgpr28_sgpr29
                                        ; implicit-def: $sgpr30_sgpr31
                                        ; implicit-def: $sgpr18_sgpr19
                                        ; implicit-def: $sgpr34_sgpr35
                                        ; implicit-def: $sgpr36_sgpr37
                                        ; implicit-def: $sgpr38_sgpr39
                                        ; implicit-def: $sgpr40_sgpr41
	s_branch .LBB74_3
.LBB74_2:                               ;   in Loop: Header=BB74_3 Depth=1
	s_or_b64 exec, exec, s[4:5]
	s_and_b64 s[2:3], exec, s[2:3]
	s_or_b64 s[24:25], s[2:3], s[24:25]
	s_andn2_b64 s[2:3], s[18:19], exec
	s_and_b64 s[4:5], s[40:41], exec
	s_or_b64 s[18:19], s[2:3], s[4:5]
	s_andn2_b64 s[2:3], s[30:31], exec
	s_and_b64 s[4:5], s[38:39], exec
	;; [unrolled: 3-line block ×4, first 2 shown]
	s_or_b64 s[26:27], s[2:3], s[4:5]
	s_andn2_b64 exec, exec, s[24:25]
	s_cbranch_execz .LBB74_81
.LBB74_3:                               ; =>This Loop Header: Depth=1
                                        ;     Child Loop BB74_6 Depth 2
                                        ;     Child Loop BB74_11 Depth 2
	;; [unrolled: 1-line block ×8, first 2 shown]
	v_sub_u32_e32 v32, s33, v30
	v_cmp_lt_i32_e64 s[4:5], 0, v32
	v_mov_b32_e32 v6, 0
	s_and_saveexec_b64 s[2:3], s[4:5]
	s_cbranch_execz .LBB74_8
; %bb.4:                                ;   in Loop: Header=BB74_3 Depth=1
	s_and_b64 vcc, exec, s[0:1]
	v_mov_b32_e32 v6, 0
	s_waitcnt vmcnt(3)
	v_mov_b32_e32 v2, v30
	s_cbranch_vccnz .LBB74_7
; %bb.5:                                ;   in Loop: Header=BB74_3 Depth=1
	v_mov_b32_e32 v6, 0
	s_mov_b64 s[42:43], s[20:21]
	s_mov_b32 s44, s60
	v_mov_b32_e32 v2, v30
.LBB74_6:                               ;   Parent Loop BB74_3 Depth=1
                                        ; =>  This Inner Loop Header: Depth=2
	s_load_dword s45, s[42:43], 0x0
	s_load_dword s46, s[42:43], 0x64
	s_waitcnt vmcnt(2)
	v_mov_b32_e32 v7, v2
	s_add_i32 s44, s44, -1
	s_waitcnt lgkmcnt(0)
	v_cvt_f32_u32_e32 v2, s45
	s_sub_i32 s47, 0, s45
	s_add_u32 s42, s42, -4
	s_addc_u32 s43, s43, -1
	v_rcp_iflag_f32_e32 v2, v2
	s_cmp_gt_u32 s44, 2
	v_mul_f32_e32 v2, 0x4f7ffffe, v2
	v_cvt_u32_f32_e32 v2, v2
	v_mul_lo_u32 v8, s47, v2
	v_mul_hi_u32 v8, v2, v8
	v_add_u32_e32 v2, v2, v8
	v_mul_hi_u32 v2, v7, v2
	v_mul_lo_u32 v8, v2, s45
	v_sub_u32_e32 v8, v7, v8
	s_waitcnt vmcnt(1)
	v_add_u32_e32 v9, 1, v2
	v_cmp_le_u32_e32 vcc, s45, v8
	v_cndmask_b32_e32 v2, v2, v9, vcc
	v_subrev_u32_e32 v9, s45, v8
	v_cndmask_b32_e32 v8, v8, v9, vcc
	v_add_u32_e32 v9, 1, v2
	v_cmp_le_u32_e32 vcc, s45, v8
	v_cndmask_b32_e32 v2, v2, v9, vcc
	v_mul_lo_u32 v8, v2, s45
	v_sub_u32_e32 v7, v7, v8
	v_mad_u64_u32 v[6:7], s[46:47], s46, v7, v[6:7]
	s_cbranch_scc1 .LBB74_6
.LBB74_7:                               ;   in Loop: Header=BB74_3 Depth=1
	s_waitcnt vmcnt(2)
	v_mad_u64_u32 v[6:7], s[42:43], s56, v2, v[6:7]
.LBB74_8:                               ;   in Loop: Header=BB74_3 Depth=1
	s_or_b64 exec, exec, s[2:3]
	s_waitcnt vmcnt(3)
	v_mov_b32_e32 v2, 0
	v_cmp_ne_u32_e64 s[2:3], 1, v1
	s_and_saveexec_b64 s[42:43], s[4:5]
	s_cbranch_execz .LBB74_13
; %bb.9:                                ;   in Loop: Header=BB74_3 Depth=1
	s_and_b64 vcc, exec, s[2:3]
	v_mov_b32_e32 v8, 0
	v_mov_b32_e32 v2, v30
	s_cbranch_vccnz .LBB74_12
; %bb.10:                               ;   in Loop: Header=BB74_3 Depth=1
	v_mov_b32_e32 v8, 0
	s_mov_b64 s[4:5], s[22:23]
	s_mov_b32 s44, s61
	v_mov_b32_e32 v2, v30
.LBB74_11:                              ;   Parent Loop BB74_3 Depth=1
                                        ; =>  This Inner Loop Header: Depth=2
	s_load_dword s45, s[4:5], 0x0
	s_load_dword s46, s[4:5], 0x64
	s_waitcnt vmcnt(2)
	v_mov_b32_e32 v7, v2
	s_add_i32 s44, s44, -1
	s_waitcnt lgkmcnt(0)
	v_cvt_f32_u32_e32 v2, s45
	s_sub_i32 s47, 0, s45
	s_add_u32 s4, s4, -4
	s_addc_u32 s5, s5, -1
	v_rcp_iflag_f32_e32 v2, v2
	s_cmp_gt_u32 s44, 2
	v_mul_f32_e32 v2, 0x4f7ffffe, v2
	v_cvt_u32_f32_e32 v2, v2
	s_waitcnt vmcnt(1)
	v_mul_lo_u32 v9, s47, v2
	v_mul_hi_u32 v9, v2, v9
	v_add_u32_e32 v2, v2, v9
	v_mul_hi_u32 v2, v7, v2
	v_mul_lo_u32 v9, v2, s45
	v_sub_u32_e32 v9, v7, v9
	v_add_u32_e32 v10, 1, v2
	v_cmp_le_u32_e32 vcc, s45, v9
	v_cndmask_b32_e32 v2, v2, v10, vcc
	v_subrev_u32_e32 v10, s45, v9
	v_cndmask_b32_e32 v9, v9, v10, vcc
	v_add_u32_e32 v10, 1, v2
	v_cmp_le_u32_e32 vcc, s45, v9
	v_cndmask_b32_e32 v2, v2, v10, vcc
	v_mul_lo_u32 v9, v2, s45
	v_sub_u32_e32 v7, v7, v9
	v_mad_u64_u32 v[8:9], s[46:47], s46, v7, v[8:9]
	s_cbranch_scc1 .LBB74_11
.LBB74_12:                              ;   in Loop: Header=BB74_3 Depth=1
	s_waitcnt vmcnt(1) lgkmcnt(0)
	v_mad_u64_u32 v[8:9], s[4:5], s57, v2, v[8:9]
	v_mov_b32_e32 v2, v8
.LBB74_13:                              ;   in Loop: Header=BB74_3 Depth=1
	s_or_b64 exec, exec, s[42:43]
	s_waitcnt vmcnt(2)
	v_or_b32_e32 v7, 1, v30
	v_cmp_lt_i32_e64 s[4:5], 1, v32
	v_mov_b32_e32 v8, 0
	s_and_saveexec_b64 s[42:43], s[4:5]
	s_cbranch_execz .LBB74_18
; %bb.14:                               ;   in Loop: Header=BB74_3 Depth=1
	s_and_b64 vcc, exec, s[0:1]
	v_mov_b32_e32 v8, 0
	v_mov_b32_e32 v10, v7
	s_cbranch_vccnz .LBB74_17
; %bb.15:                               ;   in Loop: Header=BB74_3 Depth=1
	v_mov_b32_e32 v8, 0
	s_mov_b64 s[44:45], s[20:21]
	s_mov_b32 s46, s60
	v_mov_b32_e32 v10, v7
.LBB74_16:                              ;   Parent Loop BB74_3 Depth=1
                                        ; =>  This Inner Loop Header: Depth=2
	s_load_dword s47, s[44:45], 0x0
	s_load_dword s48, s[44:45], 0x64
	s_waitcnt vmcnt(1)
	v_mov_b32_e32 v9, v10
	s_add_i32 s46, s46, -1
	s_waitcnt lgkmcnt(0)
	v_cvt_f32_u32_e32 v10, s47
	s_sub_i32 s49, 0, s47
	s_add_u32 s44, s44, -4
	s_addc_u32 s45, s45, -1
	v_rcp_iflag_f32_e32 v10, v10
	s_cmp_gt_u32 s46, 2
	v_mul_f32_e32 v10, 0x4f7ffffe, v10
	v_cvt_u32_f32_e32 v10, v10
	s_waitcnt vmcnt(0)
	v_mul_lo_u32 v11, s49, v10
	v_mul_hi_u32 v11, v10, v11
	v_add_u32_e32 v10, v10, v11
	v_mul_hi_u32 v10, v9, v10
	v_mul_lo_u32 v11, v10, s47
	v_sub_u32_e32 v11, v9, v11
	v_add_u32_e32 v12, 1, v10
	v_cmp_le_u32_e32 vcc, s47, v11
	v_cndmask_b32_e32 v10, v10, v12, vcc
	v_subrev_u32_e32 v12, s47, v11
	v_cndmask_b32_e32 v11, v11, v12, vcc
	v_add_u32_e32 v12, 1, v10
	v_cmp_le_u32_e32 vcc, s47, v11
	v_cndmask_b32_e32 v10, v10, v12, vcc
	v_mul_lo_u32 v11, v10, s47
	v_sub_u32_e32 v9, v9, v11
	v_mad_u64_u32 v[8:9], s[48:49], s48, v9, v[8:9]
	s_cbranch_scc1 .LBB74_16
.LBB74_17:                              ;   in Loop: Header=BB74_3 Depth=1
	s_waitcnt vmcnt(1)
	v_mad_u64_u32 v[8:9], s[44:45], s56, v10, v[8:9]
.LBB74_18:                              ;   in Loop: Header=BB74_3 Depth=1
	s_or_b64 exec, exec, s[42:43]
	v_mov_b32_e32 v12, 0
	s_and_saveexec_b64 s[42:43], s[4:5]
	s_cbranch_execz .LBB74_23
; %bb.19:                               ;   in Loop: Header=BB74_3 Depth=1
	s_and_b64 vcc, exec, s[2:3]
	v_mov_b32_e32 v10, 0
	s_cbranch_vccnz .LBB74_22
; %bb.20:                               ;   in Loop: Header=BB74_3 Depth=1
	v_mov_b32_e32 v10, 0
	s_mov_b64 s[4:5], s[22:23]
	s_mov_b32 s44, s61
.LBB74_21:                              ;   Parent Loop BB74_3 Depth=1
                                        ; =>  This Inner Loop Header: Depth=2
	s_load_dword s45, s[4:5], 0x0
	s_load_dword s46, s[4:5], 0x64
	s_waitcnt vmcnt(1)
	v_mov_b32_e32 v9, v7
	s_add_i32 s44, s44, -1
	s_waitcnt lgkmcnt(0)
	v_cvt_f32_u32_e32 v7, s45
	s_sub_i32 s47, 0, s45
	s_add_u32 s4, s4, -4
	s_addc_u32 s5, s5, -1
	v_rcp_iflag_f32_e32 v7, v7
	s_cmp_gt_u32 s44, 2
	v_mul_f32_e32 v7, 0x4f7ffffe, v7
	v_cvt_u32_f32_e32 v7, v7
	s_waitcnt vmcnt(0)
	v_mul_lo_u32 v11, s47, v7
	v_mul_hi_u32 v11, v7, v11
	v_add_u32_e32 v7, v7, v11
	v_mul_hi_u32 v7, v9, v7
	v_mul_lo_u32 v11, v7, s45
	v_sub_u32_e32 v11, v9, v11
	v_add_u32_e32 v12, 1, v7
	v_cmp_le_u32_e32 vcc, s45, v11
	v_cndmask_b32_e32 v7, v7, v12, vcc
	v_subrev_u32_e32 v12, s45, v11
	v_cndmask_b32_e32 v11, v11, v12, vcc
	v_add_u32_e32 v12, 1, v7
	v_cmp_le_u32_e32 vcc, s45, v11
	v_cndmask_b32_e32 v7, v7, v12, vcc
	v_mul_lo_u32 v11, v7, s45
	v_sub_u32_e32 v9, v9, v11
	v_mad_u64_u32 v[10:11], s[46:47], s46, v9, v[10:11]
	s_cbranch_scc1 .LBB74_21
.LBB74_22:                              ;   in Loop: Header=BB74_3 Depth=1
	s_waitcnt vmcnt(0) lgkmcnt(0)
	v_mad_u64_u32 v[12:13], s[4:5], s57, v7, v[10:11]
.LBB74_23:                              ;   in Loop: Header=BB74_3 Depth=1
	s_or_b64 exec, exec, s[42:43]
	v_or_b32_e32 v7, 2, v30
	v_cmp_lt_i32_e64 s[4:5], 2, v32
	v_mov_b32_e32 v10, 0
	s_and_saveexec_b64 s[42:43], s[4:5]
	s_cbranch_execz .LBB74_28
; %bb.24:                               ;   in Loop: Header=BB74_3 Depth=1
	s_and_b64 vcc, exec, s[0:1]
	v_mov_b32_e32 v10, 0
	s_waitcnt vmcnt(1)
	v_mov_b32_e32 v9, v7
	s_cbranch_vccnz .LBB74_27
; %bb.25:                               ;   in Loop: Header=BB74_3 Depth=1
	v_mov_b32_e32 v10, 0
	s_mov_b64 s[44:45], s[20:21]
	s_mov_b32 s46, s60
	v_mov_b32_e32 v9, v7
.LBB74_26:                              ;   Parent Loop BB74_3 Depth=1
                                        ; =>  This Inner Loop Header: Depth=2
	s_load_dword s47, s[44:45], 0x0
	s_load_dword s48, s[44:45], 0x64
	s_waitcnt vmcnt(0)
	v_mov_b32_e32 v11, v9
	s_add_i32 s46, s46, -1
	s_waitcnt lgkmcnt(0)
	v_cvt_f32_u32_e32 v9, s47
	s_sub_i32 s49, 0, s47
	s_add_u32 s44, s44, -4
	s_addc_u32 s45, s45, -1
	v_rcp_iflag_f32_e32 v9, v9
	s_cmp_gt_u32 s46, 2
	v_mul_f32_e32 v9, 0x4f7ffffe, v9
	v_cvt_u32_f32_e32 v9, v9
	v_mul_lo_u32 v13, s49, v9
	v_mul_hi_u32 v13, v9, v13
	v_add_u32_e32 v9, v9, v13
	v_mul_hi_u32 v9, v11, v9
	v_mul_lo_u32 v13, v9, s47
	v_sub_u32_e32 v13, v11, v13
	v_add_u32_e32 v14, 1, v9
	v_cmp_le_u32_e32 vcc, s47, v13
	v_cndmask_b32_e32 v9, v9, v14, vcc
	v_subrev_u32_e32 v14, s47, v13
	v_cndmask_b32_e32 v13, v13, v14, vcc
	v_add_u32_e32 v14, 1, v9
	v_cmp_le_u32_e32 vcc, s47, v13
	v_cndmask_b32_e32 v9, v9, v14, vcc
	v_mul_lo_u32 v13, v9, s47
	v_sub_u32_e32 v11, v11, v13
	v_mad_u64_u32 v[10:11], s[48:49], s48, v11, v[10:11]
	s_cbranch_scc1 .LBB74_26
.LBB74_27:                              ;   in Loop: Header=BB74_3 Depth=1
	s_waitcnt vmcnt(0)
	v_mad_u64_u32 v[10:11], s[44:45], s56, v9, v[10:11]
.LBB74_28:                              ;   in Loop: Header=BB74_3 Depth=1
	s_or_b64 exec, exec, s[42:43]
	v_pk_mov_b32 v[16:17], 0, 0
	s_and_saveexec_b64 s[42:43], s[4:5]
	s_cbranch_execz .LBB74_33
; %bb.29:                               ;   in Loop: Header=BB74_3 Depth=1
	s_and_b64 vcc, exec, s[2:3]
	v_mov_b32_e32 v14, 0
	s_cbranch_vccnz .LBB74_32
; %bb.30:                               ;   in Loop: Header=BB74_3 Depth=1
	v_mov_b32_e32 v14, 0
	s_mov_b64 s[4:5], s[22:23]
	s_mov_b32 s44, s61
.LBB74_31:                              ;   Parent Loop BB74_3 Depth=1
                                        ; =>  This Inner Loop Header: Depth=2
	s_load_dword s45, s[4:5], 0x0
	s_load_dword s46, s[4:5], 0x64
	s_waitcnt vmcnt(1)
	v_mov_b32_e32 v9, v7
	s_add_i32 s44, s44, -1
	s_waitcnt lgkmcnt(0)
	v_cvt_f32_u32_e32 v7, s45
	s_sub_i32 s47, 0, s45
	s_add_u32 s4, s4, -4
	s_addc_u32 s5, s5, -1
	v_rcp_iflag_f32_e32 v7, v7
	s_cmp_gt_u32 s44, 2
	v_mul_f32_e32 v7, 0x4f7ffffe, v7
	v_cvt_u32_f32_e32 v7, v7
	s_waitcnt vmcnt(0)
	v_mul_lo_u32 v11, s47, v7
	v_mul_hi_u32 v11, v7, v11
	v_add_u32_e32 v7, v7, v11
	v_mul_hi_u32 v7, v9, v7
	v_mul_lo_u32 v11, v7, s45
	v_sub_u32_e32 v11, v9, v11
	v_add_u32_e32 v13, 1, v7
	v_cmp_le_u32_e32 vcc, s45, v11
	v_cndmask_b32_e32 v7, v7, v13, vcc
	v_subrev_u32_e32 v13, s45, v11
	v_cndmask_b32_e32 v11, v11, v13, vcc
	v_add_u32_e32 v13, 1, v7
	v_cmp_le_u32_e32 vcc, s45, v11
	v_cndmask_b32_e32 v7, v7, v13, vcc
	v_mul_lo_u32 v11, v7, s45
	v_sub_u32_e32 v9, v9, v11
	v_mad_u64_u32 v[14:15], s[46:47], s46, v9, v[14:15]
	s_cbranch_scc1 .LBB74_31
.LBB74_32:                              ;   in Loop: Header=BB74_3 Depth=1
	s_waitcnt lgkmcnt(0)
	v_mad_u64_u32 v[16:17], s[4:5], s57, v7, v[14:15]
	v_mov_b32_e32 v17, v3
.LBB74_33:                              ;   in Loop: Header=BB74_3 Depth=1
	s_or_b64 exec, exec, s[42:43]
	v_or_b32_e32 v7, 3, v30
	v_cmp_lt_i32_e64 s[4:5], 3, v32
	v_pk_mov_b32 v[14:15], 0, 0
	s_and_saveexec_b64 s[42:43], s[4:5]
	s_cbranch_execz .LBB74_38
; %bb.34:                               ;   in Loop: Header=BB74_3 Depth=1
	s_and_b64 vcc, exec, s[0:1]
	v_mov_b32_e32 v14, 0
	s_waitcnt vmcnt(1)
	v_mov_b32_e32 v9, v7
	s_cbranch_vccnz .LBB74_37
; %bb.35:                               ;   in Loop: Header=BB74_3 Depth=1
	v_mov_b32_e32 v14, 0
	s_mov_b64 s[44:45], s[20:21]
	s_mov_b32 s46, s60
	v_mov_b32_e32 v9, v7
.LBB74_36:                              ;   Parent Loop BB74_3 Depth=1
                                        ; =>  This Inner Loop Header: Depth=2
	s_load_dword s47, s[44:45], 0x0
	s_load_dword s48, s[44:45], 0x64
	s_waitcnt vmcnt(0)
	v_mov_b32_e32 v11, v9
	s_add_i32 s46, s46, -1
	s_waitcnt lgkmcnt(0)
	v_cvt_f32_u32_e32 v9, s47
	s_sub_i32 s49, 0, s47
	s_add_u32 s44, s44, -4
	s_addc_u32 s45, s45, -1
	v_rcp_iflag_f32_e32 v9, v9
	s_cmp_gt_u32 s46, 2
	v_mul_f32_e32 v9, 0x4f7ffffe, v9
	v_cvt_u32_f32_e32 v9, v9
	v_mul_lo_u32 v13, s49, v9
	v_mul_hi_u32 v13, v9, v13
	v_add_u32_e32 v9, v9, v13
	v_mul_hi_u32 v9, v11, v9
	v_mul_lo_u32 v13, v9, s47
	v_sub_u32_e32 v13, v11, v13
	v_add_u32_e32 v15, 1, v9
	v_cmp_le_u32_e32 vcc, s47, v13
	v_cndmask_b32_e32 v9, v9, v15, vcc
	v_subrev_u32_e32 v15, s47, v13
	v_cndmask_b32_e32 v13, v13, v15, vcc
	v_add_u32_e32 v15, 1, v9
	v_cmp_le_u32_e32 vcc, s47, v13
	v_cndmask_b32_e32 v9, v9, v15, vcc
	v_mul_lo_u32 v13, v9, s47
	v_sub_u32_e32 v11, v11, v13
	v_mad_u64_u32 v[14:15], s[48:49], s48, v11, v[14:15]
	s_cbranch_scc1 .LBB74_36
.LBB74_37:                              ;   in Loop: Header=BB74_3 Depth=1
	v_mad_u64_u32 v[14:15], s[44:45], s56, v9, v[14:15]
	v_mov_b32_e32 v15, v3
.LBB74_38:                              ;   in Loop: Header=BB74_3 Depth=1
	s_or_b64 exec, exec, s[42:43]
	v_pk_mov_b32 v[18:19], 0, 0
	s_and_saveexec_b64 s[42:43], s[4:5]
	s_cbranch_execz .LBB74_43
; %bb.39:                               ;   in Loop: Header=BB74_3 Depth=1
	s_and_b64 vcc, exec, s[2:3]
	v_mov_b32_e32 v18, 0
	s_cbranch_vccnz .LBB74_42
; %bb.40:                               ;   in Loop: Header=BB74_3 Depth=1
	v_mov_b32_e32 v18, 0
	s_mov_b64 s[2:3], s[22:23]
	s_mov_b32 s4, s61
.LBB74_41:                              ;   Parent Loop BB74_3 Depth=1
                                        ; =>  This Inner Loop Header: Depth=2
	s_load_dword s5, s[2:3], 0x0
	s_load_dword s44, s[2:3], 0x64
	s_waitcnt vmcnt(1)
	v_mov_b32_e32 v9, v7
	s_add_i32 s4, s4, -1
	s_waitcnt lgkmcnt(0)
	v_cvt_f32_u32_e32 v7, s5
	s_sub_i32 s45, 0, s5
	s_add_u32 s2, s2, -4
	s_addc_u32 s3, s3, -1
	v_rcp_iflag_f32_e32 v7, v7
	s_cmp_gt_u32 s4, 2
	v_mul_f32_e32 v7, 0x4f7ffffe, v7
	v_cvt_u32_f32_e32 v7, v7
	s_waitcnt vmcnt(0)
	v_mul_lo_u32 v11, s45, v7
	v_mul_hi_u32 v11, v7, v11
	v_add_u32_e32 v7, v7, v11
	v_mul_hi_u32 v7, v9, v7
	v_mul_lo_u32 v11, v7, s5
	v_sub_u32_e32 v11, v9, v11
	v_add_u32_e32 v13, 1, v7
	v_cmp_le_u32_e32 vcc, s5, v11
	v_cndmask_b32_e32 v7, v7, v13, vcc
	v_subrev_u32_e32 v13, s5, v11
	v_cndmask_b32_e32 v11, v11, v13, vcc
	v_add_u32_e32 v13, 1, v7
	v_cmp_le_u32_e32 vcc, s5, v11
	v_cndmask_b32_e32 v7, v7, v13, vcc
	v_mul_lo_u32 v11, v7, s5
	v_sub_u32_e32 v9, v9, v11
	v_mad_u64_u32 v[18:19], s[44:45], s44, v9, v[18:19]
	s_cbranch_scc1 .LBB74_41
.LBB74_42:                              ;   in Loop: Header=BB74_3 Depth=1
	s_waitcnt lgkmcnt(0)
	v_mad_u64_u32 v[18:19], s[2:3], s57, v7, v[18:19]
	v_mov_b32_e32 v19, v3
.LBB74_43:                              ;   in Loop: Header=BB74_3 Depth=1
	s_or_b64 exec, exec, s[42:43]
	v_lshlrev_b64 v[20:21], 2, v[2:3]
	v_mov_b32_e32 v2, s13
	v_add_co_u32_e32 v20, vcc, s12, v20
	v_mov_b32_e32 v13, v3
	v_addc_co_u32_e32 v21, vcc, v2, v21, vcc
	v_lshlrev_b64 v[12:13], 2, v[12:13]
	v_add_co_u32_e32 v12, vcc, s12, v12
	v_addc_co_u32_e32 v13, vcc, v2, v13, vcc
	v_lshlrev_b64 v[16:17], 2, v[16:17]
	v_add_co_u32_e32 v16, vcc, s12, v16
	v_addc_co_u32_e32 v17, vcc, v2, v17, vcc
	v_lshlrev_b64 v[18:19], 2, v[18:19]
	v_add_co_u32_e32 v18, vcc, s12, v18
	v_addc_co_u32_e32 v19, vcc, v2, v19, vcc
	global_load_dword v2, v[20:21], off
	global_load_dword v7, v[12:13], off
	;; [unrolled: 1-line block ×4, first 2 shown]
	s_andn2_b64 vcc, exec, s[16:17]
	v_pk_mov_b32 v[12:13], s[10:11], s[10:11] op_sel:[0,1]
	v_pk_mov_b32 v[16:17], s[8:9], s[8:9] op_sel:[0,1]
	s_cbranch_vccnz .LBB74_45
; %bb.44:                               ;   in Loop: Header=BB74_3 Depth=1
	v_pk_mov_b32 v[12:13], s[10:11], s[10:11] op_sel:[0,1]
	flat_load_dwordx2 v[12:13], v[12:13]
	v_pk_mov_b32 v[16:17], s[8:9], s[8:9] op_sel:[0,1]
	flat_load_dwordx2 v[16:17], v[16:17]
	v_mov_b32_e32 v18, s7
	s_waitcnt vmcnt(0) lgkmcnt(0)
	v_add_co_u32_e32 v12, vcc, s6, v12
	v_addc_co_u32_e32 v13, vcc, v13, v18, vcc
.LBB74_45:                              ;   in Loop: Header=BB74_3 Depth=1
	v_alignbit_b32 v26, v13, v12, 2
	v_lshrrev_b32_e32 v27, 2, v13
	v_xor_b32_e32 v18, v4, v16
	v_and_b32_e32 v33, 3, v12
	v_mad_u64_u32 v[12:13], s[2:3], v26, s62, 0
	v_xor_b32_e32 v18, v18, v27
	v_xor_b32_e32 v13, v13, v17
	v_add_u32_e32 v38, 0xbb67ae85, v17
	v_mad_u64_u32 v[18:19], s[2:3], v18, s62, 0
	v_mad_u64_u32 v[20:21], s[2:3], v13, s58, 0
	v_xor_b32_e32 v19, v38, v19
	v_add_u32_e32 v37, 0x9e3779b9, v16
	v_xor_b32_e32 v13, v0, v21
	v_xor_b32_e32 v19, v19, v12
	v_xor_b32_e32 v13, v13, v37
	v_add_u32_e32 v39, 0x3c6ef372, v16
	v_mad_u64_u32 v[22:23], s[2:3], v19, s58, 0
	v_add_u32_e32 v40, 0x76cf5d0a, v17
	v_mad_u64_u32 v[12:13], s[2:3], v13, s62, 0
	v_xor_b32_e32 v19, v39, v23
	v_xor_b32_e32 v19, v19, v20
	v_xor_b32_e32 v13, v40, v13
	v_xor_b32_e32 v13, v13, v18
	v_add_u32_e32 v42, 0x32370b8f, v17
	v_mad_u64_u32 v[18:19], s[2:3], v19, s62, 0
	v_add_u32_e32 v41, 0xdaa66d2b, v16
	v_mad_u64_u32 v[20:21], s[2:3], v13, s58, 0
	v_xor_b32_e32 v19, v42, v19
	;; [unrolled: 8-line block ×5, first 2 shown]
	v_xor_b32_e32 v19, v19, v20
	v_xor_b32_e32 v13, v48, v13
	;; [unrolled: 1-line block ×3, first 2 shown]
	v_add_u32_e32 v50, 0x1fd5c5a3, v17
	v_mad_u64_u32 v[18:19], s[2:3], v19, s62, 0
	v_xor_b32_e32 v19, v50, v19
	v_xor_b32_e32 v12, v19, v12
	v_add_u32_e32 v49, 0x5384540f, v16
	v_mad_u64_u32 v[24:25], s[2:3], v13, s58, 0
	v_add_co_u32_e32 v35, vcc, s63, v16
	v_mad_u64_u32 v[20:21], s[2:3], v12, s58, 0
	v_xor_b32_e32 v13, v49, v25
	v_xor_b32_e32 v12, v35, v21
	;; [unrolled: 1-line block ×4, first 2 shown]
	v_mad_u64_u32 v[22:23], s[2:3], v13, s62, 0
	v_mad_u64_u32 v[12:13], s[2:3], v12, s62, 0
	v_add_u32_e32 v36, 0x96a522ad, v17
	v_xor_b32_e32 v13, v13, v22
	v_xor_b32_e32 v34, v36, v13
	v_add_co_u32_e32 v13, vcc, 1, v26
	v_cndmask_b32_e64 v22, 0, 1, vcc
	v_addc_co_u32_e32 v28, vcc, 0, v27, vcc
	v_cmp_eq_u32_e32 vcc, 0, v28
	v_cndmask_b32_e32 v22, 0, v22, vcc
	v_add_u32_e32 v26, v22, v5
	v_cmp_eq_u32_e32 vcc, 0, v26
	v_mad_u64_u32 v[24:25], s[2:3], v13, s62, 0
	v_mad_u64_u32 v[26:27], s[2:3], v26, s58, 0
	v_add_u32_e32 v21, 0x8ff34781, v16
	v_cndmask_b32_e32 v22, 0, v22, vcc
	v_xor_b32_e32 v13, v27, v16
	v_xor_b32_e32 v16, v25, v17
	;; [unrolled: 1-line block ×4, first 2 shown]
	v_mad_u64_u32 v[28:29], s[2:3], v22, s58, 0
	v_add_u32_e32 v19, 0xdb3d7428, v17
	v_mad_u64_u32 v[16:17], s[2:3], v13, s62, 0
	v_xor_b32_e32 v13, v37, v29
	v_xor_b32_e32 v13, v13, v26
	v_xor_b32_e32 v17, v38, v17
	v_xor_b32_e32 v17, v17, v24
	v_mad_u64_u32 v[24:25], s[2:3], v13, s62, 0
	v_mad_u64_u32 v[26:27], s[2:3], v17, s58, 0
	v_xor_b32_e32 v17, v40, v25
	v_xor_b32_e32 v13, v39, v27
	v_xor_b32_e32 v22, v17, v16
	v_xor_b32_e32 v13, v13, v28
	v_mad_u64_u32 v[28:29], s[2:3], v22, s58, 0
	;; [unrolled: 6-line block ×7, first 2 shown]
	v_xor_b32_e32 v13, v19, v27
	v_xor_b32_e32 v13, v13, v16
	v_mad_u64_u32 v[28:29], s[2:3], v17, s58, 0
	v_mad_u64_u32 v[16:17], s[2:3], v13, s58, 0
	v_xor_b32_e32 v13, v17, v28
	v_xor_b32_e32 v13, v21, v13
	v_cmp_lt_i32_e32 vcc, 1, v33
                                        ; implicit-def: $vgpr25
	s_and_saveexec_b64 s[2:3], vcc
	s_xor_b64 s[2:3], exec, s[2:3]
	s_cbranch_execz .LBB74_51
; %bb.46:                               ;   in Loop: Header=BB74_3 Depth=1
	v_cmp_lt_i32_e32 vcc, 2, v33
                                        ; implicit-def: $vgpr25
	s_and_saveexec_b64 s[4:5], vcc
	s_xor_b64 s[4:5], exec, s[4:5]
; %bb.47:                               ;   in Loop: Header=BB74_3 Depth=1
	v_xor_b32_e32 v17, v35, v29
	v_xor_b32_e32 v17, v17, v24
	v_mul_hi_u32 v17, v17, s62
	v_xor_b32_e32 v17, v17, v26
	v_xor_b32_e32 v25, v36, v17
                                        ; implicit-def: $vgpr34
; %bb.48:                               ;   in Loop: Header=BB74_3 Depth=1
	s_andn2_saveexec_b64 s[4:5], s[4:5]
; %bb.49:                               ;   in Loop: Header=BB74_3 Depth=1
	v_mov_b32_e32 v25, v16
	v_mov_b32_e32 v16, v13
	;; [unrolled: 1-line block ×4, first 2 shown]
; %bb.50:                               ;   in Loop: Header=BB74_3 Depth=1
	s_or_b64 exec, exec, s[4:5]
                                        ; implicit-def: $vgpr18_vgpr19
                                        ; implicit-def: $vgpr20_vgpr21
                                        ; implicit-def: $vgpr33
                                        ; implicit-def: $vgpr34
                                        ; implicit-def: $vgpr22_vgpr23
                                        ; implicit-def: $vgpr19
                                        ; implicit-def: $vgpr21
.LBB74_51:                              ;   in Loop: Header=BB74_3 Depth=1
	s_andn2_saveexec_b64 s[2:3], s[2:3]
	s_cbranch_execz .LBB74_55
; %bb.52:                               ;   in Loop: Header=BB74_3 Depth=1
	v_xor_b32_e32 v16, v19, v23
	v_xor_b32_e32 v16, v16, v18
	v_mad_u64_u32 v[18:19], s[4:5], v16, s58, 0
	v_xor_b32_e32 v16, v19, v20
	v_xor_b32_e32 v17, v21, v16
	v_cmp_eq_u32_e32 vcc, 1, v33
	v_mov_b32_e32 v25, v12
	v_mov_b32_e32 v16, v34
	v_mov_b32_e32 v19, v18
	s_and_saveexec_b64 s[4:5], vcc
; %bb.53:                               ;   in Loop: Header=BB74_3 Depth=1
	v_mov_b32_e32 v25, v13
	v_mov_b32_e32 v16, v12
	;; [unrolled: 1-line block ×4, first 2 shown]
; %bb.54:                               ;   in Loop: Header=BB74_3 Depth=1
	s_or_b64 exec, exec, s[4:5]
	v_mov_b32_e32 v12, v17
	v_mov_b32_e32 v13, v19
.LBB74_55:                              ;   in Loop: Header=BB74_3 Depth=1
	s_or_b64 exec, exec, s[2:3]
	v_min_i32_e32 v17, 4, v32
	v_cmp_lt_i32_e32 vcc, 2, v17
	s_mov_b64 s[4:5], 0
	s_mov_b64 s[52:53], 0
	s_mov_b64 s[42:43], 0
                                        ; implicit-def: $sgpr44_sgpr45
                                        ; implicit-def: $sgpr46_sgpr47
                                        ; implicit-def: $sgpr48_sgpr49
	s_and_saveexec_b64 s[2:3], vcc
	s_xor_b64 s[50:51], exec, s[2:3]
	s_cbranch_execz .LBB74_67
; %bb.56:                               ;   in Loop: Header=BB74_3 Depth=1
	v_cmp_lt_i32_e32 vcc, 3, v17
	s_mov_b64 s[2:3], -1
	s_mov_b64 s[54:55], 0
                                        ; implicit-def: $sgpr42_sgpr43
                                        ; implicit-def: $sgpr44_sgpr45
	s_and_saveexec_b64 s[46:47], vcc
	s_cbranch_execz .LBB74_62
; %bb.57:                               ;   in Loop: Header=BB74_3 Depth=1
	v_cmp_eq_u32_e32 vcc, 4, v17
	s_mov_b64 s[2:3], 0
	s_mov_b64 s[54:55], -1
                                        ; implicit-def: $sgpr42_sgpr43
                                        ; implicit-def: $sgpr44_sgpr45
	s_and_saveexec_b64 s[48:49], vcc
	s_cbranch_execz .LBB74_61
; %bb.58:                               ;   in Loop: Header=BB74_3 Depth=1
	s_waitcnt vmcnt(0)
	v_cmp_le_f32_e32 vcc, 0, v11
	v_cmp_ge_f32_e64 s[2:3], 1.0, v11
	s_and_b64 s[54:55], vcc, s[2:3]
	s_mov_b64 s[42:43], 0
	s_mov_b64 s[2:3], 0
	s_and_saveexec_b64 s[44:45], s[54:55]
	s_cbranch_execz .LBB74_60
; %bb.59:                               ;   in Loop: Header=BB74_3 Depth=1
	v_cvt_f32_u32_e32 v18, v25
	v_mov_b32_e32 v19, 0x2f800000
	v_lshlrev_b64 v[14:15], 3, v[14:15]
	s_waitcnt lgkmcnt(0)
	v_add_co_u32_e32 v14, vcc, s14, v14
	v_fmac_f32_e32 v19, 0x2f800000, v18
	v_mov_b32_e32 v18, s15
	v_addc_co_u32_e32 v15, vcc, v18, v15, vcc
	v_cmp_le_f32_e32 vcc, v19, v11
	s_mov_b64 s[2:3], exec
	v_cndmask_b32_e32 v19, 0, v31, vcc
	v_mov_b32_e32 v18, v3
	global_store_dwordx2 v[14:15], v[18:19], off
.LBB74_60:                              ;   in Loop: Header=BB74_3 Depth=1
	s_or_b64 exec, exec, s[44:45]
	s_mov_b64 s[44:45], -1
	s_xor_b64 s[54:55], exec, -1
	s_and_b64 s[2:3], s[2:3], exec
.LBB74_61:                              ;   in Loop: Header=BB74_3 Depth=1
	s_or_b64 exec, exec, s[48:49]
	s_and_b64 s[54:55], s[54:55], exec
	s_orn2_b64 s[2:3], s[2:3], exec
.LBB74_62:                              ;   in Loop: Header=BB74_3 Depth=1
	s_or_b64 exec, exec, s[46:47]
	s_mov_b64 s[48:49], s[42:43]
	s_and_saveexec_b64 s[46:47], s[2:3]
	s_cbranch_execz .LBB74_66
; %bb.63:                               ;   in Loop: Header=BB74_3 Depth=1
	s_waitcnt vmcnt(1)
	v_cmp_le_f32_e32 vcc, 0, v9
	v_cmp_ge_f32_e64 s[2:3], 1.0, v9
	s_and_b64 s[48:49], vcc, s[2:3]
	s_mov_b64 s[2:3], 0
	s_and_saveexec_b64 s[52:53], s[48:49]
	s_xor_b64 s[48:49], exec, s[52:53]
	s_cbranch_execz .LBB74_65
; %bb.64:                               ;   in Loop: Header=BB74_3 Depth=1
	v_cvt_f32_u32_e32 v14, v16
	s_waitcnt vmcnt(0)
	v_mov_b32_e32 v11, v3
	v_mov_b32_e32 v15, 0x2f800000
	v_lshlrev_b64 v[10:11], 3, v[10:11]
	v_fmac_f32_e32 v15, 0x2f800000, v14
	s_waitcnt lgkmcnt(0)
	v_mov_b32_e32 v14, s15
	v_add_co_u32_e32 v10, vcc, s14, v10
	v_addc_co_u32_e32 v11, vcc, v14, v11, vcc
	v_cmp_le_f32_e32 vcc, v15, v9
	v_cndmask_b32_e32 v15, 0, v31, vcc
	v_mov_b32_e32 v14, v3
	s_mov_b64 s[2:3], exec
	global_store_dwordx2 v[10:11], v[14:15], off
.LBB74_65:                              ;   in Loop: Header=BB74_3 Depth=1
	s_or_b64 exec, exec, s[48:49]
	s_andn2_b64 s[48:49], s[42:43], exec
	s_or_b64 s[42:43], s[42:43], exec
	s_andn2_b64 s[44:45], s[44:45], exec
	s_and_b64 s[52:53], s[2:3], exec
.LBB74_66:                              ;   in Loop: Header=BB74_3 Depth=1
	s_or_b64 exec, exec, s[46:47]
	s_and_b64 s[48:49], s[48:49], exec
	s_and_b64 s[46:47], s[42:43], exec
	;; [unrolled: 1-line block ×5, first 2 shown]
.LBB74_67:                              ;   in Loop: Header=BB74_3 Depth=1
	s_andn2_saveexec_b64 s[2:3], s[50:51]
; %bb.68:                               ;   in Loop: Header=BB74_3 Depth=1
	v_cmp_lt_i32_e32 vcc, 1, v17
	s_andn2_b64 s[50:51], s[52:53], exec
	s_and_b64 s[52:53], vcc, exec
	s_mov_b64 s[4:5], exec
	s_andn2_b64 s[48:49], s[48:49], exec
	s_andn2_b64 s[46:47], s[46:47], exec
	;; [unrolled: 1-line block ×3, first 2 shown]
	s_or_b64 s[52:53], s[50:51], s[52:53]
; %bb.69:                               ;   in Loop: Header=BB74_3 Depth=1
	s_or_b64 exec, exec, s[2:3]
	s_mov_b64 s[2:3], 0
	s_mov_b64 s[50:51], s[48:49]
	s_and_saveexec_b64 s[54:55], s[52:53]
	s_cbranch_execnz .LBB74_72
; %bb.70:                               ;   in Loop: Header=BB74_3 Depth=1
	s_or_b64 exec, exec, s[54:55]
	s_and_saveexec_b64 s[52:53], s[4:5]
	s_cbranch_execnz .LBB74_75
.LBB74_71:                              ;   in Loop: Header=BB74_3 Depth=1
	s_or_b64 exec, exec, s[52:53]
	s_and_saveexec_b64 s[4:5], s[2:3]
	s_cbranch_execnz .LBB74_76
	s_branch .LBB74_79
.LBB74_72:                              ;   in Loop: Header=BB74_3 Depth=1
	s_waitcnt vmcnt(2)
	v_cmp_le_f32_e32 vcc, 0, v7
	v_cmp_ge_f32_e64 s[2:3], 1.0, v7
	s_and_b64 s[50:51], vcc, s[2:3]
	s_mov_b64 s[2:3], 0
	s_and_saveexec_b64 s[52:53], s[50:51]
	s_xor_b64 s[50:51], exec, s[52:53]
	s_cbranch_execz .LBB74_74
; %bb.73:                               ;   in Loop: Header=BB74_3 Depth=1
	v_cvt_f32_u32_e32 v10, v13
	s_waitcnt vmcnt(1)
	v_mov_b32_e32 v9, v3
	s_waitcnt vmcnt(0)
	v_mov_b32_e32 v11, 0x2f800000
	v_lshlrev_b64 v[8:9], 3, v[8:9]
	v_fmac_f32_e32 v11, 0x2f800000, v10
	s_waitcnt lgkmcnt(0)
	v_mov_b32_e32 v10, s15
	v_add_co_u32_e32 v8, vcc, s14, v8
	v_addc_co_u32_e32 v9, vcc, v10, v9, vcc
	v_cmp_le_f32_e32 vcc, v11, v7
	v_cndmask_b32_e32 v11, 0, v31, vcc
	v_mov_b32_e32 v10, v3
	s_mov_b64 s[2:3], exec
	global_store_dwordx2 v[8:9], v[10:11], off
.LBB74_74:                              ;   in Loop: Header=BB74_3 Depth=1
	s_or_b64 exec, exec, s[50:51]
	s_andn2_b64 s[50:51], s[48:49], exec
	s_or_b64 s[48:49], s[48:49], exec
	s_andn2_b64 s[46:47], s[46:47], exec
	s_andn2_b64 s[44:45], s[44:45], exec
	s_and_b64 s[2:3], s[2:3], exec
	s_andn2_b64 s[4:5], s[4:5], exec
	s_or_b64 exec, exec, s[54:55]
	s_and_saveexec_b64 s[52:53], s[4:5]
	s_cbranch_execz .LBB74_71
.LBB74_75:                              ;   in Loop: Header=BB74_3 Depth=1
	v_cmp_eq_u32_e32 vcc, 1, v17
	s_andn2_b64 s[2:3], s[2:3], exec
	s_and_b64 s[4:5], vcc, exec
	s_andn2_b64 s[50:51], s[50:51], exec
	s_andn2_b64 s[48:49], s[48:49], exec
	;; [unrolled: 1-line block ×4, first 2 shown]
	s_or_b64 s[42:43], s[42:43], exec
	s_or_b64 s[2:3], s[2:3], s[4:5]
	s_or_b64 exec, exec, s[52:53]
	s_and_saveexec_b64 s[4:5], s[2:3]
	s_cbranch_execz .LBB74_79
.LBB74_76:                              ;   in Loop: Header=BB74_3 Depth=1
	s_waitcnt vmcnt(3)
	v_cmp_le_f32_e32 vcc, 0, v2
	v_cmp_ge_f32_e64 s[2:3], 1.0, v2
	s_and_b64 s[54:55], vcc, s[2:3]
	s_mov_b64 s[2:3], 0
	s_and_saveexec_b64 s[52:53], s[54:55]
	s_cbranch_execz .LBB74_78
; %bb.77:                               ;   in Loop: Header=BB74_3 Depth=1
	v_cvt_f32_u32_e32 v8, v12
	s_waitcnt vmcnt(2)
	v_mov_b32_e32 v7, v3
	s_waitcnt vmcnt(1)
	v_mov_b32_e32 v9, 0x2f800000
	v_lshlrev_b64 v[6:7], 3, v[6:7]
	v_fmac_f32_e32 v9, 0x2f800000, v8
	s_waitcnt lgkmcnt(0)
	v_mov_b32_e32 v8, s15
	v_add_co_u32_e32 v6, vcc, s14, v6
	v_addc_co_u32_e32 v7, vcc, v8, v7, vcc
	v_cmp_le_f32_e32 vcc, v9, v2
	s_mov_b64 s[2:3], exec
	v_cndmask_b32_e32 v9, 0, v31, vcc
	v_mov_b32_e32 v8, v3
	global_store_dwordx2 v[6:7], v[8:9], off
.LBB74_78:                              ;   in Loop: Header=BB74_3 Depth=1
	s_or_b64 exec, exec, s[52:53]
	s_andn2_b64 s[42:43], s[42:43], exec
	s_and_b64 s[2:3], s[2:3], exec
	s_or_b64 s[50:51], s[50:51], exec
	s_andn2_b64 s[48:49], s[48:49], exec
	s_andn2_b64 s[46:47], s[46:47], exec
	;; [unrolled: 1-line block ×3, first 2 shown]
	s_or_b64 s[42:43], s[42:43], s[2:3]
.LBB74_79:                              ;   in Loop: Header=BB74_3 Depth=1
	s_or_b64 exec, exec, s[4:5]
	s_andn2_b64 s[4:5], s[40:41], exec
	s_and_b64 s[40:41], s[50:51], exec
	s_or_b64 s[40:41], s[4:5], s[40:41]
	s_andn2_b64 s[4:5], s[38:39], exec
	s_and_b64 s[38:39], s[48:49], exec
	s_or_b64 s[38:39], s[4:5], s[38:39]
	;; [unrolled: 3-line block ×3, first 2 shown]
	s_andn2_b64 s[4:5], s[34:35], exec
	s_and_b64 s[34:35], s[44:45], exec
	s_mov_b64 s[2:3], -1
	s_or_b64 s[34:35], s[4:5], s[34:35]
	s_and_saveexec_b64 s[4:5], s[42:43]
	s_cbranch_execz .LBB74_2
; %bb.80:                               ;   in Loop: Header=BB74_3 Depth=1
	v_add_u32_e32 v30, s59, v30
	v_cmp_le_u32_e32 vcc, s33, v30
	s_andn2_b64 s[40:41], s[40:41], exec
	s_andn2_b64 s[38:39], s[38:39], exec
	;; [unrolled: 1-line block ×4, first 2 shown]
	s_orn2_b64 s[2:3], vcc, exec
	s_branch .LBB74_2
.LBB74_81:
	s_or_b64 exec, exec, s[24:25]
	s_xor_b64 s[6:7], s[30:31], -1
	s_xor_b64 s[8:9], s[28:29], -1
	;; [unrolled: 1-line block ×3, first 2 shown]
	s_mov_b64 s[2:3], 0
	s_and_saveexec_b64 s[4:5], s[0:1]
	s_xor_b64 s[0:1], exec, s[4:5]
	s_cbranch_execnz .LBB74_86
; %bb.82:
	s_andn2_saveexec_b64 s[0:1], s[0:1]
	s_cbranch_execnz .LBB74_94
.LBB74_83:
	s_or_b64 exec, exec, s[0:1]
	s_and_b64 exec, exec, s[2:3]
.LBB74_84:
	; divergent unreachable
.LBB74_85:
	s_endpgm
.LBB74_86:
	s_mov_b64 s[4:5], 0
	s_and_saveexec_b64 s[2:3], s[8:9]
	s_xor_b64 s[2:3], exec, s[2:3]
	s_cbranch_execz .LBB74_92
; %bb.87:
	s_and_saveexec_b64 s[8:9], s[6:7]
	s_xor_b64 s[6:7], exec, s[8:9]
	s_cbranch_execz .LBB74_90
; %bb.88:
	s_and_saveexec_b64 s[8:9], s[18:19]
	s_xor_b64 s[8:9], exec, s[8:9]
	s_cbranch_execnz .LBB74_97
.LBB74_89:
	s_or_b64 exec, exec, s[8:9]
	s_and_b64 s[4:5], s[4:5], exec
.LBB74_90:
	s_andn2_saveexec_b64 s[6:7], s[6:7]
	s_cbranch_execnz .LBB74_96
.LBB74_91:
	s_or_b64 exec, exec, s[6:7]
	s_and_b64 s[4:5], s[4:5], exec
.LBB74_92:
	s_andn2_saveexec_b64 s[2:3], s[2:3]
	s_cbranch_execnz .LBB74_95
.LBB74_93:
	s_or_b64 exec, exec, s[2:3]
	s_and_b64 s[2:3], s[4:5], exec
	s_andn2_saveexec_b64 s[0:1], s[0:1]
	s_cbranch_execz .LBB74_83
.LBB74_94:
	s_or_b64 s[2:3], s[2:3], exec
	s_trap 2
	s_or_b64 exec, exec, s[0:1]
	s_and_b64 exec, exec, s[2:3]
	s_cbranch_execnz .LBB74_84
	s_branch .LBB74_85
.LBB74_95:
	s_or_b64 s[4:5], s[4:5], exec
	s_trap 2
	s_branch .LBB74_93
.LBB74_96:
	s_trap 2
	s_or_b64 s[4:5], s[4:5], exec
	s_branch .LBB74_91
.LBB74_97:
	s_mov_b64 s[4:5], exec
	s_trap 2
	s_branch .LBB74_89
	.section	.rodata,"a",@progbits
	.p2align	6, 0x0
	.amdhsa_kernel _ZN2at4cuda12_GLOBAL__N_121kernelPointwiseApply2IZNS_6native9templates4cuda28bernoulli_tensor_cuda_kernelIdfEEvRKNS_10TensorBaseES9_NS_15PhiloxCudaStateEEUliRdSB_SB_SB_RKfSD_SD_SD_E_dSC_jLin1ELin1ELi4ELi512ELi2EEEvNS0_6detail10TensorInfoIT0_T2_EENSG_IT1_SI_EESI_T_
		.amdhsa_group_segment_fixed_size 0
		.amdhsa_private_segment_fixed_size 0
		.amdhsa_kernarg_size 728
		.amdhsa_user_sgpr_count 6
		.amdhsa_user_sgpr_private_segment_buffer 1
		.amdhsa_user_sgpr_dispatch_ptr 0
		.amdhsa_user_sgpr_queue_ptr 0
		.amdhsa_user_sgpr_kernarg_segment_ptr 1
		.amdhsa_user_sgpr_dispatch_id 0
		.amdhsa_user_sgpr_flat_scratch_init 0
		.amdhsa_user_sgpr_kernarg_preload_length 0
		.amdhsa_user_sgpr_kernarg_preload_offset 0
		.amdhsa_user_sgpr_private_segment_size 0
		.amdhsa_uses_dynamic_stack 0
		.amdhsa_system_sgpr_private_segment_wavefront_offset 0
		.amdhsa_system_sgpr_workgroup_id_x 1
		.amdhsa_system_sgpr_workgroup_id_y 0
		.amdhsa_system_sgpr_workgroup_id_z 0
		.amdhsa_system_sgpr_workgroup_info 0
		.amdhsa_system_vgpr_workitem_id 0
		.amdhsa_next_free_vgpr 51
		.amdhsa_next_free_sgpr 64
		.amdhsa_accum_offset 52
		.amdhsa_reserve_vcc 1
		.amdhsa_reserve_flat_scratch 0
		.amdhsa_float_round_mode_32 0
		.amdhsa_float_round_mode_16_64 0
		.amdhsa_float_denorm_mode_32 3
		.amdhsa_float_denorm_mode_16_64 3
		.amdhsa_dx10_clamp 1
		.amdhsa_ieee_mode 1
		.amdhsa_fp16_overflow 0
		.amdhsa_tg_split 0
		.amdhsa_exception_fp_ieee_invalid_op 0
		.amdhsa_exception_fp_denorm_src 0
		.amdhsa_exception_fp_ieee_div_zero 0
		.amdhsa_exception_fp_ieee_overflow 0
		.amdhsa_exception_fp_ieee_underflow 0
		.amdhsa_exception_fp_ieee_inexact 0
		.amdhsa_exception_int_div_zero 0
	.end_amdhsa_kernel
	.section	.text._ZN2at4cuda12_GLOBAL__N_121kernelPointwiseApply2IZNS_6native9templates4cuda28bernoulli_tensor_cuda_kernelIdfEEvRKNS_10TensorBaseES9_NS_15PhiloxCudaStateEEUliRdSB_SB_SB_RKfSD_SD_SD_E_dSC_jLin1ELin1ELi4ELi512ELi2EEEvNS0_6detail10TensorInfoIT0_T2_EENSG_IT1_SI_EESI_T_,"axG",@progbits,_ZN2at4cuda12_GLOBAL__N_121kernelPointwiseApply2IZNS_6native9templates4cuda28bernoulli_tensor_cuda_kernelIdfEEvRKNS_10TensorBaseES9_NS_15PhiloxCudaStateEEUliRdSB_SB_SB_RKfSD_SD_SD_E_dSC_jLin1ELin1ELi4ELi512ELi2EEEvNS0_6detail10TensorInfoIT0_T2_EENSG_IT1_SI_EESI_T_,comdat
.Lfunc_end74:
	.size	_ZN2at4cuda12_GLOBAL__N_121kernelPointwiseApply2IZNS_6native9templates4cuda28bernoulli_tensor_cuda_kernelIdfEEvRKNS_10TensorBaseES9_NS_15PhiloxCudaStateEEUliRdSB_SB_SB_RKfSD_SD_SD_E_dSC_jLin1ELin1ELi4ELi512ELi2EEEvNS0_6detail10TensorInfoIT0_T2_EENSG_IT1_SI_EESI_T_, .Lfunc_end74-_ZN2at4cuda12_GLOBAL__N_121kernelPointwiseApply2IZNS_6native9templates4cuda28bernoulli_tensor_cuda_kernelIdfEEvRKNS_10TensorBaseES9_NS_15PhiloxCudaStateEEUliRdSB_SB_SB_RKfSD_SD_SD_E_dSC_jLin1ELin1ELi4ELi512ELi2EEEvNS0_6detail10TensorInfoIT0_T2_EENSG_IT1_SI_EESI_T_
                                        ; -- End function
	.section	.AMDGPU.csdata,"",@progbits
; Kernel info:
; codeLenInByte = 4508
; NumSgprs: 68
; NumVgprs: 51
; NumAgprs: 0
; TotalNumVgprs: 51
; ScratchSize: 0
; MemoryBound: 0
; FloatMode: 240
; IeeeMode: 1
; LDSByteSize: 0 bytes/workgroup (compile time only)
; SGPRBlocks: 8
; VGPRBlocks: 6
; NumSGPRsForWavesPerEU: 68
; NumVGPRsForWavesPerEU: 51
; AccumOffset: 52
; Occupancy: 8
; WaveLimiterHint : 1
; COMPUTE_PGM_RSRC2:SCRATCH_EN: 0
; COMPUTE_PGM_RSRC2:USER_SGPR: 6
; COMPUTE_PGM_RSRC2:TRAP_HANDLER: 0
; COMPUTE_PGM_RSRC2:TGID_X_EN: 1
; COMPUTE_PGM_RSRC2:TGID_Y_EN: 0
; COMPUTE_PGM_RSRC2:TGID_Z_EN: 0
; COMPUTE_PGM_RSRC2:TIDIG_COMP_CNT: 0
; COMPUTE_PGM_RSRC3_GFX90A:ACCUM_OFFSET: 12
; COMPUTE_PGM_RSRC3_GFX90A:TG_SPLIT: 0
	.section	.text._ZN2at4cuda12_GLOBAL__N_121kernelPointwiseApply2IZNS_6native9templates4cuda28bernoulli_tensor_cuda_kernelIdfEEvRKNS_10TensorBaseES9_NS_15PhiloxCudaStateEEUliRdSB_SB_SB_RKfSD_SD_SD_E_dSC_mLi1ELi1ELi4ELi512ELi2EEEvNS0_6detail10TensorInfoIT0_T2_EENSG_IT1_SI_EESI_T_,"axG",@progbits,_ZN2at4cuda12_GLOBAL__N_121kernelPointwiseApply2IZNS_6native9templates4cuda28bernoulli_tensor_cuda_kernelIdfEEvRKNS_10TensorBaseES9_NS_15PhiloxCudaStateEEUliRdSB_SB_SB_RKfSD_SD_SD_E_dSC_mLi1ELi1ELi4ELi512ELi2EEEvNS0_6detail10TensorInfoIT0_T2_EENSG_IT1_SI_EESI_T_,comdat
	.globl	_ZN2at4cuda12_GLOBAL__N_121kernelPointwiseApply2IZNS_6native9templates4cuda28bernoulli_tensor_cuda_kernelIdfEEvRKNS_10TensorBaseES9_NS_15PhiloxCudaStateEEUliRdSB_SB_SB_RKfSD_SD_SD_E_dSC_mLi1ELi1ELi4ELi512ELi2EEEvNS0_6detail10TensorInfoIT0_T2_EENSG_IT1_SI_EESI_T_ ; -- Begin function _ZN2at4cuda12_GLOBAL__N_121kernelPointwiseApply2IZNS_6native9templates4cuda28bernoulli_tensor_cuda_kernelIdfEEvRKNS_10TensorBaseES9_NS_15PhiloxCudaStateEEUliRdSB_SB_SB_RKfSD_SD_SD_E_dSC_mLi1ELi1ELi4ELi512ELi2EEEvNS0_6detail10TensorInfoIT0_T2_EENSG_IT1_SI_EESI_T_
	.p2align	8
	.type	_ZN2at4cuda12_GLOBAL__N_121kernelPointwiseApply2IZNS_6native9templates4cuda28bernoulli_tensor_cuda_kernelIdfEEvRKNS_10TensorBaseES9_NS_15PhiloxCudaStateEEUliRdSB_SB_SB_RKfSD_SD_SD_E_dSC_mLi1ELi1ELi4ELi512ELi2EEEvNS0_6detail10TensorInfoIT0_T2_EENSG_IT1_SI_EESI_T_,@function
_ZN2at4cuda12_GLOBAL__N_121kernelPointwiseApply2IZNS_6native9templates4cuda28bernoulli_tensor_cuda_kernelIdfEEvRKNS_10TensorBaseES9_NS_15PhiloxCudaStateEEUliRdSB_SB_SB_RKfSD_SD_SD_E_dSC_mLi1ELi1ELi4ELi512ELi2EEEvNS0_6detail10TensorInfoIT0_T2_EENSG_IT1_SI_EESI_T_: ; @_ZN2at4cuda12_GLOBAL__N_121kernelPointwiseApply2IZNS_6native9templates4cuda28bernoulli_tensor_cuda_kernelIdfEEvRKNS_10TensorBaseES9_NS_15PhiloxCudaStateEEUliRdSB_SB_SB_RKfSD_SD_SD_E_dSC_mLi1ELi1ELi4ELi512ELi2EEEvNS0_6detail10TensorInfoIT0_T2_EENSG_IT1_SI_EESI_T_
; %bb.0:
	s_load_dword s2, s[4:5], 0x374
	s_load_dwordx8 s[12:19], s[4:5], 0x340
	s_add_u32 s0, s4, 0x368
	s_addc_u32 s1, s5, 0
	v_mov_b32_e32 v2, 0
	s_waitcnt lgkmcnt(0)
	s_and_b32 s2, s2, 0xffff
	s_mul_i32 s6, s6, s2
	v_add_u32_e32 v7, s6, v0
	v_lshlrev_b32_e32 v0, 2, v7
	v_mov_b32_e32 v1, v2
	v_cmp_gt_u64_e32 vcc, s[12:13], v[0:1]
	s_and_saveexec_b64 s[6:7], vcc
	s_cbranch_execz .LBB75_43
; %bb.1:
	s_load_dword s3, s[0:1], 0x0
	s_load_dword s22, s[4:5], 0x360
	s_load_dwordx2 s[10:11], s[4:5], 0x0
	s_load_dwordx2 s[6:7], s[4:5], 0xd0
	;; [unrolled: 1-line block ×4, first 2 shown]
	s_waitcnt lgkmcnt(0)
	s_mul_i32 s3, s3, s2
	s_bitcmp1_b32 s22, 0
	s_mov_b32 s33, 0xcd9e8d57
	v_pk_mov_b32 v[8:9], s[6:7], s[6:7] op_sel:[0,1]
	s_cselect_b64 s[22:23], -1, 0
	v_mad_u64_u32 v[4:5], s[0:1], v7, s33, 0
	s_lshl_b32 s60, s3, 2
	v_mad_u64_u32 v[8:9], s[0:1], s6, v0, v[8:9]
	s_mul_i32 s0, s7, s60
	s_mul_hi_u32 s1, s6, s60
	v_add_co_u32_e32 v18, vcc, 2, v0
	s_add_i32 s62, s1, s0
	v_addc_co_u32_e64 v19, s[0:1], 0, 0, vcc
	v_add_co_u32_e32 v20, vcc, 3, v0
	v_mul_lo_u32 v12, s7, v18
	v_mul_lo_u32 v13, s6, v19
	v_mad_u64_u32 v[10:11], s[0:1], s6, v18, 0
	v_addc_co_u32_e64 v21, s[0:1], 0, 0, vcc
	v_add3_u32 v11, v11, v13, v12
	v_mul_lo_u32 v14, s7, v20
	v_mul_lo_u32 v15, s6, v21
	v_mad_u64_u32 v[12:13], s[0:1], s6, v20, 0
	v_pk_mov_b32 v[16:17], s[8:9], s[8:9] op_sel:[0,1]
	v_add3_u32 v13, v13, v15, v14
	v_mad_u64_u32 v[14:15], s[0:1], s6, v0, 0
	v_mad_u64_u32 v[16:17], s[0:1], s8, v0, v[16:17]
	s_mul_i32 s0, s9, s60
	s_mul_hi_u32 s1, s8, s60
	s_add_i32 s64, s1, s0
	v_mul_lo_u32 v22, s9, v18
	v_mul_lo_u32 v23, s8, v19
	v_mad_u64_u32 v[18:19], s[0:1], s8, v18, 0
	v_mul_lo_u32 v3, s7, v0
	v_add3_u32 v19, v19, v23, v22
	v_mul_lo_u32 v22, s9, v20
	v_mul_lo_u32 v23, s8, v21
	v_mad_u64_u32 v[20:21], s[0:1], s8, v20, 0
	v_add_u32_e32 v9, v3, v9
	v_add_u32_e32 v15, v15, v3
	v_mul_lo_u32 v3, s9, v0
	v_add3_u32 v21, v21, v23, v22
	v_mad_u64_u32 v[22:23], s[0:1], s8, v0, 0
	v_mov_b32_e32 v6, v5
	s_mov_b32 s61, 0
	v_sub_u32_e32 v5, s12, v0
	s_mul_i32 s63, s6, s60
	v_add_u32_e32 v17, v3, v17
	s_mul_i32 s65, s8, s60
	v_add_u32_e32 v23, v23, v3
	s_mov_b64 s[26:27], 0
	s_mov_b32 s66, 0xd2511f53
	v_mov_b32_e32 v40, s21
	s_mov_b32 s21, 0xf1bbcdc8
	v_mov_b32_e32 v41, 0x3ff00000
	s_mov_b64 s[42:43], 0
	s_mov_b64 s[46:47], 0
                                        ; implicit-def: $sgpr28_sgpr29
                                        ; implicit-def: $sgpr30_sgpr31
                                        ; implicit-def: $sgpr34_sgpr35
                                        ; implicit-def: $sgpr24_sgpr25
                                        ; implicit-def: $sgpr36_sgpr37
                                        ; implicit-def: $sgpr38_sgpr39
                                        ; implicit-def: $sgpr40_sgpr41
                                        ; implicit-def: $sgpr44_sgpr45
	s_branch .LBB75_3
.LBB75_2:                               ;   in Loop: Header=BB75_3 Depth=1
	s_or_b64 exec, exec, s[2:3]
	s_and_b64 s[0:1], exec, s[0:1]
	s_or_b64 s[26:27], s[0:1], s[26:27]
	s_andn2_b64 s[0:1], s[24:25], exec
	s_and_b64 s[2:3], s[44:45], exec
	s_or_b64 s[24:25], s[0:1], s[2:3]
	s_andn2_b64 s[0:1], s[34:35], exec
	s_and_b64 s[2:3], s[40:41], exec
	;; [unrolled: 3-line block ×4, first 2 shown]
	s_or_b64 s[28:29], s[0:1], s[2:3]
	s_andn2_b64 exec, exec, s[26:27]
	s_cbranch_execz .LBB75_39
.LBB75_3:                               ; =>This Inner Loop Header: Depth=1
	s_waitcnt vmcnt(0)
	v_mov_b32_e32 v3, s43
	v_add_co_u32_e32 v24, vcc, s42, v22
	v_addc_co_u32_e32 v25, vcc, v23, v3, vcc
	v_add_co_u32_e32 v26, vcc, s42, v16
	v_addc_co_u32_e32 v27, vcc, v17, v3, vcc
	v_add_co_u32_e32 v28, vcc, s42, v18
	v_cmp_lt_i32_e64 s[0:1], 0, v5
	v_addc_co_u32_e32 v29, vcc, v19, v3, vcc
	v_cndmask_b32_e64 v25, 0, v25, s[0:1]
	v_cndmask_b32_e64 v24, 0, v24, s[0:1]
	v_add_co_u32_e32 v30, vcc, s42, v20
	v_cmp_lt_i32_e64 s[2:3], 1, v5
	v_addc_co_u32_e32 v3, vcc, v21, v3, vcc
	v_lshlrev_b64 v[24:25], 2, v[24:25]
	v_cndmask_b32_e64 v27, 0, v27, s[2:3]
	v_cndmask_b32_e64 v26, 0, v26, s[2:3]
	v_add_co_u32_e32 v24, vcc, s20, v24
	v_cmp_lt_i32_e64 s[4:5], 2, v5
	v_addc_co_u32_e32 v25, vcc, v40, v25, vcc
	v_lshlrev_b64 v[26:27], 2, v[26:27]
	;; [unrolled: 6-line block ×3, first 2 shown]
	v_cndmask_b32_e64 v31, 0, v3, s[6:7]
	v_cndmask_b32_e64 v30, 0, v30, s[6:7]
	v_add_co_u32_e32 v28, vcc, s20, v28
	v_addc_co_u32_e32 v29, vcc, v40, v29, vcc
	v_lshlrev_b64 v[30:31], 2, v[30:31]
	v_add_co_u32_e32 v30, vcc, s20, v30
	v_addc_co_u32_e32 v31, vcc, v40, v31, vcc
	global_load_dword v42, v[24:25], off
	global_load_dword v43, v[26:27], off
	;; [unrolled: 1-line block ×4, first 2 shown]
	s_andn2_b64 vcc, exec, s[22:23]
	v_pk_mov_b32 v[24:25], s[16:17], s[16:17] op_sel:[0,1]
	v_pk_mov_b32 v[26:27], s[14:15], s[14:15] op_sel:[0,1]
	s_cbranch_vccnz .LBB75_5
; %bb.4:                                ;   in Loop: Header=BB75_3 Depth=1
	v_pk_mov_b32 v[24:25], s[16:17], s[16:17] op_sel:[0,1]
	flat_load_dwordx2 v[24:25], v[24:25]
	v_pk_mov_b32 v[26:27], s[14:15], s[14:15] op_sel:[0,1]
	flat_load_dwordx2 v[26:27], v[26:27]
	v_mov_b32_e32 v28, s19
	s_waitcnt vmcnt(0) lgkmcnt(0)
	v_add_co_u32_e32 v24, vcc, s18, v24
	v_addc_co_u32_e32 v25, vcc, v25, v28, vcc
.LBB75_5:                               ;   in Loop: Header=BB75_3 Depth=1
	v_alignbit_b32 v36, v25, v24, 2
	v_lshrrev_b32_e32 v37, 2, v25
	v_xor_b32_e32 v28, v6, v26
	v_and_b32_e32 v45, 3, v24
	v_mad_u64_u32 v[24:25], s[8:9], v36, s66, 0
	v_xor_b32_e32 v28, v28, v37
	v_xor_b32_e32 v25, v25, v27
	v_add_u32_e32 v50, 0xbb67ae85, v27
	v_mad_u64_u32 v[28:29], s[8:9], v28, s66, 0
	v_mad_u64_u32 v[30:31], s[8:9], v25, s33, 0
	v_xor_b32_e32 v29, v50, v29
	v_add_u32_e32 v49, 0x9e3779b9, v26
	v_xor_b32_e32 v25, v4, v31
	v_xor_b32_e32 v29, v29, v24
	v_xor_b32_e32 v25, v25, v49
	v_add_u32_e32 v51, 0x3c6ef372, v26
	v_mad_u64_u32 v[32:33], s[8:9], v29, s33, 0
	v_add_u32_e32 v52, 0x76cf5d0a, v27
	v_mad_u64_u32 v[24:25], s[8:9], v25, s66, 0
	v_xor_b32_e32 v29, v51, v33
	v_xor_b32_e32 v29, v29, v30
	v_xor_b32_e32 v25, v52, v25
	v_xor_b32_e32 v25, v25, v28
	v_add_u32_e32 v54, 0x32370b8f, v27
	v_mad_u64_u32 v[28:29], s[8:9], v29, s66, 0
	v_add_u32_e32 v53, 0xdaa66d2b, v26
	v_mad_u64_u32 v[30:31], s[8:9], v25, s33, 0
	v_xor_b32_e32 v29, v54, v29
	;; [unrolled: 8-line block ×5, first 2 shown]
	v_xor_b32_e32 v29, v29, v30
	v_xor_b32_e32 v25, v60, v25
	;; [unrolled: 1-line block ×3, first 2 shown]
	v_add_u32_e32 v62, 0x1fd5c5a3, v27
	v_mad_u64_u32 v[28:29], s[8:9], v29, s66, 0
	v_xor_b32_e32 v29, v62, v29
	v_xor_b32_e32 v24, v29, v24
	v_add_u32_e32 v61, 0x5384540f, v26
	v_mad_u64_u32 v[34:35], s[8:9], v25, s33, 0
	v_add_co_u32_e32 v47, vcc, s21, v26
	v_mad_u64_u32 v[30:31], s[8:9], v24, s33, 0
	v_xor_b32_e32 v25, v61, v35
	v_xor_b32_e32 v24, v47, v31
	;; [unrolled: 1-line block ×4, first 2 shown]
	v_mad_u64_u32 v[32:33], s[8:9], v25, s66, 0
	v_mad_u64_u32 v[24:25], s[8:9], v24, s66, 0
	v_add_u32_e32 v48, 0x96a522ad, v27
	v_xor_b32_e32 v25, v25, v32
	v_xor_b32_e32 v46, v48, v25
	v_add_co_u32_e32 v25, vcc, 1, v36
	v_cndmask_b32_e64 v32, 0, 1, vcc
	v_addc_co_u32_e32 v38, vcc, 0, v37, vcc
	v_cmp_eq_u32_e32 vcc, 0, v38
	v_cndmask_b32_e32 v32, 0, v32, vcc
	v_add_u32_e32 v36, v32, v7
	v_cmp_eq_u32_e32 vcc, 0, v36
	v_mad_u64_u32 v[34:35], s[8:9], v25, s66, 0
	v_mad_u64_u32 v[36:37], s[8:9], v36, s33, 0
	v_add_u32_e32 v31, 0x8ff34781, v26
	v_cndmask_b32_e32 v32, 0, v32, vcc
	v_xor_b32_e32 v25, v37, v26
	v_xor_b32_e32 v26, v35, v27
	;; [unrolled: 1-line block ×4, first 2 shown]
	v_mad_u64_u32 v[38:39], s[8:9], v32, s33, 0
	v_add_u32_e32 v29, 0xdb3d7428, v27
	v_mad_u64_u32 v[26:27], s[8:9], v25, s66, 0
	v_xor_b32_e32 v25, v49, v39
	v_xor_b32_e32 v25, v25, v36
	v_xor_b32_e32 v27, v50, v27
	v_xor_b32_e32 v27, v27, v34
	v_mad_u64_u32 v[34:35], s[8:9], v25, s66, 0
	v_mad_u64_u32 v[36:37], s[8:9], v27, s33, 0
	v_xor_b32_e32 v27, v52, v35
	v_xor_b32_e32 v25, v51, v37
	v_xor_b32_e32 v32, v27, v26
	v_xor_b32_e32 v25, v25, v38
	v_mad_u64_u32 v[38:39], s[8:9], v32, s33, 0
	;; [unrolled: 6-line block ×7, first 2 shown]
	v_xor_b32_e32 v25, v29, v37
	v_xor_b32_e32 v25, v25, v26
	v_mad_u64_u32 v[38:39], s[8:9], v27, s33, 0
	v_mad_u64_u32 v[26:27], s[8:9], v25, s33, 0
	v_xor_b32_e32 v25, v27, v38
	v_xor_b32_e32 v25, v31, v25
	v_cmp_lt_i32_e32 vcc, 1, v45
                                        ; implicit-def: $vgpr35
	s_and_saveexec_b64 s[8:9], vcc
	s_xor_b64 s[8:9], exec, s[8:9]
	s_cbranch_execz .LBB75_11
; %bb.6:                                ;   in Loop: Header=BB75_3 Depth=1
	v_cmp_lt_i32_e32 vcc, 2, v45
                                        ; implicit-def: $vgpr35
	s_and_saveexec_b64 s[48:49], vcc
	s_xor_b64 s[48:49], exec, s[48:49]
; %bb.7:                                ;   in Loop: Header=BB75_3 Depth=1
	v_xor_b32_e32 v27, v47, v39
	v_xor_b32_e32 v27, v27, v34
	v_mul_hi_u32 v27, v27, s66
	v_xor_b32_e32 v27, v27, v36
	v_xor_b32_e32 v35, v48, v27
                                        ; implicit-def: $vgpr46
; %bb.8:                                ;   in Loop: Header=BB75_3 Depth=1
	s_andn2_saveexec_b64 s[48:49], s[48:49]
; %bb.9:                                ;   in Loop: Header=BB75_3 Depth=1
	v_mov_b32_e32 v35, v26
	v_mov_b32_e32 v26, v25
	;; [unrolled: 1-line block ×4, first 2 shown]
; %bb.10:                               ;   in Loop: Header=BB75_3 Depth=1
	s_or_b64 exec, exec, s[48:49]
                                        ; implicit-def: $vgpr28_vgpr29
                                        ; implicit-def: $vgpr30_vgpr31
                                        ; implicit-def: $vgpr45
                                        ; implicit-def: $vgpr46
                                        ; implicit-def: $vgpr32_vgpr33
                                        ; implicit-def: $vgpr29
                                        ; implicit-def: $vgpr31
.LBB75_11:                              ;   in Loop: Header=BB75_3 Depth=1
	s_andn2_saveexec_b64 s[8:9], s[8:9]
	s_cbranch_execz .LBB75_15
; %bb.12:                               ;   in Loop: Header=BB75_3 Depth=1
	v_xor_b32_e32 v26, v29, v33
	v_xor_b32_e32 v26, v26, v28
	v_mad_u64_u32 v[28:29], s[48:49], v26, s33, 0
	v_xor_b32_e32 v26, v29, v30
	v_xor_b32_e32 v27, v31, v26
	v_cmp_eq_u32_e32 vcc, 1, v45
	v_mov_b32_e32 v35, v24
	v_mov_b32_e32 v26, v46
	;; [unrolled: 1-line block ×3, first 2 shown]
	s_and_saveexec_b64 s[48:49], vcc
; %bb.13:                               ;   in Loop: Header=BB75_3 Depth=1
	v_mov_b32_e32 v35, v25
	v_mov_b32_e32 v26, v24
	;; [unrolled: 1-line block ×4, first 2 shown]
; %bb.14:                               ;   in Loop: Header=BB75_3 Depth=1
	s_or_b64 exec, exec, s[48:49]
	v_mov_b32_e32 v24, v27
	v_mov_b32_e32 v25, v29
.LBB75_15:                              ;   in Loop: Header=BB75_3 Depth=1
	s_or_b64 exec, exec, s[8:9]
	v_min_i32_e32 v27, 4, v5
	v_cmp_lt_i32_e32 vcc, 2, v27
	s_mov_b64 s[48:49], 0
	s_mov_b64 s[58:59], 0
                                        ; implicit-def: $sgpr8_sgpr9
                                        ; implicit-def: $sgpr50_sgpr51
                                        ; implicit-def: $sgpr52_sgpr53
	s_and_saveexec_b64 s[54:55], vcc
	s_xor_b64 s[54:55], exec, s[54:55]
	s_cbranch_execz .LBB75_25
; %bb.16:                               ;   in Loop: Header=BB75_3 Depth=1
	v_cmp_lt_i32_e32 vcc, 3, v27
	s_mov_b64 s[52:53], -1
                                        ; implicit-def: $sgpr8_sgpr9
                                        ; implicit-def: $sgpr56_sgpr57
	s_and_saveexec_b64 s[50:51], vcc
	s_cbranch_execz .LBB75_20
; %bb.17:                               ;   in Loop: Header=BB75_3 Depth=1
	s_waitcnt vmcnt(0)
	v_cmp_le_f32_e32 vcc, 0, v3
	v_cmp_ge_f32_e64 s[8:9], 1.0, v3
	s_and_b64 s[58:59], vcc, s[8:9]
	s_mov_b64 s[8:9], 0
	s_mov_b64 s[52:53], 0
	s_and_saveexec_b64 s[56:57], s[58:59]
	s_cbranch_execz .LBB75_19
; %bb.18:                               ;   in Loop: Header=BB75_3 Depth=1
	v_cvt_f32_u32_e32 v28, v35
	v_mov_b32_e32 v30, 0x2f800000
	v_mov_b32_e32 v29, s47
	;; [unrolled: 1-line block ×3, first 2 shown]
	v_fmac_f32_e32 v30, 0x2f800000, v28
	v_add_co_u32_e32 v28, vcc, s46, v12
	v_addc_co_u32_e32 v29, vcc, v13, v29, vcc
	v_cndmask_b32_e64 v29, 0, v29, s[6:7]
	v_cndmask_b32_e64 v28, 0, v28, s[6:7]
	v_lshlrev_b64 v[28:29], 3, v[28:29]
	v_add_co_u32_e32 v28, vcc, s10, v28
	v_addc_co_u32_e32 v29, vcc, v31, v29, vcc
	v_cmp_le_f32_e32 vcc, v30, v3
	s_mov_b64 s[52:53], exec
	v_cndmask_b32_e32 v3, 0, v41, vcc
	global_store_dwordx2 v[28:29], v[2:3], off
.LBB75_19:                              ;   in Loop: Header=BB75_3 Depth=1
	s_or_b64 exec, exec, s[56:57]
	s_mov_b64 s[56:57], -1
	s_orn2_b64 s[52:53], s[52:53], exec
.LBB75_20:                              ;   in Loop: Header=BB75_3 Depth=1
	s_or_b64 exec, exec, s[50:51]
	s_mov_b64 s[6:7], 0
	s_mov_b64 s[58:59], s[8:9]
	s_and_saveexec_b64 s[50:51], s[52:53]
	s_cbranch_execz .LBB75_24
; %bb.21:                               ;   in Loop: Header=BB75_3 Depth=1
	s_waitcnt vmcnt(1)
	v_cmp_le_f32_e32 vcc, 0, v44
	v_cmp_ge_f32_e64 s[6:7], 1.0, v44
	s_and_b64 s[52:53], vcc, s[6:7]
	s_mov_b64 s[6:7], 0
	s_and_saveexec_b64 s[58:59], s[52:53]
	s_xor_b64 s[52:53], exec, s[58:59]
	s_cbranch_execz .LBB75_23
; %bb.22:                               ;   in Loop: Header=BB75_3 Depth=1
	s_waitcnt vmcnt(0)
	v_cvt_f32_u32_e32 v3, v26
	v_mov_b32_e32 v26, 0x2f800000
	v_mov_b32_e32 v28, s47
	s_mov_b64 s[6:7], exec
	v_fmac_f32_e32 v26, 0x2f800000, v3
	v_add_co_u32_e32 v3, vcc, s46, v10
	v_addc_co_u32_e32 v28, vcc, v11, v28, vcc
	v_cndmask_b32_e64 v29, 0, v28, s[4:5]
	v_cndmask_b32_e64 v28, 0, v3, s[4:5]
	v_lshlrev_b64 v[28:29], 3, v[28:29]
	v_mov_b32_e32 v3, s11
	v_add_co_u32_e32 v28, vcc, s10, v28
	v_addc_co_u32_e32 v29, vcc, v3, v29, vcc
	v_cmp_le_f32_e32 vcc, v26, v44
	v_cndmask_b32_e32 v3, 0, v41, vcc
	global_store_dwordx2 v[28:29], v[2:3], off
.LBB75_23:                              ;   in Loop: Header=BB75_3 Depth=1
	s_or_b64 exec, exec, s[52:53]
	s_andn2_b64 s[58:59], s[8:9], exec
	s_or_b64 s[8:9], s[8:9], exec
	s_andn2_b64 s[56:57], s[56:57], exec
	s_and_b64 s[6:7], s[6:7], exec
.LBB75_24:                              ;   in Loop: Header=BB75_3 Depth=1
	s_or_b64 exec, exec, s[50:51]
	s_and_b64 s[52:53], s[58:59], exec
	s_and_b64 s[50:51], s[8:9], exec
	s_and_b64 s[8:9], s[56:57], exec
	s_and_b64 s[58:59], s[6:7], exec
.LBB75_25:                              ;   in Loop: Header=BB75_3 Depth=1
	s_andn2_saveexec_b64 s[4:5], s[54:55]
; %bb.26:                               ;   in Loop: Header=BB75_3 Depth=1
	v_cmp_lt_i32_e32 vcc, 1, v27
	s_andn2_b64 s[6:7], s[58:59], exec
	s_and_b64 s[54:55], vcc, exec
	s_mov_b64 s[48:49], exec
	s_andn2_b64 s[52:53], s[52:53], exec
	s_andn2_b64 s[50:51], s[50:51], exec
	;; [unrolled: 1-line block ×3, first 2 shown]
	s_or_b64 s[58:59], s[6:7], s[54:55]
; %bb.27:                               ;   in Loop: Header=BB75_3 Depth=1
	s_or_b64 exec, exec, s[4:5]
	s_mov_b64 s[6:7], 0
	s_mov_b64 s[54:55], 0
	;; [unrolled: 1-line block ×3, first 2 shown]
	s_and_saveexec_b64 s[56:57], s[58:59]
	s_cbranch_execnz .LBB75_30
; %bb.28:                               ;   in Loop: Header=BB75_3 Depth=1
	s_or_b64 exec, exec, s[56:57]
	s_and_saveexec_b64 s[2:3], s[48:49]
	s_cbranch_execnz .LBB75_33
.LBB75_29:                              ;   in Loop: Header=BB75_3 Depth=1
	s_or_b64 exec, exec, s[2:3]
	s_and_saveexec_b64 s[48:49], s[54:55]
	s_cbranch_execnz .LBB75_34
	s_branch .LBB75_37
.LBB75_30:                              ;   in Loop: Header=BB75_3 Depth=1
	s_waitcnt vmcnt(2)
	v_cmp_le_f32_e32 vcc, 0, v43
	v_cmp_ge_f32_e64 s[4:5], 1.0, v43
	s_and_b64 s[4:5], vcc, s[4:5]
	s_and_saveexec_b64 s[58:59], s[4:5]
	s_xor_b64 s[4:5], exec, s[58:59]
	s_cbranch_execz .LBB75_32
; %bb.31:                               ;   in Loop: Header=BB75_3 Depth=1
	s_waitcnt vmcnt(0)
	v_cvt_f32_u32_e32 v3, v25
	v_mov_b32_e32 v25, 0x2f800000
	v_mov_b32_e32 v26, s47
	s_mov_b64 s[54:55], exec
	v_fmac_f32_e32 v25, 0x2f800000, v3
	v_add_co_u32_e32 v3, vcc, s46, v8
	v_addc_co_u32_e32 v26, vcc, v9, v26, vcc
	v_cndmask_b32_e64 v29, 0, v26, s[2:3]
	v_cndmask_b32_e64 v28, 0, v3, s[2:3]
	v_lshlrev_b64 v[28:29], 3, v[28:29]
	v_mov_b32_e32 v3, s11
	v_add_co_u32_e32 v28, vcc, s10, v28
	v_addc_co_u32_e32 v29, vcc, v3, v29, vcc
	v_cmp_le_f32_e32 vcc, v25, v43
	v_cndmask_b32_e32 v3, 0, v41, vcc
	global_store_dwordx2 v[28:29], v[2:3], off
.LBB75_32:                              ;   in Loop: Header=BB75_3 Depth=1
	s_or_b64 exec, exec, s[4:5]
	s_andn2_b64 s[4:5], s[52:53], exec
	s_or_b64 s[52:53], s[52:53], exec
	s_andn2_b64 s[50:51], s[50:51], exec
	s_andn2_b64 s[8:9], s[8:9], exec
	s_and_b64 s[54:55], s[54:55], exec
	s_andn2_b64 s[48:49], s[48:49], exec
	s_or_b64 exec, exec, s[56:57]
	s_and_saveexec_b64 s[2:3], s[48:49]
	s_cbranch_execz .LBB75_29
.LBB75_33:                              ;   in Loop: Header=BB75_3 Depth=1
	v_cmp_eq_u32_e32 vcc, 1, v27
	s_andn2_b64 s[48:49], s[54:55], exec
	s_and_b64 s[54:55], vcc, exec
	s_mov_b64 s[6:7], exec
	s_andn2_b64 s[4:5], s[4:5], exec
	s_andn2_b64 s[52:53], s[52:53], exec
	;; [unrolled: 1-line block ×4, first 2 shown]
	s_or_b64 s[54:55], s[48:49], s[54:55]
	s_or_b64 exec, exec, s[2:3]
	s_and_saveexec_b64 s[48:49], s[54:55]
	s_cbranch_execz .LBB75_37
.LBB75_34:                              ;   in Loop: Header=BB75_3 Depth=1
	s_waitcnt vmcnt(3)
	v_cmp_le_f32_e32 vcc, 0, v42
	v_cmp_ge_f32_e64 s[2:3], 1.0, v42
	s_and_b64 s[56:57], vcc, s[2:3]
	s_mov_b64 s[2:3], 0
	s_and_saveexec_b64 s[54:55], s[56:57]
	s_cbranch_execz .LBB75_36
; %bb.35:                               ;   in Loop: Header=BB75_3 Depth=1
	s_waitcnt vmcnt(0)
	v_cvt_f32_u32_e32 v3, v24
	v_mov_b32_e32 v26, 0x2f800000
	v_mov_b32_e32 v24, s47
	s_mov_b64 s[2:3], exec
	v_fmac_f32_e32 v26, 0x2f800000, v3
	v_add_co_u32_e32 v3, vcc, s46, v14
	v_addc_co_u32_e32 v24, vcc, v15, v24, vcc
	v_cndmask_b32_e64 v25, 0, v24, s[0:1]
	v_cndmask_b32_e64 v24, 0, v3, s[0:1]
	v_lshlrev_b64 v[24:25], 3, v[24:25]
	v_mov_b32_e32 v3, s11
	v_add_co_u32_e32 v24, vcc, s10, v24
	v_addc_co_u32_e32 v25, vcc, v3, v25, vcc
	v_cmp_le_f32_e32 vcc, v26, v42
	v_cndmask_b32_e32 v3, 0, v41, vcc
	global_store_dwordx2 v[24:25], v[2:3], off
.LBB75_36:                              ;   in Loop: Header=BB75_3 Depth=1
	s_or_b64 exec, exec, s[54:55]
	s_andn2_b64 s[0:1], s[6:7], exec
	s_and_b64 s[2:3], s[2:3], exec
	s_or_b64 s[4:5], s[4:5], exec
	s_andn2_b64 s[52:53], s[52:53], exec
	s_andn2_b64 s[50:51], s[50:51], exec
	;; [unrolled: 1-line block ×3, first 2 shown]
	s_or_b64 s[6:7], s[0:1], s[2:3]
.LBB75_37:                              ;   in Loop: Header=BB75_3 Depth=1
	s_or_b64 exec, exec, s[48:49]
	s_andn2_b64 s[2:3], s[44:45], exec
	s_and_b64 s[4:5], s[4:5], exec
	s_or_b64 s[44:45], s[2:3], s[4:5]
	s_andn2_b64 s[2:3], s[40:41], exec
	s_and_b64 s[4:5], s[52:53], exec
	s_or_b64 s[40:41], s[2:3], s[4:5]
	;; [unrolled: 3-line block ×3, first 2 shown]
	s_andn2_b64 s[2:3], s[36:37], exec
	s_and_b64 s[4:5], s[8:9], exec
	s_mov_b64 s[0:1], -1
	s_or_b64 s[36:37], s[2:3], s[4:5]
	s_and_saveexec_b64 s[2:3], s[6:7]
	s_cbranch_execz .LBB75_2
; %bb.38:                               ;   in Loop: Header=BB75_3 Depth=1
	s_waitcnt vmcnt(0)
	v_mov_b32_e32 v3, s61
	v_add_co_u32_e32 v0, vcc, s60, v0
	s_add_u32 s46, s46, s63
	v_addc_co_u32_e32 v1, vcc, v1, v3, vcc
	s_addc_u32 s47, s47, s62
	s_add_u32 s42, s42, s65
	v_cmp_le_u64_e32 vcc, s[12:13], v[0:1]
	v_subrev_u32_e32 v5, s60, v5
	s_addc_u32 s43, s43, s64
	s_andn2_b64 s[44:45], s[44:45], exec
	s_andn2_b64 s[40:41], s[40:41], exec
	;; [unrolled: 1-line block ×4, first 2 shown]
	s_orn2_b64 s[0:1], vcc, exec
	s_branch .LBB75_2
.LBB75_39:
	s_or_b64 exec, exec, s[26:27]
	s_xor_b64 s[6:7], s[34:35], -1
	s_xor_b64 s[8:9], s[30:31], -1
	;; [unrolled: 1-line block ×3, first 2 shown]
	s_mov_b64 s[2:3], 0
	s_and_saveexec_b64 s[4:5], s[0:1]
	s_xor_b64 s[0:1], exec, s[4:5]
	s_cbranch_execnz .LBB75_44
; %bb.40:
	s_andn2_saveexec_b64 s[0:1], s[0:1]
	s_cbranch_execnz .LBB75_52
.LBB75_41:
	s_or_b64 exec, exec, s[0:1]
	s_and_b64 exec, exec, s[2:3]
.LBB75_42:
	; divergent unreachable
.LBB75_43:
	s_endpgm
.LBB75_44:
	s_mov_b64 s[4:5], 0
	s_and_saveexec_b64 s[2:3], s[8:9]
	s_xor_b64 s[2:3], exec, s[2:3]
	s_cbranch_execz .LBB75_50
; %bb.45:
	s_and_saveexec_b64 s[8:9], s[6:7]
	s_xor_b64 s[6:7], exec, s[8:9]
	s_cbranch_execz .LBB75_48
; %bb.46:
	s_and_saveexec_b64 s[8:9], s[24:25]
	s_xor_b64 s[8:9], exec, s[8:9]
	s_cbranch_execnz .LBB75_55
.LBB75_47:
	s_or_b64 exec, exec, s[8:9]
	s_and_b64 s[4:5], s[4:5], exec
.LBB75_48:
	s_andn2_saveexec_b64 s[6:7], s[6:7]
	s_cbranch_execnz .LBB75_54
.LBB75_49:
	s_or_b64 exec, exec, s[6:7]
	s_and_b64 s[4:5], s[4:5], exec
.LBB75_50:
	s_andn2_saveexec_b64 s[2:3], s[2:3]
	s_cbranch_execnz .LBB75_53
.LBB75_51:
	s_or_b64 exec, exec, s[2:3]
	s_and_b64 s[2:3], s[4:5], exec
	s_andn2_saveexec_b64 s[0:1], s[0:1]
	s_cbranch_execz .LBB75_41
.LBB75_52:
	s_or_b64 s[2:3], s[2:3], exec
	s_trap 2
	s_or_b64 exec, exec, s[0:1]
	s_and_b64 exec, exec, s[2:3]
	s_cbranch_execnz .LBB75_42
	s_branch .LBB75_43
.LBB75_53:
	s_or_b64 s[4:5], s[4:5], exec
	s_trap 2
	s_branch .LBB75_51
.LBB75_54:
	s_trap 2
	s_or_b64 s[4:5], s[4:5], exec
	s_branch .LBB75_49
.LBB75_55:
	s_mov_b64 s[4:5], exec
	s_trap 2
	s_branch .LBB75_47
	.section	.rodata,"a",@progbits
	.p2align	6, 0x0
	.amdhsa_kernel _ZN2at4cuda12_GLOBAL__N_121kernelPointwiseApply2IZNS_6native9templates4cuda28bernoulli_tensor_cuda_kernelIdfEEvRKNS_10TensorBaseES9_NS_15PhiloxCudaStateEEUliRdSB_SB_SB_RKfSD_SD_SD_E_dSC_mLi1ELi1ELi4ELi512ELi2EEEvNS0_6detail10TensorInfoIT0_T2_EENSG_IT1_SI_EESI_T_
		.amdhsa_group_segment_fixed_size 0
		.amdhsa_private_segment_fixed_size 0
		.amdhsa_kernarg_size 1128
		.amdhsa_user_sgpr_count 6
		.amdhsa_user_sgpr_private_segment_buffer 1
		.amdhsa_user_sgpr_dispatch_ptr 0
		.amdhsa_user_sgpr_queue_ptr 0
		.amdhsa_user_sgpr_kernarg_segment_ptr 1
		.amdhsa_user_sgpr_dispatch_id 0
		.amdhsa_user_sgpr_flat_scratch_init 0
		.amdhsa_user_sgpr_kernarg_preload_length 0
		.amdhsa_user_sgpr_kernarg_preload_offset 0
		.amdhsa_user_sgpr_private_segment_size 0
		.amdhsa_uses_dynamic_stack 0
		.amdhsa_system_sgpr_private_segment_wavefront_offset 0
		.amdhsa_system_sgpr_workgroup_id_x 1
		.amdhsa_system_sgpr_workgroup_id_y 0
		.amdhsa_system_sgpr_workgroup_id_z 0
		.amdhsa_system_sgpr_workgroup_info 0
		.amdhsa_system_vgpr_workitem_id 0
		.amdhsa_next_free_vgpr 63
		.amdhsa_next_free_sgpr 67
		.amdhsa_accum_offset 64
		.amdhsa_reserve_vcc 1
		.amdhsa_reserve_flat_scratch 0
		.amdhsa_float_round_mode_32 0
		.amdhsa_float_round_mode_16_64 0
		.amdhsa_float_denorm_mode_32 3
		.amdhsa_float_denorm_mode_16_64 3
		.amdhsa_dx10_clamp 1
		.amdhsa_ieee_mode 1
		.amdhsa_fp16_overflow 0
		.amdhsa_tg_split 0
		.amdhsa_exception_fp_ieee_invalid_op 0
		.amdhsa_exception_fp_denorm_src 0
		.amdhsa_exception_fp_ieee_div_zero 0
		.amdhsa_exception_fp_ieee_overflow 0
		.amdhsa_exception_fp_ieee_underflow 0
		.amdhsa_exception_fp_ieee_inexact 0
		.amdhsa_exception_int_div_zero 0
	.end_amdhsa_kernel
	.section	.text._ZN2at4cuda12_GLOBAL__N_121kernelPointwiseApply2IZNS_6native9templates4cuda28bernoulli_tensor_cuda_kernelIdfEEvRKNS_10TensorBaseES9_NS_15PhiloxCudaStateEEUliRdSB_SB_SB_RKfSD_SD_SD_E_dSC_mLi1ELi1ELi4ELi512ELi2EEEvNS0_6detail10TensorInfoIT0_T2_EENSG_IT1_SI_EESI_T_,"axG",@progbits,_ZN2at4cuda12_GLOBAL__N_121kernelPointwiseApply2IZNS_6native9templates4cuda28bernoulli_tensor_cuda_kernelIdfEEvRKNS_10TensorBaseES9_NS_15PhiloxCudaStateEEUliRdSB_SB_SB_RKfSD_SD_SD_E_dSC_mLi1ELi1ELi4ELi512ELi2EEEvNS0_6detail10TensorInfoIT0_T2_EENSG_IT1_SI_EESI_T_,comdat
.Lfunc_end75:
	.size	_ZN2at4cuda12_GLOBAL__N_121kernelPointwiseApply2IZNS_6native9templates4cuda28bernoulli_tensor_cuda_kernelIdfEEvRKNS_10TensorBaseES9_NS_15PhiloxCudaStateEEUliRdSB_SB_SB_RKfSD_SD_SD_E_dSC_mLi1ELi1ELi4ELi512ELi2EEEvNS0_6detail10TensorInfoIT0_T2_EENSG_IT1_SI_EESI_T_, .Lfunc_end75-_ZN2at4cuda12_GLOBAL__N_121kernelPointwiseApply2IZNS_6native9templates4cuda28bernoulli_tensor_cuda_kernelIdfEEvRKNS_10TensorBaseES9_NS_15PhiloxCudaStateEEUliRdSB_SB_SB_RKfSD_SD_SD_E_dSC_mLi1ELi1ELi4ELi512ELi2EEEvNS0_6detail10TensorInfoIT0_T2_EENSG_IT1_SI_EESI_T_
                                        ; -- End function
	.section	.AMDGPU.csdata,"",@progbits
; Kernel info:
; codeLenInByte = 2932
; NumSgprs: 71
; NumVgprs: 63
; NumAgprs: 0
; TotalNumVgprs: 63
; ScratchSize: 0
; MemoryBound: 0
; FloatMode: 240
; IeeeMode: 1
; LDSByteSize: 0 bytes/workgroup (compile time only)
; SGPRBlocks: 8
; VGPRBlocks: 7
; NumSGPRsForWavesPerEU: 71
; NumVGPRsForWavesPerEU: 63
; AccumOffset: 64
; Occupancy: 8
; WaveLimiterHint : 1
; COMPUTE_PGM_RSRC2:SCRATCH_EN: 0
; COMPUTE_PGM_RSRC2:USER_SGPR: 6
; COMPUTE_PGM_RSRC2:TRAP_HANDLER: 0
; COMPUTE_PGM_RSRC2:TGID_X_EN: 1
; COMPUTE_PGM_RSRC2:TGID_Y_EN: 0
; COMPUTE_PGM_RSRC2:TGID_Z_EN: 0
; COMPUTE_PGM_RSRC2:TIDIG_COMP_CNT: 0
; COMPUTE_PGM_RSRC3_GFX90A:ACCUM_OFFSET: 15
; COMPUTE_PGM_RSRC3_GFX90A:TG_SPLIT: 0
	.section	.text._ZN2at4cuda12_GLOBAL__N_121kernelPointwiseApply2IZNS_6native9templates4cuda28bernoulli_tensor_cuda_kernelIdfEEvRKNS_10TensorBaseES9_NS_15PhiloxCudaStateEEUliRdSB_SB_SB_RKfSD_SD_SD_E_dSC_mLin1ELin1ELi4ELi512ELi2EEEvNS0_6detail10TensorInfoIT0_T2_EENSG_IT1_SI_EESI_T_,"axG",@progbits,_ZN2at4cuda12_GLOBAL__N_121kernelPointwiseApply2IZNS_6native9templates4cuda28bernoulli_tensor_cuda_kernelIdfEEvRKNS_10TensorBaseES9_NS_15PhiloxCudaStateEEUliRdSB_SB_SB_RKfSD_SD_SD_E_dSC_mLin1ELin1ELi4ELi512ELi2EEEvNS0_6detail10TensorInfoIT0_T2_EENSG_IT1_SI_EESI_T_,comdat
	.globl	_ZN2at4cuda12_GLOBAL__N_121kernelPointwiseApply2IZNS_6native9templates4cuda28bernoulli_tensor_cuda_kernelIdfEEvRKNS_10TensorBaseES9_NS_15PhiloxCudaStateEEUliRdSB_SB_SB_RKfSD_SD_SD_E_dSC_mLin1ELin1ELi4ELi512ELi2EEEvNS0_6detail10TensorInfoIT0_T2_EENSG_IT1_SI_EESI_T_ ; -- Begin function _ZN2at4cuda12_GLOBAL__N_121kernelPointwiseApply2IZNS_6native9templates4cuda28bernoulli_tensor_cuda_kernelIdfEEvRKNS_10TensorBaseES9_NS_15PhiloxCudaStateEEUliRdSB_SB_SB_RKfSD_SD_SD_E_dSC_mLin1ELin1ELi4ELi512ELi2EEEvNS0_6detail10TensorInfoIT0_T2_EENSG_IT1_SI_EESI_T_
	.p2align	8
	.type	_ZN2at4cuda12_GLOBAL__N_121kernelPointwiseApply2IZNS_6native9templates4cuda28bernoulli_tensor_cuda_kernelIdfEEvRKNS_10TensorBaseES9_NS_15PhiloxCudaStateEEUliRdSB_SB_SB_RKfSD_SD_SD_E_dSC_mLin1ELin1ELi4ELi512ELi2EEEvNS0_6detail10TensorInfoIT0_T2_EENSG_IT1_SI_EESI_T_,@function
_ZN2at4cuda12_GLOBAL__N_121kernelPointwiseApply2IZNS_6native9templates4cuda28bernoulli_tensor_cuda_kernelIdfEEvRKNS_10TensorBaseES9_NS_15PhiloxCudaStateEEUliRdSB_SB_SB_RKfSD_SD_SD_E_dSC_mLin1ELin1ELi4ELi512ELi2EEEvNS0_6detail10TensorInfoIT0_T2_EENSG_IT1_SI_EESI_T_: ; @_ZN2at4cuda12_GLOBAL__N_121kernelPointwiseApply2IZNS_6native9templates4cuda28bernoulli_tensor_cuda_kernelIdfEEvRKNS_10TensorBaseES9_NS_15PhiloxCudaStateEEUliRdSB_SB_SB_RKfSD_SD_SD_E_dSC_mLin1ELin1ELi4ELi512ELi2EEEvNS0_6detail10TensorInfoIT0_T2_EENSG_IT1_SI_EESI_T_
; %bb.0:
	s_load_dword s2, s[4:5], 0x374
	s_load_dwordx8 s[8:15], s[4:5], 0x340
	s_add_u32 s0, s4, 0x368
	s_addc_u32 s1, s5, 0
	v_mov_b32_e32 v2, 0
	s_waitcnt lgkmcnt(0)
	s_and_b32 s2, s2, 0xffff
	s_mul_i32 s6, s6, s2
	v_add_u32_e32 v7, s6, v0
	v_lshlrev_b32_e32 v0, 2, v7
	v_mov_b32_e32 v1, v2
	v_cmp_gt_u64_e32 vcc, s[8:9], v[0:1]
	s_and_saveexec_b64 s[6:7], vcc
	s_cbranch_execz .LBB76_114
; %bb.1:
	s_load_dword s0, s[0:1], 0x0
	s_add_u32 s6, s4, 0x1a0
	s_load_dword s7, s[4:5], 0x198
	s_load_dwordx2 s[20:21], s[4:5], 0x270
	s_addc_u32 s28, s5, 0
	s_waitcnt lgkmcnt(0)
	s_mul_i32 s29, s0, s2
	s_load_dword s2, s[4:5], 0x360
	s_load_dword s34, s[4:5], 0x338
	s_load_dwordx2 s[16:17], s[4:5], 0x1a0
	s_load_dwordx2 s[18:19], s[4:5], 0xd0
	;; [unrolled: 1-line block ×3, first 2 shown]
	s_cmp_gt_i32 s7, 1
	s_cselect_b64 s[0:1], -1, 0
	s_waitcnt lgkmcnt(0)
	s_cmp_gt_i32 s34, 1
	s_mov_b32 s33, 0xcd9e8d57
	s_cselect_b64 s[22:23], -1, 0
	s_bitcmp1_b32 s2, 0
	v_mad_u64_u32 v[4:5], s[2:3], v7, s33, 0
	s_mov_b32 s63, 0
	s_cselect_b64 s[26:27], -1, 0
	s_add_i32 s2, s7, -1
	s_mov_b32 s3, s63
	s_lshl_b32 s62, s29, 2
	s_add_i32 s64, s7, 1
	s_lshl_b64 s[2:3], s[2:3], 3
	s_add_u32 s2, s2, s4
	s_addc_u32 s3, s3, s5
	s_add_u32 s30, s2, 8
	s_addc_u32 s31, s3, 0
	s_add_i32 s2, s34, -1
	s_mov_b32 s3, s63
	s_add_i32 s65, s34, 1
	s_lshl_b64 s[2:3], s[2:3], 3
	s_add_u32 s2, s2, s6
	s_addc_u32 s3, s3, s28
	s_add_u32 s34, s2, 8
	v_mov_b32_e32 v6, v5
	s_addc_u32 s35, s3, 0
	s_mov_b64 s[36:37], 0
	v_cndmask_b32_e64 v5, 0, 1, s[0:1]
	s_mov_b32 s66, 0xd2511f53
	s_mov_b32 s67, 0xf1bbcdc8
	v_mov_b32_e32 v32, 0x3ff00000
                                        ; implicit-def: $sgpr38_sgpr39
                                        ; implicit-def: $sgpr40_sgpr41
                                        ; implicit-def: $sgpr42_sgpr43
                                        ; implicit-def: $sgpr28_sgpr29
                                        ; implicit-def: $sgpr44_sgpr45
                                        ; implicit-def: $sgpr46_sgpr47
                                        ; implicit-def: $sgpr48_sgpr49
                                        ; implicit-def: $sgpr50_sgpr51
	s_branch .LBB76_3
.LBB76_2:                               ;   in Loop: Header=BB76_3 Depth=1
	s_or_b64 exec, exec, s[2:3]
	s_and_b64 s[0:1], exec, s[0:1]
	s_or_b64 s[36:37], s[0:1], s[36:37]
	s_andn2_b64 s[0:1], s[28:29], exec
	s_and_b64 s[2:3], s[50:51], exec
	s_or_b64 s[28:29], s[0:1], s[2:3]
	s_andn2_b64 s[0:1], s[42:43], exec
	s_and_b64 s[2:3], s[48:49], exec
	;; [unrolled: 3-line block ×4, first 2 shown]
	s_or_b64 s[38:39], s[0:1], s[2:3]
	s_andn2_b64 exec, exec, s[36:37]
	s_cbranch_execz .LBB76_110
.LBB76_3:                               ; =>This Loop Header: Depth=1
                                        ;     Child Loop BB76_5 Depth 2
                                        ;     Child Loop BB76_14 Depth 2
	;; [unrolled: 1-line block ×8, first 2 shown]
	v_sub_u32_e32 v33, s8, v0
	v_cmp_lt_i32_e64 s[4:5], 0, v33
	v_pk_mov_b32 v[8:9], 0, 0
	v_cmp_ne_u32_e64 s[0:1], 1, v5
	s_and_saveexec_b64 s[6:7], s[4:5]
	s_cbranch_execz .LBB76_12
; %bb.4:                                ;   in Loop: Header=BB76_3 Depth=1
	s_and_b64 vcc, exec, s[0:1]
	v_pk_mov_b32 v[8:9], 0, 0
	s_mov_b64 s[52:53], s[30:31]
	s_mov_b32 s58, s64
	v_pk_mov_b32 v[10:11], v[0:1], v[0:1] op_sel:[0,1]
	v_pk_mov_b32 v[12:13], v[0:1], v[0:1] op_sel:[0,1]
	s_cbranch_vccnz .LBB76_11
.LBB76_5:                               ;   Parent Loop BB76_3 Depth=1
                                        ; =>  This Inner Loop Header: Depth=2
	s_load_dwordx2 s[54:55], s[52:53], 0x0
                                        ; implicit-def: $vgpr12_vgpr13
	s_waitcnt vmcnt(0) lgkmcnt(0)
	v_or_b32_e32 v3, s55, v11
	v_cmp_ne_u64_e32 vcc, 0, v[2:3]
	s_and_saveexec_b64 s[2:3], vcc
	s_xor_b64 s[56:57], exec, s[2:3]
	s_cbranch_execz .LBB76_7
; %bb.6:                                ;   in Loop: Header=BB76_5 Depth=2
	v_cvt_f32_u32_e32 v3, s54
	v_cvt_f32_u32_e32 v12, s55
	s_sub_u32 s2, 0, s54
	s_subb_u32 s3, 0, s55
	v_mac_f32_e32 v3, 0x4f800000, v12
	v_rcp_f32_e32 v3, v3
	v_mul_f32_e32 v3, 0x5f7ffffc, v3
	v_mul_f32_e32 v12, 0x2f800000, v3
	v_trunc_f32_e32 v12, v12
	v_mac_f32_e32 v3, 0xcf800000, v12
	v_cvt_u32_f32_e32 v12, v12
	v_cvt_u32_f32_e32 v3, v3
	v_mul_lo_u32 v13, s2, v12
	v_mul_hi_u32 v15, s2, v3
	v_mul_lo_u32 v14, s3, v3
	v_add_u32_e32 v13, v15, v13
	v_mul_lo_u32 v16, s2, v3
	v_add_u32_e32 v13, v13, v14
	v_mul_hi_u32 v15, v3, v16
	v_mul_lo_u32 v17, v3, v13
	v_mul_hi_u32 v14, v3, v13
	v_add_co_u32_e32 v15, vcc, v15, v17
	v_addc_co_u32_e32 v14, vcc, 0, v14, vcc
	v_mul_hi_u32 v18, v12, v16
	v_mul_lo_u32 v16, v12, v16
	v_add_co_u32_e32 v15, vcc, v15, v16
	v_mul_hi_u32 v17, v12, v13
	v_addc_co_u32_e32 v14, vcc, v14, v18, vcc
	v_addc_co_u32_e32 v15, vcc, 0, v17, vcc
	v_mul_lo_u32 v13, v12, v13
	v_add_co_u32_e32 v13, vcc, v14, v13
	v_addc_co_u32_e32 v14, vcc, 0, v15, vcc
	v_add_co_u32_e32 v3, vcc, v3, v13
	v_addc_co_u32_e32 v12, vcc, v12, v14, vcc
	v_mul_lo_u32 v13, s2, v12
	v_mul_hi_u32 v14, s2, v3
	v_add_u32_e32 v13, v14, v13
	v_mul_lo_u32 v14, s3, v3
	v_add_u32_e32 v13, v13, v14
	v_mul_lo_u32 v15, s2, v3
	v_mul_hi_u32 v16, v12, v15
	v_mul_lo_u32 v17, v12, v15
	v_mul_lo_u32 v19, v3, v13
	v_mul_hi_u32 v15, v3, v15
	v_mul_hi_u32 v18, v3, v13
	v_add_co_u32_e32 v15, vcc, v15, v19
	v_addc_co_u32_e32 v18, vcc, 0, v18, vcc
	v_add_co_u32_e32 v15, vcc, v15, v17
	v_mul_hi_u32 v14, v12, v13
	v_addc_co_u32_e32 v15, vcc, v18, v16, vcc
	v_addc_co_u32_e32 v14, vcc, 0, v14, vcc
	v_mul_lo_u32 v13, v12, v13
	v_add_co_u32_e32 v13, vcc, v15, v13
	v_addc_co_u32_e32 v14, vcc, 0, v14, vcc
	v_add_co_u32_e32 v3, vcc, v3, v13
	v_addc_co_u32_e32 v14, vcc, v12, v14, vcc
	v_mad_u64_u32 v[12:13], s[2:3], v10, v14, 0
	v_mul_hi_u32 v15, v10, v3
	v_add_co_u32_e32 v16, vcc, v15, v12
	v_addc_co_u32_e32 v17, vcc, 0, v13, vcc
	v_mad_u64_u32 v[12:13], s[2:3], v11, v14, 0
	v_mad_u64_u32 v[14:15], s[2:3], v11, v3, 0
	v_add_co_u32_e32 v3, vcc, v16, v14
	v_addc_co_u32_e32 v3, vcc, v17, v15, vcc
	v_addc_co_u32_e32 v13, vcc, 0, v13, vcc
	v_add_co_u32_e32 v3, vcc, v3, v12
	v_addc_co_u32_e32 v14, vcc, 0, v13, vcc
	v_mul_lo_u32 v15, s55, v3
	v_mul_lo_u32 v16, s54, v14
	v_mad_u64_u32 v[12:13], s[2:3], s54, v3, 0
	v_add3_u32 v13, v13, v16, v15
	v_sub_u32_e32 v15, v11, v13
	v_mov_b32_e32 v16, s55
	v_sub_co_u32_e32 v12, vcc, v10, v12
	v_subb_co_u32_e64 v15, s[2:3], v15, v16, vcc
	v_subrev_co_u32_e64 v16, s[2:3], s54, v12
	v_subbrev_co_u32_e64 v15, s[2:3], 0, v15, s[2:3]
	v_cmp_le_u32_e64 s[2:3], s55, v15
	v_cndmask_b32_e64 v17, 0, -1, s[2:3]
	v_cmp_le_u32_e64 s[2:3], s54, v16
	v_cndmask_b32_e64 v16, 0, -1, s[2:3]
	v_cmp_eq_u32_e64 s[2:3], s55, v15
	v_cndmask_b32_e64 v15, v17, v16, s[2:3]
	v_add_co_u32_e64 v16, s[2:3], 2, v3
	v_addc_co_u32_e64 v17, s[2:3], 0, v14, s[2:3]
	v_add_co_u32_e64 v18, s[2:3], 1, v3
	v_addc_co_u32_e64 v19, s[2:3], 0, v14, s[2:3]
	v_subb_co_u32_e32 v13, vcc, v11, v13, vcc
	v_cmp_ne_u32_e64 s[2:3], 0, v15
	v_cmp_le_u32_e32 vcc, s55, v13
	v_cndmask_b32_e64 v15, v19, v17, s[2:3]
	v_cndmask_b32_e64 v17, 0, -1, vcc
	v_cmp_le_u32_e32 vcc, s54, v12
	v_cndmask_b32_e64 v12, 0, -1, vcc
	v_cmp_eq_u32_e32 vcc, s55, v13
	v_cndmask_b32_e32 v12, v17, v12, vcc
	v_cmp_ne_u32_e32 vcc, 0, v12
	v_cndmask_b32_e64 v12, v18, v16, s[2:3]
	v_cndmask_b32_e32 v13, v14, v15, vcc
	v_cndmask_b32_e32 v12, v3, v12, vcc
.LBB76_7:                               ;   in Loop: Header=BB76_5 Depth=2
	s_andn2_saveexec_b64 s[2:3], s[56:57]
	s_cbranch_execz .LBB76_9
; %bb.8:                                ;   in Loop: Header=BB76_5 Depth=2
	v_cvt_f32_u32_e32 v3, s54
	s_sub_i32 s56, 0, s54
	v_rcp_iflag_f32_e32 v3, v3
	v_mul_f32_e32 v3, 0x4f7ffffe, v3
	v_cvt_u32_f32_e32 v3, v3
	v_mul_lo_u32 v12, s56, v3
	v_mul_hi_u32 v12, v3, v12
	v_add_u32_e32 v3, v3, v12
	v_mul_hi_u32 v3, v10, v3
	v_mul_lo_u32 v12, v3, s54
	v_sub_u32_e32 v12, v10, v12
	v_add_u32_e32 v13, 1, v3
	v_subrev_u32_e32 v14, s54, v12
	v_cmp_le_u32_e32 vcc, s54, v12
	v_cndmask_b32_e32 v12, v12, v14, vcc
	v_cndmask_b32_e32 v3, v3, v13, vcc
	v_add_u32_e32 v13, 1, v3
	v_cmp_le_u32_e32 vcc, s54, v12
	v_cndmask_b32_e32 v12, v3, v13, vcc
	v_mov_b32_e32 v13, v2
.LBB76_9:                               ;   in Loop: Header=BB76_5 Depth=2
	s_or_b64 exec, exec, s[2:3]
	v_mad_u64_u32 v[14:15], s[2:3], v12, s54, 0
	s_load_dwordx2 s[2:3], s[52:53], 0xc8
	v_mul_lo_u32 v3, v13, s54
	v_mul_lo_u32 v16, v12, s55
	v_add3_u32 v3, v15, v16, v3
	v_sub_co_u32_e32 v10, vcc, v10, v14
	s_add_i32 s58, s58, -1
	v_subb_co_u32_e32 v3, vcc, v11, v3, vcc
	s_add_u32 s52, s52, -8
	s_waitcnt lgkmcnt(0)
	v_mul_lo_u32 v3, s2, v3
	v_mul_lo_u32 v11, s3, v10
	v_mad_u64_u32 v[8:9], s[2:3], s2, v10, v[8:9]
	s_addc_u32 s53, s53, -1
	s_cmp_gt_u32 s58, 2
	v_add3_u32 v9, v11, v9, v3
	s_cbranch_scc0 .LBB76_11
; %bb.10:                               ;   in Loop: Header=BB76_5 Depth=2
	v_pk_mov_b32 v[10:11], v[12:13], v[12:13] op_sel:[0,1]
	s_branch .LBB76_5
.LBB76_11:                              ;   in Loop: Header=BB76_3 Depth=1
	v_mad_u64_u32 v[8:9], s[2:3], s18, v12, v[8:9]
	s_waitcnt vmcnt(0)
	v_mul_lo_u32 v3, s18, v13
	v_mul_lo_u32 v10, s19, v12
	v_add3_u32 v9, v10, v9, v3
.LBB76_12:                              ;   in Loop: Header=BB76_3 Depth=1
	s_or_b64 exec, exec, s[6:7]
	s_waitcnt vmcnt(0)
	v_cndmask_b32_e64 v3, 0, 1, s[22:23]
	v_pk_mov_b32 v[12:13], 0, 0
	v_cmp_ne_u32_e64 s[2:3], 1, v3
	s_and_saveexec_b64 s[6:7], s[4:5]
	s_cbranch_execz .LBB76_21
; %bb.13:                               ;   in Loop: Header=BB76_3 Depth=1
	s_and_b64 vcc, exec, s[2:3]
	v_pk_mov_b32 v[10:11], 0, 0
	s_mov_b64 s[52:53], s[34:35]
	s_mov_b32 s58, s65
	v_pk_mov_b32 v[12:13], v[0:1], v[0:1] op_sel:[0,1]
	v_pk_mov_b32 v[14:15], v[0:1], v[0:1] op_sel:[0,1]
	s_cbranch_vccnz .LBB76_20
.LBB76_14:                              ;   Parent Loop BB76_3 Depth=1
                                        ; =>  This Inner Loop Header: Depth=2
	s_load_dwordx2 s[54:55], s[52:53], 0x0
                                        ; implicit-def: $vgpr14_vgpr15
	s_waitcnt lgkmcnt(0)
	v_or_b32_e32 v3, s55, v13
	v_cmp_ne_u64_e32 vcc, 0, v[2:3]
	s_and_saveexec_b64 s[4:5], vcc
	s_xor_b64 s[56:57], exec, s[4:5]
	s_cbranch_execz .LBB76_16
; %bb.15:                               ;   in Loop: Header=BB76_14 Depth=2
	v_cvt_f32_u32_e32 v3, s54
	v_cvt_f32_u32_e32 v14, s55
	s_sub_u32 s4, 0, s54
	s_subb_u32 s5, 0, s55
	v_mac_f32_e32 v3, 0x4f800000, v14
	v_rcp_f32_e32 v3, v3
	v_mul_f32_e32 v3, 0x5f7ffffc, v3
	v_mul_f32_e32 v14, 0x2f800000, v3
	v_trunc_f32_e32 v14, v14
	v_mac_f32_e32 v3, 0xcf800000, v14
	v_cvt_u32_f32_e32 v14, v14
	v_cvt_u32_f32_e32 v3, v3
	v_mul_lo_u32 v15, s4, v14
	v_mul_hi_u32 v17, s4, v3
	v_mul_lo_u32 v16, s5, v3
	v_add_u32_e32 v15, v17, v15
	v_mul_lo_u32 v18, s4, v3
	v_add_u32_e32 v15, v15, v16
	v_mul_hi_u32 v17, v3, v18
	v_mul_lo_u32 v19, v3, v15
	v_mul_hi_u32 v16, v3, v15
	v_add_co_u32_e32 v17, vcc, v17, v19
	v_addc_co_u32_e32 v16, vcc, 0, v16, vcc
	v_mul_hi_u32 v20, v14, v18
	v_mul_lo_u32 v18, v14, v18
	v_add_co_u32_e32 v17, vcc, v17, v18
	v_mul_hi_u32 v19, v14, v15
	v_addc_co_u32_e32 v16, vcc, v16, v20, vcc
	v_addc_co_u32_e32 v17, vcc, 0, v19, vcc
	v_mul_lo_u32 v15, v14, v15
	v_add_co_u32_e32 v15, vcc, v16, v15
	v_addc_co_u32_e32 v16, vcc, 0, v17, vcc
	v_add_co_u32_e32 v3, vcc, v3, v15
	v_addc_co_u32_e32 v14, vcc, v14, v16, vcc
	v_mul_lo_u32 v15, s4, v14
	v_mul_hi_u32 v16, s4, v3
	v_add_u32_e32 v15, v16, v15
	v_mul_lo_u32 v16, s5, v3
	v_add_u32_e32 v15, v15, v16
	v_mul_lo_u32 v17, s4, v3
	v_mul_hi_u32 v18, v14, v17
	v_mul_lo_u32 v19, v14, v17
	v_mul_lo_u32 v21, v3, v15
	v_mul_hi_u32 v17, v3, v17
	v_mul_hi_u32 v20, v3, v15
	v_add_co_u32_e32 v17, vcc, v17, v21
	v_addc_co_u32_e32 v20, vcc, 0, v20, vcc
	v_add_co_u32_e32 v17, vcc, v17, v19
	v_mul_hi_u32 v16, v14, v15
	v_addc_co_u32_e32 v17, vcc, v20, v18, vcc
	v_addc_co_u32_e32 v16, vcc, 0, v16, vcc
	v_mul_lo_u32 v15, v14, v15
	v_add_co_u32_e32 v15, vcc, v17, v15
	v_addc_co_u32_e32 v16, vcc, 0, v16, vcc
	v_add_co_u32_e32 v3, vcc, v3, v15
	v_addc_co_u32_e32 v16, vcc, v14, v16, vcc
	v_mad_u64_u32 v[14:15], s[4:5], v12, v16, 0
	v_mul_hi_u32 v17, v12, v3
	v_add_co_u32_e32 v18, vcc, v17, v14
	v_addc_co_u32_e32 v19, vcc, 0, v15, vcc
	v_mad_u64_u32 v[14:15], s[4:5], v13, v16, 0
	v_mad_u64_u32 v[16:17], s[4:5], v13, v3, 0
	v_add_co_u32_e32 v3, vcc, v18, v16
	v_addc_co_u32_e32 v3, vcc, v19, v17, vcc
	v_addc_co_u32_e32 v15, vcc, 0, v15, vcc
	v_add_co_u32_e32 v3, vcc, v3, v14
	v_addc_co_u32_e32 v16, vcc, 0, v15, vcc
	v_mul_lo_u32 v17, s55, v3
	v_mul_lo_u32 v18, s54, v16
	v_mad_u64_u32 v[14:15], s[4:5], s54, v3, 0
	v_add3_u32 v15, v15, v18, v17
	v_sub_u32_e32 v17, v13, v15
	v_mov_b32_e32 v18, s55
	v_sub_co_u32_e32 v14, vcc, v12, v14
	v_subb_co_u32_e64 v17, s[4:5], v17, v18, vcc
	v_subrev_co_u32_e64 v18, s[4:5], s54, v14
	v_subbrev_co_u32_e64 v17, s[4:5], 0, v17, s[4:5]
	v_cmp_le_u32_e64 s[4:5], s55, v17
	v_cndmask_b32_e64 v19, 0, -1, s[4:5]
	v_cmp_le_u32_e64 s[4:5], s54, v18
	v_cndmask_b32_e64 v18, 0, -1, s[4:5]
	v_cmp_eq_u32_e64 s[4:5], s55, v17
	v_cndmask_b32_e64 v17, v19, v18, s[4:5]
	v_add_co_u32_e64 v18, s[4:5], 2, v3
	v_addc_co_u32_e64 v19, s[4:5], 0, v16, s[4:5]
	v_add_co_u32_e64 v20, s[4:5], 1, v3
	v_addc_co_u32_e64 v21, s[4:5], 0, v16, s[4:5]
	v_subb_co_u32_e32 v15, vcc, v13, v15, vcc
	v_cmp_ne_u32_e64 s[4:5], 0, v17
	v_cmp_le_u32_e32 vcc, s55, v15
	v_cndmask_b32_e64 v17, v21, v19, s[4:5]
	v_cndmask_b32_e64 v19, 0, -1, vcc
	v_cmp_le_u32_e32 vcc, s54, v14
	v_cndmask_b32_e64 v14, 0, -1, vcc
	v_cmp_eq_u32_e32 vcc, s55, v15
	v_cndmask_b32_e32 v14, v19, v14, vcc
	v_cmp_ne_u32_e32 vcc, 0, v14
	v_cndmask_b32_e64 v14, v20, v18, s[4:5]
	v_cndmask_b32_e32 v15, v16, v17, vcc
	v_cndmask_b32_e32 v14, v3, v14, vcc
.LBB76_16:                              ;   in Loop: Header=BB76_14 Depth=2
	s_andn2_saveexec_b64 s[4:5], s[56:57]
	s_cbranch_execz .LBB76_18
; %bb.17:                               ;   in Loop: Header=BB76_14 Depth=2
	v_cvt_f32_u32_e32 v3, s54
	s_sub_i32 s56, 0, s54
	v_rcp_iflag_f32_e32 v3, v3
	v_mul_f32_e32 v3, 0x4f7ffffe, v3
	v_cvt_u32_f32_e32 v3, v3
	v_mul_lo_u32 v14, s56, v3
	v_mul_hi_u32 v14, v3, v14
	v_add_u32_e32 v3, v3, v14
	v_mul_hi_u32 v3, v12, v3
	v_mul_lo_u32 v14, v3, s54
	v_sub_u32_e32 v14, v12, v14
	v_add_u32_e32 v15, 1, v3
	v_subrev_u32_e32 v16, s54, v14
	v_cmp_le_u32_e32 vcc, s54, v14
	v_cndmask_b32_e32 v14, v14, v16, vcc
	v_cndmask_b32_e32 v3, v3, v15, vcc
	v_add_u32_e32 v15, 1, v3
	v_cmp_le_u32_e32 vcc, s54, v14
	v_cndmask_b32_e32 v14, v3, v15, vcc
	v_mov_b32_e32 v15, v2
.LBB76_18:                              ;   in Loop: Header=BB76_14 Depth=2
	s_or_b64 exec, exec, s[4:5]
	v_mad_u64_u32 v[16:17], s[4:5], v14, s54, 0
	s_load_dwordx2 s[4:5], s[52:53], 0xc8
	v_mul_lo_u32 v3, v15, s54
	v_mul_lo_u32 v18, v14, s55
	v_add3_u32 v3, v17, v18, v3
	v_sub_co_u32_e32 v12, vcc, v12, v16
	s_add_i32 s58, s58, -1
	v_subb_co_u32_e32 v3, vcc, v13, v3, vcc
	s_add_u32 s52, s52, -8
	s_waitcnt lgkmcnt(0)
	v_mul_lo_u32 v3, s4, v3
	v_mul_lo_u32 v13, s5, v12
	v_mad_u64_u32 v[10:11], s[4:5], s4, v12, v[10:11]
	s_addc_u32 s53, s53, -1
	s_cmp_gt_u32 s58, 2
	v_add3_u32 v11, v13, v11, v3
	s_cbranch_scc0 .LBB76_20
; %bb.19:                               ;   in Loop: Header=BB76_14 Depth=2
	v_pk_mov_b32 v[12:13], v[14:15], v[14:15] op_sel:[0,1]
	s_branch .LBB76_14
.LBB76_20:                              ;   in Loop: Header=BB76_3 Depth=1
	v_mad_u64_u32 v[12:13], s[4:5], s20, v14, v[10:11]
	v_mul_lo_u32 v3, s20, v15
	v_mul_lo_u32 v10, s21, v14
	v_add3_u32 v13, v10, v13, v3
.LBB76_21:                              ;   in Loop: Header=BB76_3 Depth=1
	s_or_b64 exec, exec, s[6:7]
	v_or_b32_e32 v14, 1, v0
	v_mov_b32_e32 v15, v1
	v_cmp_lt_i32_e64 s[4:5], 1, v33
	v_pk_mov_b32 v[10:11], 0, 0
	s_and_saveexec_b64 s[52:53], s[4:5]
	s_cbranch_execz .LBB76_30
; %bb.22:                               ;   in Loop: Header=BB76_3 Depth=1
	s_and_b64 vcc, exec, s[0:1]
	v_pk_mov_b32 v[10:11], 0, 0
	s_mov_b64 s[54:55], s[30:31]
	s_mov_b32 s60, s64
	v_pk_mov_b32 v[16:17], v[14:15], v[14:15] op_sel:[0,1]
	v_pk_mov_b32 v[18:19], v[14:15], v[14:15] op_sel:[0,1]
	s_cbranch_vccnz .LBB76_29
.LBB76_23:                              ;   Parent Loop BB76_3 Depth=1
                                        ; =>  This Inner Loop Header: Depth=2
	s_load_dwordx2 s[56:57], s[54:55], 0x0
                                        ; implicit-def: $vgpr18_vgpr19
	s_waitcnt lgkmcnt(0)
	v_or_b32_e32 v3, s57, v17
	v_cmp_ne_u64_e32 vcc, 0, v[2:3]
	s_and_saveexec_b64 s[6:7], vcc
	s_xor_b64 s[58:59], exec, s[6:7]
	s_cbranch_execz .LBB76_25
; %bb.24:                               ;   in Loop: Header=BB76_23 Depth=2
	v_cvt_f32_u32_e32 v3, s56
	v_cvt_f32_u32_e32 v18, s57
	s_sub_u32 s6, 0, s56
	s_subb_u32 s7, 0, s57
	v_mac_f32_e32 v3, 0x4f800000, v18
	v_rcp_f32_e32 v3, v3
	v_mul_f32_e32 v3, 0x5f7ffffc, v3
	v_mul_f32_e32 v18, 0x2f800000, v3
	v_trunc_f32_e32 v18, v18
	v_mac_f32_e32 v3, 0xcf800000, v18
	v_cvt_u32_f32_e32 v18, v18
	v_cvt_u32_f32_e32 v3, v3
	v_mul_lo_u32 v19, s6, v18
	v_mul_hi_u32 v21, s6, v3
	v_mul_lo_u32 v20, s7, v3
	v_add_u32_e32 v19, v21, v19
	v_mul_lo_u32 v22, s6, v3
	v_add_u32_e32 v19, v19, v20
	v_mul_hi_u32 v21, v3, v22
	v_mul_lo_u32 v23, v3, v19
	v_mul_hi_u32 v20, v3, v19
	v_add_co_u32_e32 v21, vcc, v21, v23
	v_addc_co_u32_e32 v20, vcc, 0, v20, vcc
	v_mul_hi_u32 v24, v18, v22
	v_mul_lo_u32 v22, v18, v22
	v_add_co_u32_e32 v21, vcc, v21, v22
	v_mul_hi_u32 v23, v18, v19
	v_addc_co_u32_e32 v20, vcc, v20, v24, vcc
	v_addc_co_u32_e32 v21, vcc, 0, v23, vcc
	v_mul_lo_u32 v19, v18, v19
	v_add_co_u32_e32 v19, vcc, v20, v19
	v_addc_co_u32_e32 v20, vcc, 0, v21, vcc
	v_add_co_u32_e32 v3, vcc, v3, v19
	v_addc_co_u32_e32 v18, vcc, v18, v20, vcc
	v_mul_lo_u32 v19, s6, v18
	v_mul_hi_u32 v20, s6, v3
	v_add_u32_e32 v19, v20, v19
	v_mul_lo_u32 v20, s7, v3
	v_add_u32_e32 v19, v19, v20
	v_mul_lo_u32 v21, s6, v3
	v_mul_hi_u32 v22, v18, v21
	v_mul_lo_u32 v23, v18, v21
	v_mul_lo_u32 v25, v3, v19
	v_mul_hi_u32 v21, v3, v21
	v_mul_hi_u32 v24, v3, v19
	v_add_co_u32_e32 v21, vcc, v21, v25
	v_addc_co_u32_e32 v24, vcc, 0, v24, vcc
	v_add_co_u32_e32 v21, vcc, v21, v23
	v_mul_hi_u32 v20, v18, v19
	v_addc_co_u32_e32 v21, vcc, v24, v22, vcc
	v_addc_co_u32_e32 v20, vcc, 0, v20, vcc
	v_mul_lo_u32 v19, v18, v19
	v_add_co_u32_e32 v19, vcc, v21, v19
	v_addc_co_u32_e32 v20, vcc, 0, v20, vcc
	v_add_co_u32_e32 v3, vcc, v3, v19
	v_addc_co_u32_e32 v20, vcc, v18, v20, vcc
	v_mad_u64_u32 v[18:19], s[6:7], v16, v20, 0
	v_mul_hi_u32 v21, v16, v3
	v_add_co_u32_e32 v22, vcc, v21, v18
	v_addc_co_u32_e32 v23, vcc, 0, v19, vcc
	v_mad_u64_u32 v[18:19], s[6:7], v17, v20, 0
	v_mad_u64_u32 v[20:21], s[6:7], v17, v3, 0
	v_add_co_u32_e32 v3, vcc, v22, v20
	v_addc_co_u32_e32 v3, vcc, v23, v21, vcc
	v_addc_co_u32_e32 v19, vcc, 0, v19, vcc
	v_add_co_u32_e32 v3, vcc, v3, v18
	v_addc_co_u32_e32 v20, vcc, 0, v19, vcc
	v_mul_lo_u32 v21, s57, v3
	v_mul_lo_u32 v22, s56, v20
	v_mad_u64_u32 v[18:19], s[6:7], s56, v3, 0
	v_add3_u32 v19, v19, v22, v21
	v_sub_u32_e32 v21, v17, v19
	v_mov_b32_e32 v22, s57
	v_sub_co_u32_e32 v18, vcc, v16, v18
	v_subb_co_u32_e64 v21, s[6:7], v21, v22, vcc
	v_subrev_co_u32_e64 v22, s[6:7], s56, v18
	v_subbrev_co_u32_e64 v21, s[6:7], 0, v21, s[6:7]
	v_cmp_le_u32_e64 s[6:7], s57, v21
	v_cndmask_b32_e64 v23, 0, -1, s[6:7]
	v_cmp_le_u32_e64 s[6:7], s56, v22
	v_cndmask_b32_e64 v22, 0, -1, s[6:7]
	v_cmp_eq_u32_e64 s[6:7], s57, v21
	v_cndmask_b32_e64 v21, v23, v22, s[6:7]
	v_add_co_u32_e64 v22, s[6:7], 2, v3
	v_addc_co_u32_e64 v23, s[6:7], 0, v20, s[6:7]
	v_add_co_u32_e64 v24, s[6:7], 1, v3
	v_addc_co_u32_e64 v25, s[6:7], 0, v20, s[6:7]
	v_subb_co_u32_e32 v19, vcc, v17, v19, vcc
	v_cmp_ne_u32_e64 s[6:7], 0, v21
	v_cmp_le_u32_e32 vcc, s57, v19
	v_cndmask_b32_e64 v21, v25, v23, s[6:7]
	v_cndmask_b32_e64 v23, 0, -1, vcc
	v_cmp_le_u32_e32 vcc, s56, v18
	v_cndmask_b32_e64 v18, 0, -1, vcc
	v_cmp_eq_u32_e32 vcc, s57, v19
	v_cndmask_b32_e32 v18, v23, v18, vcc
	v_cmp_ne_u32_e32 vcc, 0, v18
	v_cndmask_b32_e64 v18, v24, v22, s[6:7]
	v_cndmask_b32_e32 v19, v20, v21, vcc
	v_cndmask_b32_e32 v18, v3, v18, vcc
.LBB76_25:                              ;   in Loop: Header=BB76_23 Depth=2
	s_andn2_saveexec_b64 s[6:7], s[58:59]
	s_cbranch_execz .LBB76_27
; %bb.26:                               ;   in Loop: Header=BB76_23 Depth=2
	v_cvt_f32_u32_e32 v3, s56
	s_sub_i32 s58, 0, s56
	v_rcp_iflag_f32_e32 v3, v3
	v_mul_f32_e32 v3, 0x4f7ffffe, v3
	v_cvt_u32_f32_e32 v3, v3
	v_mul_lo_u32 v18, s58, v3
	v_mul_hi_u32 v18, v3, v18
	v_add_u32_e32 v3, v3, v18
	v_mul_hi_u32 v3, v16, v3
	v_mul_lo_u32 v18, v3, s56
	v_sub_u32_e32 v18, v16, v18
	v_add_u32_e32 v19, 1, v3
	v_subrev_u32_e32 v20, s56, v18
	v_cmp_le_u32_e32 vcc, s56, v18
	v_cndmask_b32_e32 v18, v18, v20, vcc
	v_cndmask_b32_e32 v3, v3, v19, vcc
	v_add_u32_e32 v19, 1, v3
	v_cmp_le_u32_e32 vcc, s56, v18
	v_cndmask_b32_e32 v18, v3, v19, vcc
	v_mov_b32_e32 v19, v2
.LBB76_27:                              ;   in Loop: Header=BB76_23 Depth=2
	s_or_b64 exec, exec, s[6:7]
	v_mad_u64_u32 v[20:21], s[6:7], v18, s56, 0
	s_load_dwordx2 s[6:7], s[54:55], 0xc8
	v_mul_lo_u32 v3, v19, s56
	v_mul_lo_u32 v22, v18, s57
	v_add3_u32 v3, v21, v22, v3
	v_sub_co_u32_e32 v16, vcc, v16, v20
	s_add_i32 s60, s60, -1
	v_subb_co_u32_e32 v3, vcc, v17, v3, vcc
	s_add_u32 s54, s54, -8
	s_waitcnt lgkmcnt(0)
	v_mul_lo_u32 v3, s6, v3
	v_mul_lo_u32 v17, s7, v16
	v_mad_u64_u32 v[10:11], s[6:7], s6, v16, v[10:11]
	s_addc_u32 s55, s55, -1
	s_cmp_gt_u32 s60, 2
	v_add3_u32 v11, v17, v11, v3
	s_cbranch_scc0 .LBB76_29
; %bb.28:                               ;   in Loop: Header=BB76_23 Depth=2
	v_pk_mov_b32 v[16:17], v[18:19], v[18:19] op_sel:[0,1]
	s_branch .LBB76_23
.LBB76_29:                              ;   in Loop: Header=BB76_3 Depth=1
	v_mad_u64_u32 v[10:11], s[6:7], s18, v18, v[10:11]
	v_mul_lo_u32 v3, s18, v19
	v_mul_lo_u32 v16, s19, v18
	v_add3_u32 v11, v16, v11, v3
.LBB76_30:                              ;   in Loop: Header=BB76_3 Depth=1
	s_or_b64 exec, exec, s[52:53]
	v_pk_mov_b32 v[16:17], 0, 0
	s_and_saveexec_b64 s[6:7], s[4:5]
	s_cbranch_execz .LBB76_33
; %bb.31:                               ;   in Loop: Header=BB76_3 Depth=1
	s_and_b64 vcc, exec, s[2:3]
	v_pk_mov_b32 v[16:17], 0, 0
	s_mov_b64 s[52:53], s[34:35]
	s_mov_b32 s58, s65
	s_cbranch_vccz .LBB76_42
.LBB76_32:                              ;   in Loop: Header=BB76_3 Depth=1
	v_mad_u64_u32 v[16:17], s[4:5], s20, v14, v[16:17]
	v_mul_lo_u32 v3, s20, v15
	v_mul_lo_u32 v14, s21, v14
	v_add3_u32 v17, v14, v17, v3
.LBB76_33:                              ;   in Loop: Header=BB76_3 Depth=1
	s_or_b64 exec, exec, s[6:7]
	v_or_b32_e32 v18, 2, v0
	v_mov_b32_e32 v19, v1
	v_cmp_lt_i32_e64 s[4:5], 2, v33
	v_pk_mov_b32 v[14:15], 0, 0
	s_and_saveexec_b64 s[52:53], s[4:5]
	s_cbranch_execz .LBB76_47
; %bb.34:                               ;   in Loop: Header=BB76_3 Depth=1
	s_and_b64 vcc, exec, s[0:1]
	v_pk_mov_b32 v[14:15], 0, 0
	s_mov_b64 s[54:55], s[30:31]
	s_mov_b32 s60, s64
	v_pk_mov_b32 v[20:21], v[18:19], v[18:19] op_sel:[0,1]
	v_pk_mov_b32 v[22:23], v[18:19], v[18:19] op_sel:[0,1]
	s_cbranch_vccnz .LBB76_46
.LBB76_35:                              ;   Parent Loop BB76_3 Depth=1
                                        ; =>  This Inner Loop Header: Depth=2
	s_load_dwordx2 s[56:57], s[54:55], 0x0
                                        ; implicit-def: $vgpr22_vgpr23
	s_waitcnt lgkmcnt(0)
	v_or_b32_e32 v3, s57, v21
	v_cmp_ne_u64_e32 vcc, 0, v[2:3]
	s_and_saveexec_b64 s[6:7], vcc
	s_xor_b64 s[58:59], exec, s[6:7]
	s_cbranch_execz .LBB76_37
; %bb.36:                               ;   in Loop: Header=BB76_35 Depth=2
	v_cvt_f32_u32_e32 v3, s56
	v_cvt_f32_u32_e32 v22, s57
	s_sub_u32 s6, 0, s56
	s_subb_u32 s7, 0, s57
	v_mac_f32_e32 v3, 0x4f800000, v22
	v_rcp_f32_e32 v3, v3
	v_mul_f32_e32 v3, 0x5f7ffffc, v3
	v_mul_f32_e32 v22, 0x2f800000, v3
	v_trunc_f32_e32 v22, v22
	v_mac_f32_e32 v3, 0xcf800000, v22
	v_cvt_u32_f32_e32 v22, v22
	v_cvt_u32_f32_e32 v3, v3
	v_mul_lo_u32 v23, s6, v22
	v_mul_hi_u32 v25, s6, v3
	v_mul_lo_u32 v24, s7, v3
	v_add_u32_e32 v23, v25, v23
	v_mul_lo_u32 v26, s6, v3
	v_add_u32_e32 v23, v23, v24
	v_mul_hi_u32 v25, v3, v26
	v_mul_lo_u32 v27, v3, v23
	v_mul_hi_u32 v24, v3, v23
	v_add_co_u32_e32 v25, vcc, v25, v27
	v_addc_co_u32_e32 v24, vcc, 0, v24, vcc
	v_mul_hi_u32 v28, v22, v26
	v_mul_lo_u32 v26, v22, v26
	v_add_co_u32_e32 v25, vcc, v25, v26
	v_mul_hi_u32 v27, v22, v23
	v_addc_co_u32_e32 v24, vcc, v24, v28, vcc
	v_addc_co_u32_e32 v25, vcc, 0, v27, vcc
	v_mul_lo_u32 v23, v22, v23
	v_add_co_u32_e32 v23, vcc, v24, v23
	v_addc_co_u32_e32 v24, vcc, 0, v25, vcc
	v_add_co_u32_e32 v3, vcc, v3, v23
	v_addc_co_u32_e32 v22, vcc, v22, v24, vcc
	v_mul_lo_u32 v23, s6, v22
	v_mul_hi_u32 v24, s6, v3
	v_add_u32_e32 v23, v24, v23
	v_mul_lo_u32 v24, s7, v3
	v_add_u32_e32 v23, v23, v24
	v_mul_lo_u32 v25, s6, v3
	v_mul_hi_u32 v26, v22, v25
	v_mul_lo_u32 v27, v22, v25
	v_mul_lo_u32 v29, v3, v23
	v_mul_hi_u32 v25, v3, v25
	v_mul_hi_u32 v28, v3, v23
	v_add_co_u32_e32 v25, vcc, v25, v29
	v_addc_co_u32_e32 v28, vcc, 0, v28, vcc
	v_add_co_u32_e32 v25, vcc, v25, v27
	v_mul_hi_u32 v24, v22, v23
	v_addc_co_u32_e32 v25, vcc, v28, v26, vcc
	v_addc_co_u32_e32 v24, vcc, 0, v24, vcc
	v_mul_lo_u32 v23, v22, v23
	v_add_co_u32_e32 v23, vcc, v25, v23
	v_addc_co_u32_e32 v24, vcc, 0, v24, vcc
	v_add_co_u32_e32 v3, vcc, v3, v23
	v_addc_co_u32_e32 v24, vcc, v22, v24, vcc
	v_mad_u64_u32 v[22:23], s[6:7], v20, v24, 0
	v_mul_hi_u32 v25, v20, v3
	v_add_co_u32_e32 v26, vcc, v25, v22
	v_addc_co_u32_e32 v27, vcc, 0, v23, vcc
	v_mad_u64_u32 v[22:23], s[6:7], v21, v24, 0
	v_mad_u64_u32 v[24:25], s[6:7], v21, v3, 0
	v_add_co_u32_e32 v3, vcc, v26, v24
	v_addc_co_u32_e32 v3, vcc, v27, v25, vcc
	v_addc_co_u32_e32 v23, vcc, 0, v23, vcc
	v_add_co_u32_e32 v3, vcc, v3, v22
	v_addc_co_u32_e32 v24, vcc, 0, v23, vcc
	v_mul_lo_u32 v25, s57, v3
	v_mul_lo_u32 v26, s56, v24
	v_mad_u64_u32 v[22:23], s[6:7], s56, v3, 0
	v_add3_u32 v23, v23, v26, v25
	v_sub_u32_e32 v25, v21, v23
	v_mov_b32_e32 v26, s57
	v_sub_co_u32_e32 v22, vcc, v20, v22
	v_subb_co_u32_e64 v25, s[6:7], v25, v26, vcc
	v_subrev_co_u32_e64 v26, s[6:7], s56, v22
	v_subbrev_co_u32_e64 v25, s[6:7], 0, v25, s[6:7]
	v_cmp_le_u32_e64 s[6:7], s57, v25
	v_cndmask_b32_e64 v27, 0, -1, s[6:7]
	v_cmp_le_u32_e64 s[6:7], s56, v26
	v_cndmask_b32_e64 v26, 0, -1, s[6:7]
	v_cmp_eq_u32_e64 s[6:7], s57, v25
	v_cndmask_b32_e64 v25, v27, v26, s[6:7]
	v_add_co_u32_e64 v26, s[6:7], 2, v3
	v_addc_co_u32_e64 v27, s[6:7], 0, v24, s[6:7]
	v_add_co_u32_e64 v28, s[6:7], 1, v3
	v_addc_co_u32_e64 v29, s[6:7], 0, v24, s[6:7]
	v_subb_co_u32_e32 v23, vcc, v21, v23, vcc
	v_cmp_ne_u32_e64 s[6:7], 0, v25
	v_cmp_le_u32_e32 vcc, s57, v23
	v_cndmask_b32_e64 v25, v29, v27, s[6:7]
	v_cndmask_b32_e64 v27, 0, -1, vcc
	v_cmp_le_u32_e32 vcc, s56, v22
	v_cndmask_b32_e64 v22, 0, -1, vcc
	v_cmp_eq_u32_e32 vcc, s57, v23
	v_cndmask_b32_e32 v22, v27, v22, vcc
	v_cmp_ne_u32_e32 vcc, 0, v22
	v_cndmask_b32_e64 v22, v28, v26, s[6:7]
	v_cndmask_b32_e32 v23, v24, v25, vcc
	v_cndmask_b32_e32 v22, v3, v22, vcc
.LBB76_37:                              ;   in Loop: Header=BB76_35 Depth=2
	s_andn2_saveexec_b64 s[6:7], s[58:59]
	s_cbranch_execz .LBB76_39
; %bb.38:                               ;   in Loop: Header=BB76_35 Depth=2
	v_cvt_f32_u32_e32 v3, s56
	s_sub_i32 s58, 0, s56
	v_rcp_iflag_f32_e32 v3, v3
	v_mul_f32_e32 v3, 0x4f7ffffe, v3
	v_cvt_u32_f32_e32 v3, v3
	v_mul_lo_u32 v22, s58, v3
	v_mul_hi_u32 v22, v3, v22
	v_add_u32_e32 v3, v3, v22
	v_mul_hi_u32 v3, v20, v3
	v_mul_lo_u32 v22, v3, s56
	v_sub_u32_e32 v22, v20, v22
	v_add_u32_e32 v23, 1, v3
	v_subrev_u32_e32 v24, s56, v22
	v_cmp_le_u32_e32 vcc, s56, v22
	v_cndmask_b32_e32 v22, v22, v24, vcc
	v_cndmask_b32_e32 v3, v3, v23, vcc
	v_add_u32_e32 v23, 1, v3
	v_cmp_le_u32_e32 vcc, s56, v22
	v_cndmask_b32_e32 v22, v3, v23, vcc
	v_mov_b32_e32 v23, v2
.LBB76_39:                              ;   in Loop: Header=BB76_35 Depth=2
	s_or_b64 exec, exec, s[6:7]
	v_mad_u64_u32 v[24:25], s[6:7], v22, s56, 0
	s_load_dwordx2 s[6:7], s[54:55], 0xc8
	v_mul_lo_u32 v3, v23, s56
	v_mul_lo_u32 v26, v22, s57
	v_add3_u32 v3, v25, v26, v3
	v_sub_co_u32_e32 v20, vcc, v20, v24
	s_add_i32 s60, s60, -1
	v_subb_co_u32_e32 v3, vcc, v21, v3, vcc
	s_add_u32 s54, s54, -8
	s_waitcnt lgkmcnt(0)
	v_mul_lo_u32 v3, s6, v3
	v_mul_lo_u32 v21, s7, v20
	v_mad_u64_u32 v[14:15], s[6:7], s6, v20, v[14:15]
	s_addc_u32 s55, s55, -1
	s_cmp_gt_u32 s60, 2
	v_add3_u32 v15, v21, v15, v3
	s_cbranch_scc0 .LBB76_46
; %bb.40:                               ;   in Loop: Header=BB76_35 Depth=2
	v_pk_mov_b32 v[20:21], v[22:23], v[22:23] op_sel:[0,1]
	s_branch .LBB76_35
.LBB76_41:                              ;   in Loop: Header=BB76_42 Depth=2
	s_or_b64 exec, exec, s[4:5]
	v_mad_u64_u32 v[20:21], s[4:5], v18, s54, 0
	s_load_dwordx2 s[4:5], s[52:53], 0xc8
	v_mul_lo_u32 v3, v19, s54
	v_mul_lo_u32 v22, v18, s55
	v_add3_u32 v3, v21, v22, v3
	v_sub_co_u32_e32 v14, vcc, v14, v20
	s_add_i32 s58, s58, -1
	v_subb_co_u32_e32 v3, vcc, v15, v3, vcc
	s_add_u32 s52, s52, -8
	s_waitcnt lgkmcnt(0)
	v_mul_lo_u32 v3, s4, v3
	v_mul_lo_u32 v15, s5, v14
	v_mad_u64_u32 v[16:17], s[4:5], s4, v14, v[16:17]
	s_addc_u32 s53, s53, -1
	s_cmp_gt_u32 s58, 2
	v_add3_u32 v17, v15, v17, v3
	v_pk_mov_b32 v[14:15], v[18:19], v[18:19] op_sel:[0,1]
	s_cbranch_scc0 .LBB76_32
.LBB76_42:                              ;   Parent Loop BB76_3 Depth=1
                                        ; =>  This Inner Loop Header: Depth=2
	s_load_dwordx2 s[54:55], s[52:53], 0x0
                                        ; implicit-def: $vgpr18_vgpr19
	s_waitcnt lgkmcnt(0)
	v_or_b32_e32 v3, s55, v15
	v_cmp_ne_u64_e32 vcc, 0, v[2:3]
	s_and_saveexec_b64 s[4:5], vcc
	s_xor_b64 s[56:57], exec, s[4:5]
	s_cbranch_execz .LBB76_44
; %bb.43:                               ;   in Loop: Header=BB76_42 Depth=2
	v_cvt_f32_u32_e32 v3, s54
	v_cvt_f32_u32_e32 v18, s55
	s_sub_u32 s4, 0, s54
	s_subb_u32 s5, 0, s55
	v_mac_f32_e32 v3, 0x4f800000, v18
	v_rcp_f32_e32 v3, v3
	v_mul_f32_e32 v3, 0x5f7ffffc, v3
	v_mul_f32_e32 v18, 0x2f800000, v3
	v_trunc_f32_e32 v18, v18
	v_mac_f32_e32 v3, 0xcf800000, v18
	v_cvt_u32_f32_e32 v18, v18
	v_cvt_u32_f32_e32 v3, v3
	v_mul_lo_u32 v19, s4, v18
	v_mul_hi_u32 v21, s4, v3
	v_mul_lo_u32 v20, s5, v3
	v_add_u32_e32 v19, v21, v19
	v_mul_lo_u32 v22, s4, v3
	v_add_u32_e32 v19, v19, v20
	v_mul_hi_u32 v21, v3, v22
	v_mul_lo_u32 v23, v3, v19
	v_mul_hi_u32 v20, v3, v19
	v_add_co_u32_e32 v21, vcc, v21, v23
	v_addc_co_u32_e32 v20, vcc, 0, v20, vcc
	v_mul_hi_u32 v24, v18, v22
	v_mul_lo_u32 v22, v18, v22
	v_add_co_u32_e32 v21, vcc, v21, v22
	v_mul_hi_u32 v23, v18, v19
	v_addc_co_u32_e32 v20, vcc, v20, v24, vcc
	v_addc_co_u32_e32 v21, vcc, 0, v23, vcc
	v_mul_lo_u32 v19, v18, v19
	v_add_co_u32_e32 v19, vcc, v20, v19
	v_addc_co_u32_e32 v20, vcc, 0, v21, vcc
	v_add_co_u32_e32 v3, vcc, v3, v19
	v_addc_co_u32_e32 v18, vcc, v18, v20, vcc
	v_mul_lo_u32 v19, s4, v18
	v_mul_hi_u32 v20, s4, v3
	v_add_u32_e32 v19, v20, v19
	v_mul_lo_u32 v20, s5, v3
	v_add_u32_e32 v19, v19, v20
	v_mul_lo_u32 v21, s4, v3
	v_mul_hi_u32 v22, v18, v21
	v_mul_lo_u32 v23, v18, v21
	v_mul_lo_u32 v25, v3, v19
	v_mul_hi_u32 v21, v3, v21
	v_mul_hi_u32 v24, v3, v19
	v_add_co_u32_e32 v21, vcc, v21, v25
	v_addc_co_u32_e32 v24, vcc, 0, v24, vcc
	v_add_co_u32_e32 v21, vcc, v21, v23
	v_mul_hi_u32 v20, v18, v19
	v_addc_co_u32_e32 v21, vcc, v24, v22, vcc
	v_addc_co_u32_e32 v20, vcc, 0, v20, vcc
	v_mul_lo_u32 v19, v18, v19
	v_add_co_u32_e32 v19, vcc, v21, v19
	v_addc_co_u32_e32 v20, vcc, 0, v20, vcc
	v_add_co_u32_e32 v3, vcc, v3, v19
	v_addc_co_u32_e32 v20, vcc, v18, v20, vcc
	v_mad_u64_u32 v[18:19], s[4:5], v14, v20, 0
	v_mul_hi_u32 v21, v14, v3
	v_add_co_u32_e32 v22, vcc, v21, v18
	v_addc_co_u32_e32 v23, vcc, 0, v19, vcc
	v_mad_u64_u32 v[18:19], s[4:5], v15, v20, 0
	v_mad_u64_u32 v[20:21], s[4:5], v15, v3, 0
	v_add_co_u32_e32 v3, vcc, v22, v20
	v_addc_co_u32_e32 v3, vcc, v23, v21, vcc
	v_addc_co_u32_e32 v19, vcc, 0, v19, vcc
	v_add_co_u32_e32 v3, vcc, v3, v18
	v_addc_co_u32_e32 v20, vcc, 0, v19, vcc
	v_mul_lo_u32 v21, s55, v3
	v_mul_lo_u32 v22, s54, v20
	v_mad_u64_u32 v[18:19], s[4:5], s54, v3, 0
	v_add3_u32 v19, v19, v22, v21
	v_sub_u32_e32 v21, v15, v19
	v_mov_b32_e32 v22, s55
	v_sub_co_u32_e32 v18, vcc, v14, v18
	v_subb_co_u32_e64 v21, s[4:5], v21, v22, vcc
	v_subrev_co_u32_e64 v22, s[4:5], s54, v18
	v_subbrev_co_u32_e64 v21, s[4:5], 0, v21, s[4:5]
	v_cmp_le_u32_e64 s[4:5], s55, v21
	v_cndmask_b32_e64 v23, 0, -1, s[4:5]
	v_cmp_le_u32_e64 s[4:5], s54, v22
	v_cndmask_b32_e64 v22, 0, -1, s[4:5]
	v_cmp_eq_u32_e64 s[4:5], s55, v21
	v_cndmask_b32_e64 v21, v23, v22, s[4:5]
	v_add_co_u32_e64 v22, s[4:5], 2, v3
	v_addc_co_u32_e64 v23, s[4:5], 0, v20, s[4:5]
	v_add_co_u32_e64 v24, s[4:5], 1, v3
	v_addc_co_u32_e64 v25, s[4:5], 0, v20, s[4:5]
	v_subb_co_u32_e32 v19, vcc, v15, v19, vcc
	v_cmp_ne_u32_e64 s[4:5], 0, v21
	v_cmp_le_u32_e32 vcc, s55, v19
	v_cndmask_b32_e64 v21, v25, v23, s[4:5]
	v_cndmask_b32_e64 v23, 0, -1, vcc
	v_cmp_le_u32_e32 vcc, s54, v18
	v_cndmask_b32_e64 v18, 0, -1, vcc
	v_cmp_eq_u32_e32 vcc, s55, v19
	v_cndmask_b32_e32 v18, v23, v18, vcc
	v_cmp_ne_u32_e32 vcc, 0, v18
	v_cndmask_b32_e64 v18, v24, v22, s[4:5]
	v_cndmask_b32_e32 v19, v20, v21, vcc
	v_cndmask_b32_e32 v18, v3, v18, vcc
.LBB76_44:                              ;   in Loop: Header=BB76_42 Depth=2
	s_andn2_saveexec_b64 s[4:5], s[56:57]
	s_cbranch_execz .LBB76_41
; %bb.45:                               ;   in Loop: Header=BB76_42 Depth=2
	v_cvt_f32_u32_e32 v3, s54
	s_sub_i32 s56, 0, s54
	v_rcp_iflag_f32_e32 v3, v3
	v_mul_f32_e32 v3, 0x4f7ffffe, v3
	v_cvt_u32_f32_e32 v3, v3
	v_mul_lo_u32 v18, s56, v3
	v_mul_hi_u32 v18, v3, v18
	v_add_u32_e32 v3, v3, v18
	v_mul_hi_u32 v3, v14, v3
	v_mul_lo_u32 v18, v3, s54
	v_sub_u32_e32 v18, v14, v18
	v_add_u32_e32 v19, 1, v3
	v_subrev_u32_e32 v20, s54, v18
	v_cmp_le_u32_e32 vcc, s54, v18
	v_cndmask_b32_e32 v18, v18, v20, vcc
	v_cndmask_b32_e32 v3, v3, v19, vcc
	v_add_u32_e32 v19, 1, v3
	v_cmp_le_u32_e32 vcc, s54, v18
	v_cndmask_b32_e32 v18, v3, v19, vcc
	v_mov_b32_e32 v19, v2
	s_branch .LBB76_41
.LBB76_46:                              ;   in Loop: Header=BB76_3 Depth=1
	v_mad_u64_u32 v[14:15], s[6:7], s18, v22, v[14:15]
	v_mul_lo_u32 v3, s18, v23
	v_mul_lo_u32 v20, s19, v22
	v_add3_u32 v15, v20, v15, v3
.LBB76_47:                              ;   in Loop: Header=BB76_3 Depth=1
	s_or_b64 exec, exec, s[52:53]
	v_pk_mov_b32 v[20:21], 0, 0
	s_and_saveexec_b64 s[6:7], s[4:5]
	s_cbranch_execz .LBB76_50
; %bb.48:                               ;   in Loop: Header=BB76_3 Depth=1
	s_and_b64 vcc, exec, s[2:3]
	v_pk_mov_b32 v[20:21], 0, 0
	s_mov_b64 s[52:53], s[34:35]
	s_mov_b32 s58, s65
	s_cbranch_vccz .LBB76_59
.LBB76_49:                              ;   in Loop: Header=BB76_3 Depth=1
	v_mad_u64_u32 v[20:21], s[4:5], s20, v18, v[20:21]
	v_mul_lo_u32 v3, s20, v19
	v_mul_lo_u32 v18, s21, v18
	v_add3_u32 v21, v18, v21, v3
.LBB76_50:                              ;   in Loop: Header=BB76_3 Depth=1
	s_or_b64 exec, exec, s[6:7]
	v_or_b32_e32 v22, 3, v0
	v_mov_b32_e32 v23, v1
	v_cmp_lt_i32_e64 s[4:5], 3, v33
	v_pk_mov_b32 v[18:19], 0, 0
	s_and_saveexec_b64 s[6:7], s[4:5]
	s_cbranch_execz .LBB76_64
; %bb.51:                               ;   in Loop: Header=BB76_3 Depth=1
	s_and_b64 vcc, exec, s[0:1]
	v_pk_mov_b32 v[18:19], 0, 0
	s_mov_b64 s[52:53], s[30:31]
	s_mov_b32 s58, s64
	v_pk_mov_b32 v[24:25], v[22:23], v[22:23] op_sel:[0,1]
	v_pk_mov_b32 v[26:27], v[22:23], v[22:23] op_sel:[0,1]
	s_cbranch_vccnz .LBB76_63
.LBB76_52:                              ;   Parent Loop BB76_3 Depth=1
                                        ; =>  This Inner Loop Header: Depth=2
	s_load_dwordx2 s[54:55], s[52:53], 0x0
                                        ; implicit-def: $vgpr26_vgpr27
	s_waitcnt lgkmcnt(0)
	v_or_b32_e32 v3, s55, v25
	v_cmp_ne_u64_e32 vcc, 0, v[2:3]
	s_and_saveexec_b64 s[0:1], vcc
	s_xor_b64 s[56:57], exec, s[0:1]
	s_cbranch_execz .LBB76_54
; %bb.53:                               ;   in Loop: Header=BB76_52 Depth=2
	v_cvt_f32_u32_e32 v3, s54
	v_cvt_f32_u32_e32 v26, s55
	s_sub_u32 s0, 0, s54
	s_subb_u32 s1, 0, s55
	v_mac_f32_e32 v3, 0x4f800000, v26
	v_rcp_f32_e32 v3, v3
	v_mul_f32_e32 v3, 0x5f7ffffc, v3
	v_mul_f32_e32 v26, 0x2f800000, v3
	v_trunc_f32_e32 v26, v26
	v_mac_f32_e32 v3, 0xcf800000, v26
	v_cvt_u32_f32_e32 v26, v26
	v_cvt_u32_f32_e32 v3, v3
	v_mul_lo_u32 v27, s0, v26
	v_mul_hi_u32 v29, s0, v3
	v_mul_lo_u32 v28, s1, v3
	v_add_u32_e32 v27, v29, v27
	v_mul_lo_u32 v30, s0, v3
	v_add_u32_e32 v27, v27, v28
	v_mul_hi_u32 v29, v3, v30
	v_mul_lo_u32 v31, v3, v27
	v_mul_hi_u32 v28, v3, v27
	v_add_co_u32_e32 v29, vcc, v29, v31
	v_addc_co_u32_e32 v28, vcc, 0, v28, vcc
	v_mul_hi_u32 v34, v26, v30
	v_mul_lo_u32 v30, v26, v30
	v_add_co_u32_e32 v29, vcc, v29, v30
	v_mul_hi_u32 v31, v26, v27
	v_addc_co_u32_e32 v28, vcc, v28, v34, vcc
	v_addc_co_u32_e32 v29, vcc, 0, v31, vcc
	v_mul_lo_u32 v27, v26, v27
	v_add_co_u32_e32 v27, vcc, v28, v27
	v_addc_co_u32_e32 v28, vcc, 0, v29, vcc
	v_add_co_u32_e32 v3, vcc, v3, v27
	v_addc_co_u32_e32 v26, vcc, v26, v28, vcc
	v_mul_lo_u32 v27, s0, v26
	v_mul_hi_u32 v28, s0, v3
	v_add_u32_e32 v27, v28, v27
	v_mul_lo_u32 v28, s1, v3
	v_add_u32_e32 v27, v27, v28
	v_mul_lo_u32 v29, s0, v3
	v_mul_hi_u32 v30, v26, v29
	v_mul_lo_u32 v31, v26, v29
	v_mul_lo_u32 v35, v3, v27
	v_mul_hi_u32 v29, v3, v29
	v_mul_hi_u32 v34, v3, v27
	v_add_co_u32_e32 v29, vcc, v29, v35
	v_addc_co_u32_e32 v34, vcc, 0, v34, vcc
	v_add_co_u32_e32 v29, vcc, v29, v31
	v_mul_hi_u32 v28, v26, v27
	v_addc_co_u32_e32 v29, vcc, v34, v30, vcc
	v_addc_co_u32_e32 v28, vcc, 0, v28, vcc
	v_mul_lo_u32 v27, v26, v27
	v_add_co_u32_e32 v27, vcc, v29, v27
	v_addc_co_u32_e32 v28, vcc, 0, v28, vcc
	v_add_co_u32_e32 v3, vcc, v3, v27
	v_addc_co_u32_e32 v28, vcc, v26, v28, vcc
	v_mad_u64_u32 v[26:27], s[0:1], v24, v28, 0
	v_mul_hi_u32 v29, v24, v3
	v_add_co_u32_e32 v30, vcc, v29, v26
	v_addc_co_u32_e32 v31, vcc, 0, v27, vcc
	v_mad_u64_u32 v[26:27], s[0:1], v25, v28, 0
	v_mad_u64_u32 v[28:29], s[0:1], v25, v3, 0
	v_add_co_u32_e32 v3, vcc, v30, v28
	v_addc_co_u32_e32 v3, vcc, v31, v29, vcc
	v_addc_co_u32_e32 v27, vcc, 0, v27, vcc
	v_add_co_u32_e32 v3, vcc, v3, v26
	v_addc_co_u32_e32 v28, vcc, 0, v27, vcc
	v_mul_lo_u32 v29, s55, v3
	v_mul_lo_u32 v30, s54, v28
	v_mad_u64_u32 v[26:27], s[0:1], s54, v3, 0
	v_add3_u32 v27, v27, v30, v29
	v_sub_u32_e32 v29, v25, v27
	v_mov_b32_e32 v30, s55
	v_sub_co_u32_e32 v26, vcc, v24, v26
	v_subb_co_u32_e64 v29, s[0:1], v29, v30, vcc
	v_subrev_co_u32_e64 v30, s[0:1], s54, v26
	v_subbrev_co_u32_e64 v29, s[0:1], 0, v29, s[0:1]
	v_cmp_le_u32_e64 s[0:1], s55, v29
	v_cndmask_b32_e64 v31, 0, -1, s[0:1]
	v_cmp_le_u32_e64 s[0:1], s54, v30
	v_cndmask_b32_e64 v30, 0, -1, s[0:1]
	v_cmp_eq_u32_e64 s[0:1], s55, v29
	v_cndmask_b32_e64 v29, v31, v30, s[0:1]
	v_add_co_u32_e64 v30, s[0:1], 2, v3
	v_addc_co_u32_e64 v31, s[0:1], 0, v28, s[0:1]
	v_add_co_u32_e64 v34, s[0:1], 1, v3
	v_addc_co_u32_e64 v35, s[0:1], 0, v28, s[0:1]
	v_subb_co_u32_e32 v27, vcc, v25, v27, vcc
	v_cmp_ne_u32_e64 s[0:1], 0, v29
	v_cmp_le_u32_e32 vcc, s55, v27
	v_cndmask_b32_e64 v29, v35, v31, s[0:1]
	v_cndmask_b32_e64 v31, 0, -1, vcc
	v_cmp_le_u32_e32 vcc, s54, v26
	v_cndmask_b32_e64 v26, 0, -1, vcc
	v_cmp_eq_u32_e32 vcc, s55, v27
	v_cndmask_b32_e32 v26, v31, v26, vcc
	v_cmp_ne_u32_e32 vcc, 0, v26
	v_cndmask_b32_e64 v26, v34, v30, s[0:1]
	v_cndmask_b32_e32 v27, v28, v29, vcc
	v_cndmask_b32_e32 v26, v3, v26, vcc
.LBB76_54:                              ;   in Loop: Header=BB76_52 Depth=2
	s_andn2_saveexec_b64 s[0:1], s[56:57]
	s_cbranch_execz .LBB76_56
; %bb.55:                               ;   in Loop: Header=BB76_52 Depth=2
	v_cvt_f32_u32_e32 v3, s54
	s_sub_i32 s56, 0, s54
	v_rcp_iflag_f32_e32 v3, v3
	v_mul_f32_e32 v3, 0x4f7ffffe, v3
	v_cvt_u32_f32_e32 v3, v3
	v_mul_lo_u32 v26, s56, v3
	v_mul_hi_u32 v26, v3, v26
	v_add_u32_e32 v3, v3, v26
	v_mul_hi_u32 v3, v24, v3
	v_mul_lo_u32 v26, v3, s54
	v_sub_u32_e32 v26, v24, v26
	v_add_u32_e32 v27, 1, v3
	v_subrev_u32_e32 v28, s54, v26
	v_cmp_le_u32_e32 vcc, s54, v26
	v_cndmask_b32_e32 v26, v26, v28, vcc
	v_cndmask_b32_e32 v3, v3, v27, vcc
	v_add_u32_e32 v27, 1, v3
	v_cmp_le_u32_e32 vcc, s54, v26
	v_cndmask_b32_e32 v26, v3, v27, vcc
	v_mov_b32_e32 v27, v2
.LBB76_56:                              ;   in Loop: Header=BB76_52 Depth=2
	s_or_b64 exec, exec, s[0:1]
	v_mad_u64_u32 v[28:29], s[0:1], v26, s54, 0
	s_load_dwordx2 s[0:1], s[52:53], 0xc8
	v_mul_lo_u32 v3, v27, s54
	v_mul_lo_u32 v30, v26, s55
	v_add3_u32 v3, v29, v30, v3
	v_sub_co_u32_e32 v24, vcc, v24, v28
	s_add_i32 s58, s58, -1
	v_subb_co_u32_e32 v3, vcc, v25, v3, vcc
	s_add_u32 s52, s52, -8
	s_waitcnt lgkmcnt(0)
	v_mul_lo_u32 v3, s0, v3
	v_mul_lo_u32 v25, s1, v24
	v_mad_u64_u32 v[18:19], s[0:1], s0, v24, v[18:19]
	s_addc_u32 s53, s53, -1
	s_cmp_gt_u32 s58, 2
	v_add3_u32 v19, v25, v19, v3
	s_cbranch_scc0 .LBB76_63
; %bb.57:                               ;   in Loop: Header=BB76_52 Depth=2
	v_pk_mov_b32 v[24:25], v[26:27], v[26:27] op_sel:[0,1]
	s_branch .LBB76_52
.LBB76_58:                              ;   in Loop: Header=BB76_59 Depth=2
	s_or_b64 exec, exec, s[4:5]
	v_mad_u64_u32 v[24:25], s[4:5], v22, s54, 0
	s_load_dwordx2 s[4:5], s[52:53], 0xc8
	v_mul_lo_u32 v3, v23, s54
	v_mul_lo_u32 v26, v22, s55
	v_add3_u32 v3, v25, v26, v3
	v_sub_co_u32_e32 v18, vcc, v18, v24
	s_add_i32 s58, s58, -1
	v_subb_co_u32_e32 v3, vcc, v19, v3, vcc
	s_add_u32 s52, s52, -8
	s_waitcnt lgkmcnt(0)
	v_mul_lo_u32 v3, s4, v3
	v_mul_lo_u32 v19, s5, v18
	v_mad_u64_u32 v[20:21], s[4:5], s4, v18, v[20:21]
	s_addc_u32 s53, s53, -1
	s_cmp_gt_u32 s58, 2
	v_add3_u32 v21, v19, v21, v3
	v_pk_mov_b32 v[18:19], v[22:23], v[22:23] op_sel:[0,1]
	s_cbranch_scc0 .LBB76_49
.LBB76_59:                              ;   Parent Loop BB76_3 Depth=1
                                        ; =>  This Inner Loop Header: Depth=2
	s_load_dwordx2 s[54:55], s[52:53], 0x0
                                        ; implicit-def: $vgpr22_vgpr23
	s_waitcnt lgkmcnt(0)
	v_or_b32_e32 v3, s55, v19
	v_cmp_ne_u64_e32 vcc, 0, v[2:3]
	s_and_saveexec_b64 s[4:5], vcc
	s_xor_b64 s[56:57], exec, s[4:5]
	s_cbranch_execz .LBB76_61
; %bb.60:                               ;   in Loop: Header=BB76_59 Depth=2
	v_cvt_f32_u32_e32 v3, s54
	v_cvt_f32_u32_e32 v22, s55
	s_sub_u32 s4, 0, s54
	s_subb_u32 s5, 0, s55
	v_mac_f32_e32 v3, 0x4f800000, v22
	v_rcp_f32_e32 v3, v3
	v_mul_f32_e32 v3, 0x5f7ffffc, v3
	v_mul_f32_e32 v22, 0x2f800000, v3
	v_trunc_f32_e32 v22, v22
	v_mac_f32_e32 v3, 0xcf800000, v22
	v_cvt_u32_f32_e32 v22, v22
	v_cvt_u32_f32_e32 v3, v3
	v_mul_lo_u32 v23, s4, v22
	v_mul_hi_u32 v25, s4, v3
	v_mul_lo_u32 v24, s5, v3
	v_add_u32_e32 v23, v25, v23
	v_mul_lo_u32 v26, s4, v3
	v_add_u32_e32 v23, v23, v24
	v_mul_hi_u32 v25, v3, v26
	v_mul_lo_u32 v27, v3, v23
	v_mul_hi_u32 v24, v3, v23
	v_add_co_u32_e32 v25, vcc, v25, v27
	v_addc_co_u32_e32 v24, vcc, 0, v24, vcc
	v_mul_hi_u32 v28, v22, v26
	v_mul_lo_u32 v26, v22, v26
	v_add_co_u32_e32 v25, vcc, v25, v26
	v_mul_hi_u32 v27, v22, v23
	v_addc_co_u32_e32 v24, vcc, v24, v28, vcc
	v_addc_co_u32_e32 v25, vcc, 0, v27, vcc
	v_mul_lo_u32 v23, v22, v23
	v_add_co_u32_e32 v23, vcc, v24, v23
	v_addc_co_u32_e32 v24, vcc, 0, v25, vcc
	v_add_co_u32_e32 v3, vcc, v3, v23
	v_addc_co_u32_e32 v22, vcc, v22, v24, vcc
	v_mul_lo_u32 v23, s4, v22
	v_mul_hi_u32 v24, s4, v3
	v_add_u32_e32 v23, v24, v23
	v_mul_lo_u32 v24, s5, v3
	v_add_u32_e32 v23, v23, v24
	v_mul_lo_u32 v25, s4, v3
	v_mul_hi_u32 v26, v22, v25
	v_mul_lo_u32 v27, v22, v25
	v_mul_lo_u32 v29, v3, v23
	v_mul_hi_u32 v25, v3, v25
	v_mul_hi_u32 v28, v3, v23
	v_add_co_u32_e32 v25, vcc, v25, v29
	v_addc_co_u32_e32 v28, vcc, 0, v28, vcc
	v_add_co_u32_e32 v25, vcc, v25, v27
	v_mul_hi_u32 v24, v22, v23
	v_addc_co_u32_e32 v25, vcc, v28, v26, vcc
	v_addc_co_u32_e32 v24, vcc, 0, v24, vcc
	v_mul_lo_u32 v23, v22, v23
	v_add_co_u32_e32 v23, vcc, v25, v23
	v_addc_co_u32_e32 v24, vcc, 0, v24, vcc
	v_add_co_u32_e32 v3, vcc, v3, v23
	v_addc_co_u32_e32 v24, vcc, v22, v24, vcc
	v_mad_u64_u32 v[22:23], s[4:5], v18, v24, 0
	v_mul_hi_u32 v25, v18, v3
	v_add_co_u32_e32 v26, vcc, v25, v22
	v_addc_co_u32_e32 v27, vcc, 0, v23, vcc
	v_mad_u64_u32 v[22:23], s[4:5], v19, v24, 0
	v_mad_u64_u32 v[24:25], s[4:5], v19, v3, 0
	v_add_co_u32_e32 v3, vcc, v26, v24
	v_addc_co_u32_e32 v3, vcc, v27, v25, vcc
	v_addc_co_u32_e32 v23, vcc, 0, v23, vcc
	v_add_co_u32_e32 v3, vcc, v3, v22
	v_addc_co_u32_e32 v24, vcc, 0, v23, vcc
	v_mul_lo_u32 v25, s55, v3
	v_mul_lo_u32 v26, s54, v24
	v_mad_u64_u32 v[22:23], s[4:5], s54, v3, 0
	v_add3_u32 v23, v23, v26, v25
	v_sub_u32_e32 v25, v19, v23
	v_mov_b32_e32 v26, s55
	v_sub_co_u32_e32 v22, vcc, v18, v22
	v_subb_co_u32_e64 v25, s[4:5], v25, v26, vcc
	v_subrev_co_u32_e64 v26, s[4:5], s54, v22
	v_subbrev_co_u32_e64 v25, s[4:5], 0, v25, s[4:5]
	v_cmp_le_u32_e64 s[4:5], s55, v25
	v_cndmask_b32_e64 v27, 0, -1, s[4:5]
	v_cmp_le_u32_e64 s[4:5], s54, v26
	v_cndmask_b32_e64 v26, 0, -1, s[4:5]
	v_cmp_eq_u32_e64 s[4:5], s55, v25
	v_cndmask_b32_e64 v25, v27, v26, s[4:5]
	v_add_co_u32_e64 v26, s[4:5], 2, v3
	v_addc_co_u32_e64 v27, s[4:5], 0, v24, s[4:5]
	v_add_co_u32_e64 v28, s[4:5], 1, v3
	v_addc_co_u32_e64 v29, s[4:5], 0, v24, s[4:5]
	v_subb_co_u32_e32 v23, vcc, v19, v23, vcc
	v_cmp_ne_u32_e64 s[4:5], 0, v25
	v_cmp_le_u32_e32 vcc, s55, v23
	v_cndmask_b32_e64 v25, v29, v27, s[4:5]
	v_cndmask_b32_e64 v27, 0, -1, vcc
	v_cmp_le_u32_e32 vcc, s54, v22
	v_cndmask_b32_e64 v22, 0, -1, vcc
	v_cmp_eq_u32_e32 vcc, s55, v23
	v_cndmask_b32_e32 v22, v27, v22, vcc
	v_cmp_ne_u32_e32 vcc, 0, v22
	v_cndmask_b32_e64 v22, v28, v26, s[4:5]
	v_cndmask_b32_e32 v23, v24, v25, vcc
	v_cndmask_b32_e32 v22, v3, v22, vcc
.LBB76_61:                              ;   in Loop: Header=BB76_59 Depth=2
	s_andn2_saveexec_b64 s[4:5], s[56:57]
	s_cbranch_execz .LBB76_58
; %bb.62:                               ;   in Loop: Header=BB76_59 Depth=2
	v_cvt_f32_u32_e32 v3, s54
	s_sub_i32 s56, 0, s54
	v_rcp_iflag_f32_e32 v3, v3
	v_mul_f32_e32 v3, 0x4f7ffffe, v3
	v_cvt_u32_f32_e32 v3, v3
	v_mul_lo_u32 v22, s56, v3
	v_mul_hi_u32 v22, v3, v22
	v_add_u32_e32 v3, v3, v22
	v_mul_hi_u32 v3, v18, v3
	v_mul_lo_u32 v22, v3, s54
	v_sub_u32_e32 v22, v18, v22
	v_add_u32_e32 v23, 1, v3
	v_subrev_u32_e32 v24, s54, v22
	v_cmp_le_u32_e32 vcc, s54, v22
	v_cndmask_b32_e32 v22, v22, v24, vcc
	v_cndmask_b32_e32 v3, v3, v23, vcc
	v_add_u32_e32 v23, 1, v3
	v_cmp_le_u32_e32 vcc, s54, v22
	v_cndmask_b32_e32 v22, v3, v23, vcc
	v_mov_b32_e32 v23, v2
	s_branch .LBB76_58
.LBB76_63:                              ;   in Loop: Header=BB76_3 Depth=1
	v_mad_u64_u32 v[18:19], s[0:1], s18, v26, v[18:19]
	v_mul_lo_u32 v3, s18, v27
	v_mul_lo_u32 v24, s19, v26
	v_add3_u32 v19, v24, v19, v3
.LBB76_64:                              ;   in Loop: Header=BB76_3 Depth=1
	s_or_b64 exec, exec, s[6:7]
	v_pk_mov_b32 v[24:25], 0, 0
	s_and_saveexec_b64 s[6:7], s[4:5]
	s_cbranch_execz .LBB76_67
; %bb.65:                               ;   in Loop: Header=BB76_3 Depth=1
	s_and_b64 vcc, exec, s[2:3]
	v_pk_mov_b32 v[24:25], 0, 0
	s_mov_b64 s[2:3], s[34:35]
	s_mov_b32 s54, s65
	s_cbranch_vccz .LBB76_97
.LBB76_66:                              ;   in Loop: Header=BB76_3 Depth=1
	v_mad_u64_u32 v[24:25], s[0:1], s20, v22, v[24:25]
	v_mul_lo_u32 v3, s20, v23
	v_mul_lo_u32 v22, s21, v22
	v_add3_u32 v25, v22, v25, v3
.LBB76_67:                              ;   in Loop: Header=BB76_3 Depth=1
	s_or_b64 exec, exec, s[6:7]
	v_lshlrev_b64 v[12:13], 2, v[12:13]
	v_mov_b32_e32 v3, s17
	v_add_co_u32_e32 v12, vcc, s16, v12
	v_addc_co_u32_e32 v13, vcc, v3, v13, vcc
	v_lshlrev_b64 v[16:17], 2, v[16:17]
	v_add_co_u32_e32 v16, vcc, s16, v16
	v_addc_co_u32_e32 v17, vcc, v3, v17, vcc
	v_lshlrev_b64 v[20:21], 2, v[20:21]
	;; [unrolled: 3-line block ×3, first 2 shown]
	v_add_co_u32_e32 v22, vcc, s16, v22
	v_addc_co_u32_e32 v23, vcc, v3, v23, vcc
	global_load_dword v34, v[12:13], off
	global_load_dword v35, v[16:17], off
	;; [unrolled: 1-line block ×4, first 2 shown]
	s_andn2_b64 vcc, exec, s[26:27]
	v_pk_mov_b32 v[12:13], s[12:13], s[12:13] op_sel:[0,1]
	v_pk_mov_b32 v[16:17], s[10:11], s[10:11] op_sel:[0,1]
	s_cbranch_vccnz .LBB76_69
; %bb.68:                               ;   in Loop: Header=BB76_3 Depth=1
	v_pk_mov_b32 v[12:13], s[12:13], s[12:13] op_sel:[0,1]
	flat_load_dwordx2 v[12:13], v[12:13]
	v_pk_mov_b32 v[16:17], s[10:11], s[10:11] op_sel:[0,1]
	flat_load_dwordx2 v[16:17], v[16:17]
	v_mov_b32_e32 v20, s15
	s_waitcnt vmcnt(0) lgkmcnt(0)
	v_add_co_u32_e32 v12, vcc, s14, v12
	v_addc_co_u32_e32 v13, vcc, v13, v20, vcc
.LBB76_69:                              ;   in Loop: Header=BB76_3 Depth=1
	v_alignbit_b32 v28, v13, v12, 2
	v_lshrrev_b32_e32 v29, 2, v13
	v_xor_b32_e32 v20, v6, v16
	v_and_b32_e32 v37, 3, v12
	v_mad_u64_u32 v[12:13], s[0:1], v28, s66, 0
	v_xor_b32_e32 v20, v20, v29
	v_xor_b32_e32 v13, v13, v17
	v_add_u32_e32 v42, 0xbb67ae85, v17
	v_mad_u64_u32 v[20:21], s[0:1], v20, s66, 0
	v_mad_u64_u32 v[22:23], s[0:1], v13, s33, 0
	v_xor_b32_e32 v21, v42, v21
	v_add_u32_e32 v41, 0x9e3779b9, v16
	v_xor_b32_e32 v13, v4, v23
	v_xor_b32_e32 v21, v21, v12
	v_xor_b32_e32 v13, v13, v41
	v_add_u32_e32 v43, 0x3c6ef372, v16
	v_mad_u64_u32 v[24:25], s[0:1], v21, s33, 0
	v_add_u32_e32 v44, 0x76cf5d0a, v17
	v_mad_u64_u32 v[12:13], s[0:1], v13, s66, 0
	v_xor_b32_e32 v21, v43, v25
	v_xor_b32_e32 v21, v21, v22
	v_xor_b32_e32 v13, v44, v13
	v_xor_b32_e32 v13, v13, v20
	v_add_u32_e32 v46, 0x32370b8f, v17
	v_mad_u64_u32 v[20:21], s[0:1], v21, s66, 0
	v_add_u32_e32 v45, 0xdaa66d2b, v16
	v_mad_u64_u32 v[22:23], s[0:1], v13, s33, 0
	v_xor_b32_e32 v21, v46, v21
	;; [unrolled: 8-line block ×5, first 2 shown]
	v_xor_b32_e32 v21, v21, v22
	v_xor_b32_e32 v13, v52, v13
	;; [unrolled: 1-line block ×3, first 2 shown]
	v_add_u32_e32 v54, 0x1fd5c5a3, v17
	v_mad_u64_u32 v[20:21], s[0:1], v21, s66, 0
	v_xor_b32_e32 v21, v54, v21
	v_xor_b32_e32 v12, v21, v12
	v_add_u32_e32 v53, 0x5384540f, v16
	v_mad_u64_u32 v[26:27], s[0:1], v13, s33, 0
	v_add_co_u32_e32 v39, vcc, s67, v16
	v_mad_u64_u32 v[22:23], s[0:1], v12, s33, 0
	v_xor_b32_e32 v13, v53, v27
	v_xor_b32_e32 v12, v39, v23
	;; [unrolled: 1-line block ×4, first 2 shown]
	v_mad_u64_u32 v[24:25], s[0:1], v13, s66, 0
	v_mad_u64_u32 v[12:13], s[0:1], v12, s66, 0
	v_add_u32_e32 v40, 0x96a522ad, v17
	v_xor_b32_e32 v13, v13, v24
	v_xor_b32_e32 v38, v40, v13
	v_add_co_u32_e32 v13, vcc, 1, v28
	v_cndmask_b32_e64 v24, 0, 1, vcc
	v_addc_co_u32_e32 v30, vcc, 0, v29, vcc
	v_cmp_eq_u32_e32 vcc, 0, v30
	v_cndmask_b32_e32 v24, 0, v24, vcc
	v_add_u32_e32 v28, v24, v7
	v_cmp_eq_u32_e32 vcc, 0, v28
	v_mad_u64_u32 v[26:27], s[0:1], v13, s66, 0
	v_mad_u64_u32 v[28:29], s[0:1], v28, s33, 0
	v_add_u32_e32 v23, 0x8ff34781, v16
	v_cndmask_b32_e32 v24, 0, v24, vcc
	v_xor_b32_e32 v13, v29, v16
	v_xor_b32_e32 v16, v27, v17
	;; [unrolled: 1-line block ×4, first 2 shown]
	v_mad_u64_u32 v[30:31], s[0:1], v24, s33, 0
	v_add_u32_e32 v21, 0xdb3d7428, v17
	v_mad_u64_u32 v[16:17], s[0:1], v13, s66, 0
	v_xor_b32_e32 v13, v41, v31
	v_xor_b32_e32 v13, v13, v28
	v_xor_b32_e32 v17, v42, v17
	v_xor_b32_e32 v17, v17, v26
	v_mad_u64_u32 v[26:27], s[0:1], v13, s66, 0
	v_mad_u64_u32 v[28:29], s[0:1], v17, s33, 0
	v_xor_b32_e32 v17, v44, v27
	v_xor_b32_e32 v13, v43, v29
	v_xor_b32_e32 v24, v17, v16
	v_xor_b32_e32 v13, v13, v30
	v_mad_u64_u32 v[30:31], s[0:1], v24, s33, 0
	;; [unrolled: 6-line block ×7, first 2 shown]
	v_xor_b32_e32 v13, v21, v29
	v_xor_b32_e32 v13, v13, v16
	v_mad_u64_u32 v[30:31], s[0:1], v17, s33, 0
	v_mad_u64_u32 v[16:17], s[0:1], v13, s33, 0
	v_xor_b32_e32 v13, v17, v30
	v_xor_b32_e32 v13, v23, v13
	v_cmp_lt_i32_e32 vcc, 1, v37
                                        ; implicit-def: $vgpr27
	s_and_saveexec_b64 s[0:1], vcc
	s_xor_b64 s[0:1], exec, s[0:1]
	s_cbranch_execz .LBB76_75
; %bb.70:                               ;   in Loop: Header=BB76_3 Depth=1
	v_cmp_lt_i32_e32 vcc, 2, v37
                                        ; implicit-def: $vgpr27
	s_and_saveexec_b64 s[2:3], vcc
	s_xor_b64 s[2:3], exec, s[2:3]
; %bb.71:                               ;   in Loop: Header=BB76_3 Depth=1
	v_xor_b32_e32 v17, v39, v31
	v_xor_b32_e32 v17, v17, v26
	v_mul_hi_u32 v17, v17, s66
	v_xor_b32_e32 v17, v17, v28
	v_xor_b32_e32 v27, v40, v17
                                        ; implicit-def: $vgpr38
; %bb.72:                               ;   in Loop: Header=BB76_3 Depth=1
	s_andn2_saveexec_b64 s[2:3], s[2:3]
; %bb.73:                               ;   in Loop: Header=BB76_3 Depth=1
	v_mov_b32_e32 v27, v16
	v_mov_b32_e32 v16, v13
	;; [unrolled: 1-line block ×4, first 2 shown]
; %bb.74:                               ;   in Loop: Header=BB76_3 Depth=1
	s_or_b64 exec, exec, s[2:3]
                                        ; implicit-def: $vgpr20_vgpr21
                                        ; implicit-def: $vgpr22_vgpr23
                                        ; implicit-def: $vgpr37
                                        ; implicit-def: $vgpr38
                                        ; implicit-def: $vgpr24_vgpr25
                                        ; implicit-def: $vgpr21
                                        ; implicit-def: $vgpr23
.LBB76_75:                              ;   in Loop: Header=BB76_3 Depth=1
	s_andn2_saveexec_b64 s[0:1], s[0:1]
	s_cbranch_execz .LBB76_79
; %bb.76:                               ;   in Loop: Header=BB76_3 Depth=1
	v_xor_b32_e32 v16, v21, v25
	v_xor_b32_e32 v16, v16, v20
	v_mad_u64_u32 v[20:21], s[2:3], v16, s33, 0
	v_xor_b32_e32 v16, v21, v22
	v_xor_b32_e32 v17, v23, v16
	v_cmp_eq_u32_e32 vcc, 1, v37
	v_mov_b32_e32 v27, v12
	v_mov_b32_e32 v16, v38
	;; [unrolled: 1-line block ×3, first 2 shown]
	s_and_saveexec_b64 s[2:3], vcc
; %bb.77:                               ;   in Loop: Header=BB76_3 Depth=1
	v_mov_b32_e32 v27, v13
	v_mov_b32_e32 v16, v12
	;; [unrolled: 1-line block ×4, first 2 shown]
; %bb.78:                               ;   in Loop: Header=BB76_3 Depth=1
	s_or_b64 exec, exec, s[2:3]
	v_mov_b32_e32 v12, v17
	v_mov_b32_e32 v13, v21
.LBB76_79:                              ;   in Loop: Header=BB76_3 Depth=1
	s_or_b64 exec, exec, s[0:1]
	v_min_i32_e32 v17, 4, v33
	v_cmp_lt_i32_e32 vcc, 2, v17
	s_mov_b64 s[2:3], 0
	s_mov_b64 s[58:59], 0
	;; [unrolled: 1-line block ×3, first 2 shown]
                                        ; implicit-def: $sgpr6_sgpr7
                                        ; implicit-def: $sgpr52_sgpr53
                                        ; implicit-def: $sgpr54_sgpr55
	s_and_saveexec_b64 s[0:1], vcc
	s_xor_b64 s[56:57], exec, s[0:1]
	s_cbranch_execz .LBB76_91
; %bb.80:                               ;   in Loop: Header=BB76_3 Depth=1
	v_cmp_lt_i32_e32 vcc, 3, v17
	s_mov_b64 s[0:1], -1
	s_mov_b64 s[60:61], 0
                                        ; implicit-def: $sgpr4_sgpr5
                                        ; implicit-def: $sgpr6_sgpr7
	s_and_saveexec_b64 s[52:53], vcc
	s_cbranch_execz .LBB76_86
; %bb.81:                               ;   in Loop: Header=BB76_3 Depth=1
	v_cmp_eq_u32_e32 vcc, 4, v17
	s_mov_b64 s[0:1], 0
	s_mov_b64 s[60:61], -1
                                        ; implicit-def: $sgpr4_sgpr5
                                        ; implicit-def: $sgpr6_sgpr7
	s_and_saveexec_b64 s[54:55], vcc
	s_cbranch_execz .LBB76_85
; %bb.82:                               ;   in Loop: Header=BB76_3 Depth=1
	s_waitcnt vmcnt(0)
	v_cmp_le_f32_e32 vcc, 0, v3
	v_cmp_ge_f32_e64 s[0:1], 1.0, v3
	s_and_b64 s[60:61], vcc, s[0:1]
	s_mov_b64 s[4:5], 0
	s_mov_b64 s[0:1], 0
	s_and_saveexec_b64 s[6:7], s[60:61]
	s_cbranch_execz .LBB76_84
; %bb.83:                               ;   in Loop: Header=BB76_3 Depth=1
	v_cvt_f32_u32_e32 v20, v27
	v_mov_b32_e32 v21, 0x2f800000
	v_lshlrev_b64 v[18:19], 3, v[18:19]
	v_add_co_u32_e32 v18, vcc, s24, v18
	v_fmac_f32_e32 v21, 0x2f800000, v20
	v_mov_b32_e32 v20, s25
	v_addc_co_u32_e32 v19, vcc, v20, v19, vcc
	v_cmp_le_f32_e32 vcc, v21, v3
	s_mov_b64 s[0:1], exec
	v_cndmask_b32_e32 v3, 0, v32, vcc
	global_store_dwordx2 v[18:19], v[2:3], off
.LBB76_84:                              ;   in Loop: Header=BB76_3 Depth=1
	s_or_b64 exec, exec, s[6:7]
	s_mov_b64 s[6:7], -1
	s_xor_b64 s[60:61], exec, -1
	s_and_b64 s[0:1], s[0:1], exec
.LBB76_85:                              ;   in Loop: Header=BB76_3 Depth=1
	s_or_b64 exec, exec, s[54:55]
	s_and_b64 s[60:61], s[60:61], exec
	s_orn2_b64 s[0:1], s[0:1], exec
.LBB76_86:                              ;   in Loop: Header=BB76_3 Depth=1
	s_or_b64 exec, exec, s[52:53]
	s_mov_b64 s[54:55], s[4:5]
	s_and_saveexec_b64 s[52:53], s[0:1]
	s_cbranch_execz .LBB76_90
; %bb.87:                               ;   in Loop: Header=BB76_3 Depth=1
	s_waitcnt vmcnt(1)
	v_cmp_le_f32_e32 vcc, 0, v36
	v_cmp_ge_f32_e64 s[0:1], 1.0, v36
	s_and_b64 s[54:55], vcc, s[0:1]
	s_mov_b64 s[0:1], 0
	s_and_saveexec_b64 s[58:59], s[54:55]
	s_xor_b64 s[54:55], exec, s[58:59]
	s_cbranch_execz .LBB76_89
; %bb.88:                               ;   in Loop: Header=BB76_3 Depth=1
	s_waitcnt vmcnt(0)
	v_cvt_f32_u32_e32 v3, v16
	v_mov_b32_e32 v16, 0x2f800000
	v_lshlrev_b64 v[14:15], 3, v[14:15]
	v_add_co_u32_e32 v14, vcc, s24, v14
	v_fmac_f32_e32 v16, 0x2f800000, v3
	v_mov_b32_e32 v3, s25
	v_addc_co_u32_e32 v15, vcc, v3, v15, vcc
	v_cmp_le_f32_e32 vcc, v16, v36
	v_cndmask_b32_e32 v3, 0, v32, vcc
	s_mov_b64 s[0:1], exec
	global_store_dwordx2 v[14:15], v[2:3], off
.LBB76_89:                              ;   in Loop: Header=BB76_3 Depth=1
	s_or_b64 exec, exec, s[54:55]
	s_andn2_b64 s[54:55], s[4:5], exec
	s_or_b64 s[4:5], s[4:5], exec
	s_andn2_b64 s[6:7], s[6:7], exec
	s_and_b64 s[58:59], s[0:1], exec
.LBB76_90:                              ;   in Loop: Header=BB76_3 Depth=1
	s_or_b64 exec, exec, s[52:53]
	s_and_b64 s[54:55], s[54:55], exec
	s_and_b64 s[52:53], s[4:5], exec
	;; [unrolled: 1-line block ×5, first 2 shown]
.LBB76_91:                              ;   in Loop: Header=BB76_3 Depth=1
	s_andn2_saveexec_b64 s[0:1], s[56:57]
; %bb.92:                               ;   in Loop: Header=BB76_3 Depth=1
	v_cmp_lt_i32_e32 vcc, 1, v17
	s_andn2_b64 s[56:57], s[58:59], exec
	s_and_b64 s[58:59], vcc, exec
	s_mov_b64 s[2:3], exec
	s_andn2_b64 s[54:55], s[54:55], exec
	s_andn2_b64 s[52:53], s[52:53], exec
	;; [unrolled: 1-line block ×3, first 2 shown]
	s_or_b64 s[58:59], s[56:57], s[58:59]
; %bb.93:                               ;   in Loop: Header=BB76_3 Depth=1
	s_or_b64 exec, exec, s[0:1]
	s_mov_b64 s[0:1], 0
	s_mov_b64 s[56:57], s[54:55]
	s_and_saveexec_b64 s[60:61], s[58:59]
	s_cbranch_execnz .LBB76_101
; %bb.94:                               ;   in Loop: Header=BB76_3 Depth=1
	s_or_b64 exec, exec, s[60:61]
	s_and_saveexec_b64 s[58:59], s[2:3]
	s_cbranch_execnz .LBB76_104
.LBB76_95:                              ;   in Loop: Header=BB76_3 Depth=1
	s_or_b64 exec, exec, s[58:59]
	s_and_saveexec_b64 s[2:3], s[0:1]
	s_cbranch_execnz .LBB76_105
	s_branch .LBB76_108
.LBB76_96:                              ;   in Loop: Header=BB76_97 Depth=2
	s_or_b64 exec, exec, s[0:1]
	v_mad_u64_u32 v[28:29], s[0:1], v26, s4, 0
	s_load_dwordx2 s[0:1], s[2:3], 0xc8
	v_mul_lo_u32 v3, v27, s4
	v_mul_lo_u32 v30, v26, s5
	v_add3_u32 v3, v29, v30, v3
	v_sub_co_u32_e32 v22, vcc, v22, v28
	s_add_i32 s54, s54, -1
	v_subb_co_u32_e32 v3, vcc, v23, v3, vcc
	s_add_u32 s2, s2, -8
	s_waitcnt lgkmcnt(0)
	v_mul_lo_u32 v3, s0, v3
	v_mul_lo_u32 v23, s1, v22
	v_mad_u64_u32 v[24:25], s[0:1], s0, v22, v[24:25]
	s_addc_u32 s3, s3, -1
	s_cmp_gt_u32 s54, 2
	v_add3_u32 v25, v23, v25, v3
	v_pk_mov_b32 v[22:23], v[26:27], v[26:27] op_sel:[0,1]
	s_cbranch_scc0 .LBB76_66
.LBB76_97:                              ;   Parent Loop BB76_3 Depth=1
                                        ; =>  This Inner Loop Header: Depth=2
	s_load_dwordx2 s[4:5], s[2:3], 0x0
                                        ; implicit-def: $vgpr26_vgpr27
	s_waitcnt lgkmcnt(0)
	v_or_b32_e32 v3, s5, v23
	v_cmp_ne_u64_e32 vcc, 0, v[2:3]
	s_and_saveexec_b64 s[0:1], vcc
	s_xor_b64 s[52:53], exec, s[0:1]
	s_cbranch_execz .LBB76_99
; %bb.98:                               ;   in Loop: Header=BB76_97 Depth=2
	v_cvt_f32_u32_e32 v3, s4
	v_cvt_f32_u32_e32 v26, s5
	s_sub_u32 s0, 0, s4
	s_subb_u32 s1, 0, s5
	v_mac_f32_e32 v3, 0x4f800000, v26
	v_rcp_f32_e32 v3, v3
	v_mul_f32_e32 v3, 0x5f7ffffc, v3
	v_mul_f32_e32 v26, 0x2f800000, v3
	v_trunc_f32_e32 v26, v26
	v_mac_f32_e32 v3, 0xcf800000, v26
	v_cvt_u32_f32_e32 v26, v26
	v_cvt_u32_f32_e32 v3, v3
	v_mul_lo_u32 v27, s0, v26
	v_mul_hi_u32 v29, s0, v3
	v_mul_lo_u32 v28, s1, v3
	v_add_u32_e32 v27, v29, v27
	v_mul_lo_u32 v30, s0, v3
	v_add_u32_e32 v27, v27, v28
	v_mul_hi_u32 v29, v3, v30
	v_mul_lo_u32 v31, v3, v27
	v_mul_hi_u32 v28, v3, v27
	v_add_co_u32_e32 v29, vcc, v29, v31
	v_addc_co_u32_e32 v28, vcc, 0, v28, vcc
	v_mul_hi_u32 v34, v26, v30
	v_mul_lo_u32 v30, v26, v30
	v_add_co_u32_e32 v29, vcc, v29, v30
	v_mul_hi_u32 v31, v26, v27
	v_addc_co_u32_e32 v28, vcc, v28, v34, vcc
	v_addc_co_u32_e32 v29, vcc, 0, v31, vcc
	v_mul_lo_u32 v27, v26, v27
	v_add_co_u32_e32 v27, vcc, v28, v27
	v_addc_co_u32_e32 v28, vcc, 0, v29, vcc
	v_add_co_u32_e32 v3, vcc, v3, v27
	v_addc_co_u32_e32 v26, vcc, v26, v28, vcc
	v_mul_lo_u32 v27, s0, v26
	v_mul_hi_u32 v28, s0, v3
	v_add_u32_e32 v27, v28, v27
	v_mul_lo_u32 v28, s1, v3
	v_add_u32_e32 v27, v27, v28
	v_mul_lo_u32 v29, s0, v3
	v_mul_hi_u32 v30, v26, v29
	v_mul_lo_u32 v31, v26, v29
	v_mul_lo_u32 v35, v3, v27
	v_mul_hi_u32 v29, v3, v29
	v_mul_hi_u32 v34, v3, v27
	v_add_co_u32_e32 v29, vcc, v29, v35
	v_addc_co_u32_e32 v34, vcc, 0, v34, vcc
	v_add_co_u32_e32 v29, vcc, v29, v31
	v_mul_hi_u32 v28, v26, v27
	v_addc_co_u32_e32 v29, vcc, v34, v30, vcc
	v_addc_co_u32_e32 v28, vcc, 0, v28, vcc
	v_mul_lo_u32 v27, v26, v27
	v_add_co_u32_e32 v27, vcc, v29, v27
	v_addc_co_u32_e32 v28, vcc, 0, v28, vcc
	v_add_co_u32_e32 v3, vcc, v3, v27
	v_addc_co_u32_e32 v28, vcc, v26, v28, vcc
	v_mad_u64_u32 v[26:27], s[0:1], v22, v28, 0
	v_mul_hi_u32 v29, v22, v3
	v_add_co_u32_e32 v30, vcc, v29, v26
	v_addc_co_u32_e32 v31, vcc, 0, v27, vcc
	v_mad_u64_u32 v[26:27], s[0:1], v23, v28, 0
	v_mad_u64_u32 v[28:29], s[0:1], v23, v3, 0
	v_add_co_u32_e32 v3, vcc, v30, v28
	v_addc_co_u32_e32 v3, vcc, v31, v29, vcc
	v_addc_co_u32_e32 v27, vcc, 0, v27, vcc
	v_add_co_u32_e32 v3, vcc, v3, v26
	v_addc_co_u32_e32 v28, vcc, 0, v27, vcc
	v_mul_lo_u32 v29, s5, v3
	v_mul_lo_u32 v30, s4, v28
	v_mad_u64_u32 v[26:27], s[0:1], s4, v3, 0
	v_add3_u32 v27, v27, v30, v29
	v_sub_u32_e32 v29, v23, v27
	v_mov_b32_e32 v30, s5
	v_sub_co_u32_e32 v26, vcc, v22, v26
	v_subb_co_u32_e64 v29, s[0:1], v29, v30, vcc
	v_subrev_co_u32_e64 v30, s[0:1], s4, v26
	v_subbrev_co_u32_e64 v29, s[0:1], 0, v29, s[0:1]
	v_cmp_le_u32_e64 s[0:1], s5, v29
	v_cndmask_b32_e64 v31, 0, -1, s[0:1]
	v_cmp_le_u32_e64 s[0:1], s4, v30
	v_cndmask_b32_e64 v30, 0, -1, s[0:1]
	v_cmp_eq_u32_e64 s[0:1], s5, v29
	v_cndmask_b32_e64 v29, v31, v30, s[0:1]
	v_add_co_u32_e64 v30, s[0:1], 2, v3
	v_addc_co_u32_e64 v31, s[0:1], 0, v28, s[0:1]
	v_add_co_u32_e64 v34, s[0:1], 1, v3
	v_addc_co_u32_e64 v35, s[0:1], 0, v28, s[0:1]
	v_subb_co_u32_e32 v27, vcc, v23, v27, vcc
	v_cmp_ne_u32_e64 s[0:1], 0, v29
	v_cmp_le_u32_e32 vcc, s5, v27
	v_cndmask_b32_e64 v29, v35, v31, s[0:1]
	v_cndmask_b32_e64 v31, 0, -1, vcc
	v_cmp_le_u32_e32 vcc, s4, v26
	v_cndmask_b32_e64 v26, 0, -1, vcc
	v_cmp_eq_u32_e32 vcc, s5, v27
	v_cndmask_b32_e32 v26, v31, v26, vcc
	v_cmp_ne_u32_e32 vcc, 0, v26
	v_cndmask_b32_e64 v26, v34, v30, s[0:1]
	v_cndmask_b32_e32 v27, v28, v29, vcc
	v_cndmask_b32_e32 v26, v3, v26, vcc
.LBB76_99:                              ;   in Loop: Header=BB76_97 Depth=2
	s_andn2_saveexec_b64 s[0:1], s[52:53]
	s_cbranch_execz .LBB76_96
; %bb.100:                              ;   in Loop: Header=BB76_97 Depth=2
	v_cvt_f32_u32_e32 v3, s4
	s_sub_i32 s52, 0, s4
	v_rcp_iflag_f32_e32 v3, v3
	v_mul_f32_e32 v3, 0x4f7ffffe, v3
	v_cvt_u32_f32_e32 v3, v3
	v_mul_lo_u32 v26, s52, v3
	v_mul_hi_u32 v26, v3, v26
	v_add_u32_e32 v3, v3, v26
	v_mul_hi_u32 v3, v22, v3
	v_mul_lo_u32 v26, v3, s4
	v_sub_u32_e32 v26, v22, v26
	v_add_u32_e32 v27, 1, v3
	v_subrev_u32_e32 v28, s4, v26
	v_cmp_le_u32_e32 vcc, s4, v26
	v_cndmask_b32_e32 v26, v26, v28, vcc
	v_cndmask_b32_e32 v3, v3, v27, vcc
	v_add_u32_e32 v27, 1, v3
	v_cmp_le_u32_e32 vcc, s4, v26
	v_cndmask_b32_e32 v26, v3, v27, vcc
	v_mov_b32_e32 v27, v2
	s_branch .LBB76_96
.LBB76_101:                             ;   in Loop: Header=BB76_3 Depth=1
	s_waitcnt vmcnt(2)
	v_cmp_le_f32_e32 vcc, 0, v35
	v_cmp_ge_f32_e64 s[0:1], 1.0, v35
	s_and_b64 s[56:57], vcc, s[0:1]
	s_mov_b64 s[0:1], 0
	s_and_saveexec_b64 s[58:59], s[56:57]
	s_xor_b64 s[56:57], exec, s[58:59]
	s_cbranch_execz .LBB76_103
; %bb.102:                              ;   in Loop: Header=BB76_3 Depth=1
	s_waitcnt vmcnt(0)
	v_cvt_f32_u32_e32 v3, v13
	v_mov_b32_e32 v13, 0x2f800000
	v_lshlrev_b64 v[10:11], 3, v[10:11]
	v_add_co_u32_e32 v10, vcc, s24, v10
	v_fmac_f32_e32 v13, 0x2f800000, v3
	v_mov_b32_e32 v3, s25
	v_addc_co_u32_e32 v11, vcc, v3, v11, vcc
	v_cmp_le_f32_e32 vcc, v13, v35
	v_cndmask_b32_e32 v3, 0, v32, vcc
	s_mov_b64 s[0:1], exec
	global_store_dwordx2 v[10:11], v[2:3], off
.LBB76_103:                             ;   in Loop: Header=BB76_3 Depth=1
	s_or_b64 exec, exec, s[56:57]
	s_andn2_b64 s[56:57], s[54:55], exec
	s_or_b64 s[54:55], s[54:55], exec
	s_andn2_b64 s[52:53], s[52:53], exec
	s_andn2_b64 s[6:7], s[6:7], exec
	s_and_b64 s[0:1], s[0:1], exec
	s_andn2_b64 s[2:3], s[2:3], exec
	s_or_b64 exec, exec, s[60:61]
	s_and_saveexec_b64 s[58:59], s[2:3]
	s_cbranch_execz .LBB76_95
.LBB76_104:                             ;   in Loop: Header=BB76_3 Depth=1
	v_cmp_eq_u32_e32 vcc, 1, v17
	s_andn2_b64 s[0:1], s[0:1], exec
	s_and_b64 s[2:3], vcc, exec
	s_andn2_b64 s[56:57], s[56:57], exec
	s_andn2_b64 s[54:55], s[54:55], exec
	;; [unrolled: 1-line block ×4, first 2 shown]
	s_or_b64 s[4:5], s[4:5], exec
	s_or_b64 s[0:1], s[0:1], s[2:3]
	s_or_b64 exec, exec, s[58:59]
	s_and_saveexec_b64 s[2:3], s[0:1]
	s_cbranch_execz .LBB76_108
.LBB76_105:                             ;   in Loop: Header=BB76_3 Depth=1
	s_waitcnt vmcnt(3)
	v_cmp_le_f32_e32 vcc, 0, v34
	v_cmp_ge_f32_e64 s[0:1], 1.0, v34
	s_and_b64 s[60:61], vcc, s[0:1]
	s_mov_b64 s[0:1], 0
	s_and_saveexec_b64 s[58:59], s[60:61]
	s_cbranch_execz .LBB76_107
; %bb.106:                              ;   in Loop: Header=BB76_3 Depth=1
	s_waitcnt vmcnt(0)
	v_cvt_f32_u32_e32 v3, v12
	v_mov_b32_e32 v10, 0x2f800000
	v_lshlrev_b64 v[8:9], 3, v[8:9]
	v_add_co_u32_e32 v8, vcc, s24, v8
	v_fmac_f32_e32 v10, 0x2f800000, v3
	v_mov_b32_e32 v3, s25
	v_addc_co_u32_e32 v9, vcc, v3, v9, vcc
	v_cmp_le_f32_e32 vcc, v10, v34
	s_mov_b64 s[0:1], exec
	v_cndmask_b32_e32 v3, 0, v32, vcc
	global_store_dwordx2 v[8:9], v[2:3], off
.LBB76_107:                             ;   in Loop: Header=BB76_3 Depth=1
	s_or_b64 exec, exec, s[58:59]
	s_andn2_b64 s[4:5], s[4:5], exec
	s_and_b64 s[0:1], s[0:1], exec
	s_or_b64 s[56:57], s[56:57], exec
	s_andn2_b64 s[54:55], s[54:55], exec
	s_andn2_b64 s[52:53], s[52:53], exec
	;; [unrolled: 1-line block ×3, first 2 shown]
	s_or_b64 s[4:5], s[4:5], s[0:1]
.LBB76_108:                             ;   in Loop: Header=BB76_3 Depth=1
	s_or_b64 exec, exec, s[2:3]
	s_andn2_b64 s[2:3], s[50:51], exec
	s_and_b64 s[50:51], s[56:57], exec
	s_or_b64 s[50:51], s[2:3], s[50:51]
	s_andn2_b64 s[2:3], s[48:49], exec
	s_and_b64 s[48:49], s[54:55], exec
	s_or_b64 s[48:49], s[2:3], s[48:49]
	;; [unrolled: 3-line block ×3, first 2 shown]
	s_andn2_b64 s[2:3], s[44:45], exec
	s_and_b64 s[6:7], s[6:7], exec
	s_mov_b64 s[0:1], -1
	s_or_b64 s[44:45], s[2:3], s[6:7]
	s_and_saveexec_b64 s[2:3], s[4:5]
	s_cbranch_execz .LBB76_2
; %bb.109:                              ;   in Loop: Header=BB76_3 Depth=1
	s_waitcnt vmcnt(0)
	v_mov_b32_e32 v3, s63
	v_add_co_u32_e32 v0, vcc, s62, v0
	v_addc_co_u32_e32 v1, vcc, v1, v3, vcc
	v_cmp_le_u64_e32 vcc, s[8:9], v[0:1]
	s_andn2_b64 s[50:51], s[50:51], exec
	s_andn2_b64 s[48:49], s[48:49], exec
	;; [unrolled: 1-line block ×4, first 2 shown]
	s_orn2_b64 s[0:1], vcc, exec
	s_branch .LBB76_2
.LBB76_110:
	s_or_b64 exec, exec, s[36:37]
	s_xor_b64 s[6:7], s[42:43], -1
	s_xor_b64 s[8:9], s[40:41], -1
	;; [unrolled: 1-line block ×3, first 2 shown]
	s_mov_b64 s[2:3], 0
	s_and_saveexec_b64 s[4:5], s[0:1]
	s_xor_b64 s[0:1], exec, s[4:5]
	s_cbranch_execnz .LBB76_115
; %bb.111:
	s_andn2_saveexec_b64 s[0:1], s[0:1]
	s_cbranch_execnz .LBB76_123
.LBB76_112:
	s_or_b64 exec, exec, s[0:1]
	s_and_b64 exec, exec, s[2:3]
.LBB76_113:
	; divergent unreachable
.LBB76_114:
	s_endpgm
.LBB76_115:
	s_mov_b64 s[4:5], 0
	s_and_saveexec_b64 s[2:3], s[8:9]
	s_xor_b64 s[2:3], exec, s[2:3]
	s_cbranch_execz .LBB76_121
; %bb.116:
	s_and_saveexec_b64 s[8:9], s[6:7]
	s_xor_b64 s[6:7], exec, s[8:9]
	s_cbranch_execz .LBB76_119
; %bb.117:
	s_and_saveexec_b64 s[8:9], s[28:29]
	s_xor_b64 s[8:9], exec, s[8:9]
	s_cbranch_execnz .LBB76_126
.LBB76_118:
	s_or_b64 exec, exec, s[8:9]
	s_and_b64 s[4:5], s[4:5], exec
.LBB76_119:
	s_andn2_saveexec_b64 s[6:7], s[6:7]
	s_cbranch_execnz .LBB76_125
.LBB76_120:
	s_or_b64 exec, exec, s[6:7]
	s_and_b64 s[4:5], s[4:5], exec
.LBB76_121:
	s_andn2_saveexec_b64 s[2:3], s[2:3]
	s_cbranch_execnz .LBB76_124
.LBB76_122:
	s_or_b64 exec, exec, s[2:3]
	s_and_b64 s[2:3], s[4:5], exec
	s_andn2_saveexec_b64 s[0:1], s[0:1]
	s_cbranch_execz .LBB76_112
.LBB76_123:
	s_or_b64 s[2:3], s[2:3], exec
	s_trap 2
	s_or_b64 exec, exec, s[0:1]
	s_and_b64 exec, exec, s[2:3]
	s_cbranch_execnz .LBB76_113
	s_branch .LBB76_114
.LBB76_124:
	s_or_b64 s[4:5], s[4:5], exec
	s_trap 2
	s_branch .LBB76_122
.LBB76_125:
	s_trap 2
	s_or_b64 s[4:5], s[4:5], exec
	s_branch .LBB76_120
.LBB76_126:
	s_mov_b64 s[4:5], exec
	s_trap 2
	s_branch .LBB76_118
	.section	.rodata,"a",@progbits
	.p2align	6, 0x0
	.amdhsa_kernel _ZN2at4cuda12_GLOBAL__N_121kernelPointwiseApply2IZNS_6native9templates4cuda28bernoulli_tensor_cuda_kernelIdfEEvRKNS_10TensorBaseES9_NS_15PhiloxCudaStateEEUliRdSB_SB_SB_RKfSD_SD_SD_E_dSC_mLin1ELin1ELi4ELi512ELi2EEEvNS0_6detail10TensorInfoIT0_T2_EENSG_IT1_SI_EESI_T_
		.amdhsa_group_segment_fixed_size 0
		.amdhsa_private_segment_fixed_size 0
		.amdhsa_kernarg_size 1128
		.amdhsa_user_sgpr_count 6
		.amdhsa_user_sgpr_private_segment_buffer 1
		.amdhsa_user_sgpr_dispatch_ptr 0
		.amdhsa_user_sgpr_queue_ptr 0
		.amdhsa_user_sgpr_kernarg_segment_ptr 1
		.amdhsa_user_sgpr_dispatch_id 0
		.amdhsa_user_sgpr_flat_scratch_init 0
		.amdhsa_user_sgpr_kernarg_preload_length 0
		.amdhsa_user_sgpr_kernarg_preload_offset 0
		.amdhsa_user_sgpr_private_segment_size 0
		.amdhsa_uses_dynamic_stack 0
		.amdhsa_system_sgpr_private_segment_wavefront_offset 0
		.amdhsa_system_sgpr_workgroup_id_x 1
		.amdhsa_system_sgpr_workgroup_id_y 0
		.amdhsa_system_sgpr_workgroup_id_z 0
		.amdhsa_system_sgpr_workgroup_info 0
		.amdhsa_system_vgpr_workitem_id 0
		.amdhsa_next_free_vgpr 55
		.amdhsa_next_free_sgpr 68
		.amdhsa_accum_offset 56
		.amdhsa_reserve_vcc 1
		.amdhsa_reserve_flat_scratch 0
		.amdhsa_float_round_mode_32 0
		.amdhsa_float_round_mode_16_64 0
		.amdhsa_float_denorm_mode_32 3
		.amdhsa_float_denorm_mode_16_64 3
		.amdhsa_dx10_clamp 1
		.amdhsa_ieee_mode 1
		.amdhsa_fp16_overflow 0
		.amdhsa_tg_split 0
		.amdhsa_exception_fp_ieee_invalid_op 0
		.amdhsa_exception_fp_denorm_src 0
		.amdhsa_exception_fp_ieee_div_zero 0
		.amdhsa_exception_fp_ieee_overflow 0
		.amdhsa_exception_fp_ieee_underflow 0
		.amdhsa_exception_fp_ieee_inexact 0
		.amdhsa_exception_int_div_zero 0
	.end_amdhsa_kernel
	.section	.text._ZN2at4cuda12_GLOBAL__N_121kernelPointwiseApply2IZNS_6native9templates4cuda28bernoulli_tensor_cuda_kernelIdfEEvRKNS_10TensorBaseES9_NS_15PhiloxCudaStateEEUliRdSB_SB_SB_RKfSD_SD_SD_E_dSC_mLin1ELin1ELi4ELi512ELi2EEEvNS0_6detail10TensorInfoIT0_T2_EENSG_IT1_SI_EESI_T_,"axG",@progbits,_ZN2at4cuda12_GLOBAL__N_121kernelPointwiseApply2IZNS_6native9templates4cuda28bernoulli_tensor_cuda_kernelIdfEEvRKNS_10TensorBaseES9_NS_15PhiloxCudaStateEEUliRdSB_SB_SB_RKfSD_SD_SD_E_dSC_mLin1ELin1ELi4ELi512ELi2EEEvNS0_6detail10TensorInfoIT0_T2_EENSG_IT1_SI_EESI_T_,comdat
.Lfunc_end76:
	.size	_ZN2at4cuda12_GLOBAL__N_121kernelPointwiseApply2IZNS_6native9templates4cuda28bernoulli_tensor_cuda_kernelIdfEEvRKNS_10TensorBaseES9_NS_15PhiloxCudaStateEEUliRdSB_SB_SB_RKfSD_SD_SD_E_dSC_mLin1ELin1ELi4ELi512ELi2EEEvNS0_6detail10TensorInfoIT0_T2_EENSG_IT1_SI_EESI_T_, .Lfunc_end76-_ZN2at4cuda12_GLOBAL__N_121kernelPointwiseApply2IZNS_6native9templates4cuda28bernoulli_tensor_cuda_kernelIdfEEvRKNS_10TensorBaseES9_NS_15PhiloxCudaStateEEUliRdSB_SB_SB_RKfSD_SD_SD_E_dSC_mLin1ELin1ELi4ELi512ELi2EEEvNS0_6detail10TensorInfoIT0_T2_EENSG_IT1_SI_EESI_T_
                                        ; -- End function
	.section	.AMDGPU.csdata,"",@progbits
; Kernel info:
; codeLenInByte = 10276
; NumSgprs: 72
; NumVgprs: 55
; NumAgprs: 0
; TotalNumVgprs: 55
; ScratchSize: 0
; MemoryBound: 0
; FloatMode: 240
; IeeeMode: 1
; LDSByteSize: 0 bytes/workgroup (compile time only)
; SGPRBlocks: 8
; VGPRBlocks: 6
; NumSGPRsForWavesPerEU: 72
; NumVGPRsForWavesPerEU: 55
; AccumOffset: 56
; Occupancy: 8
; WaveLimiterHint : 1
; COMPUTE_PGM_RSRC2:SCRATCH_EN: 0
; COMPUTE_PGM_RSRC2:USER_SGPR: 6
; COMPUTE_PGM_RSRC2:TRAP_HANDLER: 0
; COMPUTE_PGM_RSRC2:TGID_X_EN: 1
; COMPUTE_PGM_RSRC2:TGID_Y_EN: 0
; COMPUTE_PGM_RSRC2:TGID_Z_EN: 0
; COMPUTE_PGM_RSRC2:TIDIG_COMP_CNT: 0
; COMPUTE_PGM_RSRC3_GFX90A:ACCUM_OFFSET: 13
; COMPUTE_PGM_RSRC3_GFX90A:TG_SPLIT: 0
	.section	.text._ZN2at4cuda12_GLOBAL__N_121kernelPointwiseApply2IZNS_6native9templates4cuda28bernoulli_tensor_cuda_kernelIffEEvRKNS_10TensorBaseES9_NS_15PhiloxCudaStateEEUliRfSB_SB_SB_RKfSD_SD_SD_E_fSC_jLi1ELi1ELi4ELi512ELi2EEEvNS0_6detail10TensorInfoIT0_T2_EENSG_IT1_SI_EESI_T_,"axG",@progbits,_ZN2at4cuda12_GLOBAL__N_121kernelPointwiseApply2IZNS_6native9templates4cuda28bernoulli_tensor_cuda_kernelIffEEvRKNS_10TensorBaseES9_NS_15PhiloxCudaStateEEUliRfSB_SB_SB_RKfSD_SD_SD_E_fSC_jLi1ELi1ELi4ELi512ELi2EEEvNS0_6detail10TensorInfoIT0_T2_EENSG_IT1_SI_EESI_T_,comdat
	.globl	_ZN2at4cuda12_GLOBAL__N_121kernelPointwiseApply2IZNS_6native9templates4cuda28bernoulli_tensor_cuda_kernelIffEEvRKNS_10TensorBaseES9_NS_15PhiloxCudaStateEEUliRfSB_SB_SB_RKfSD_SD_SD_E_fSC_jLi1ELi1ELi4ELi512ELi2EEEvNS0_6detail10TensorInfoIT0_T2_EENSG_IT1_SI_EESI_T_ ; -- Begin function _ZN2at4cuda12_GLOBAL__N_121kernelPointwiseApply2IZNS_6native9templates4cuda28bernoulli_tensor_cuda_kernelIffEEvRKNS_10TensorBaseES9_NS_15PhiloxCudaStateEEUliRfSB_SB_SB_RKfSD_SD_SD_E_fSC_jLi1ELi1ELi4ELi512ELi2EEEvNS0_6detail10TensorInfoIT0_T2_EENSG_IT1_SI_EESI_T_
	.p2align	8
	.type	_ZN2at4cuda12_GLOBAL__N_121kernelPointwiseApply2IZNS_6native9templates4cuda28bernoulli_tensor_cuda_kernelIffEEvRKNS_10TensorBaseES9_NS_15PhiloxCudaStateEEUliRfSB_SB_SB_RKfSD_SD_SD_E_fSC_jLi1ELi1ELi4ELi512ELi2EEEvNS0_6detail10TensorInfoIT0_T2_EENSG_IT1_SI_EESI_T_,@function
_ZN2at4cuda12_GLOBAL__N_121kernelPointwiseApply2IZNS_6native9templates4cuda28bernoulli_tensor_cuda_kernelIffEEvRKNS_10TensorBaseES9_NS_15PhiloxCudaStateEEUliRfSB_SB_SB_RKfSD_SD_SD_E_fSC_jLi1ELi1ELi4ELi512ELi2EEEvNS0_6detail10TensorInfoIT0_T2_EENSG_IT1_SI_EESI_T_: ; @_ZN2at4cuda12_GLOBAL__N_121kernelPointwiseApply2IZNS_6native9templates4cuda28bernoulli_tensor_cuda_kernelIffEEvRKNS_10TensorBaseES9_NS_15PhiloxCudaStateEEUliRfSB_SB_SB_RKfSD_SD_SD_E_fSC_jLi1ELi1ELi4ELi512ELi2EEEvNS0_6detail10TensorInfoIT0_T2_EENSG_IT1_SI_EESI_T_
; %bb.0:
	s_load_dword s2, s[4:5], 0x1e4
	s_load_dword s33, s[4:5], 0x1b0
	s_add_u32 s0, s4, 0x1d8
	s_addc_u32 s1, s5, 0
	s_waitcnt lgkmcnt(0)
	s_and_b32 s2, s2, 0xffff
	s_mul_i32 s6, s6, s2
	v_add_u32_e32 v5, s6, v0
	v_lshlrev_b32_e32 v22, 2, v5
	v_cmp_gt_u32_e32 vcc, s33, v22
	s_and_saveexec_b64 s[6:7], vcc
	s_cbranch_execz .LBB77_43
; %bb.1:
	s_load_dword s3, s[0:1], 0x0
	s_load_dword s16, s[4:5], 0x1d0
	s_load_dwordx2 s[6:7], s[4:5], 0x0
	s_load_dword s17, s[4:5], 0x6c
	s_load_dwordx2 s[12:13], s[4:5], 0xd8
	;; [unrolled: 2-line block ×3, first 2 shown]
	s_load_dwordx4 s[8:11], s[4:5], 0x1b8
	s_mov_b32 s50, 0xcd9e8d57
	s_waitcnt lgkmcnt(0)
	v_mul_lo_u32 v2, s17, v22
	s_bitcmp1_b32 s16, 0
	v_mad_u64_u32 v[0:1], s[0:1], v5, s50, 0
	v_add_u32_e32 v23, s17, v2
	v_add_u32_e32 v2, 2, v22
	s_mul_i32 s2, s3, s2
	s_cselect_b64 s[0:1], -1, 0
	v_mul_lo_u32 v24, s17, v2
	v_mul_lo_u32 v7, s17, v5
	;; [unrolled: 1-line block ×4, first 2 shown]
	s_lshl_b32 s52, s2, 2
	s_mul_i32 s3, s2, s17
	v_add_u32_e32 v6, 3, v22
	v_lshlrev_b32_e32 v26, 2, v7
	v_mul_lo_u32 v7, s18, v22
	s_mul_i32 s2, s2, s18
	v_lshlrev_b32_e32 v30, 2, v2
	v_cndmask_b32_e64 v2, 0, 1, s[0:1]
	s_mov_b32 s51, 0
	v_mov_b32_e32 v3, 0
	v_mov_b32_e32 v4, v1
	v_sub_u32_e32 v1, s33, v22
	s_lshl_b32 s53, s3, 2
	v_mul_lo_u32 v25, s17, v6
	v_add_u32_e32 v27, s18, v7
	s_lshl_b32 s54, s2, 2
	v_mul_lo_u32 v29, s18, v6
	s_mov_b64 s[18:19], 0
	v_mov_b32_e32 v31, s13
	v_cmp_ne_u32_e64 s[0:1], 1, v2
	s_mov_b32 s55, 0xd2511f53
	s_mov_b32 s56, 0xf1bbcdc8
	;; [unrolled: 1-line block ×3, first 2 shown]
                                        ; implicit-def: $sgpr20_sgpr21
                                        ; implicit-def: $sgpr22_sgpr23
                                        ; implicit-def: $sgpr24_sgpr25
                                        ; implicit-def: $sgpr16_sgpr17
                                        ; implicit-def: $sgpr26_sgpr27
                                        ; implicit-def: $sgpr28_sgpr29
                                        ; implicit-def: $sgpr30_sgpr31
                                        ; implicit-def: $sgpr34_sgpr35
	s_branch .LBB77_3
.LBB77_2:                               ;   in Loop: Header=BB77_3 Depth=1
	s_or_b64 exec, exec, s[4:5]
	s_and_b64 s[2:3], exec, s[2:3]
	s_or_b64 s[18:19], s[2:3], s[18:19]
	s_andn2_b64 s[2:3], s[16:17], exec
	s_and_b64 s[4:5], s[34:35], exec
	s_or_b64 s[16:17], s[2:3], s[4:5]
	s_andn2_b64 s[2:3], s[24:25], exec
	s_and_b64 s[4:5], s[30:31], exec
	;; [unrolled: 3-line block ×4, first 2 shown]
	s_or_b64 s[20:21], s[2:3], s[4:5]
	s_andn2_b64 exec, exec, s[18:19]
	s_cbranch_execz .LBB77_39
.LBB77_3:                               ; =>This Inner Loop Header: Depth=1
	v_add_u32_e32 v2, s51, v29
	v_cmp_lt_i32_e64 s[2:3], 3, v1
	v_cndmask_b32_e64 v2, 0, v2, s[2:3]
	v_lshlrev_b64 v[6:7], 2, v[2:3]
	v_add_co_u32_e32 v6, vcc, s12, v6
	v_addc_co_u32_e32 v7, vcc, v31, v7, vcc
	global_load_dword v32, v[6:7], off
	s_and_b64 vcc, exec, s[0:1]
	v_pk_mov_b32 v[6:7], s[10:11], s[10:11] op_sel:[0,1]
	v_pk_mov_b32 v[8:9], s[8:9], s[8:9] op_sel:[0,1]
	s_cbranch_vccnz .LBB77_5
; %bb.4:                                ;   in Loop: Header=BB77_3 Depth=1
	v_pk_mov_b32 v[6:7], s[10:11], s[10:11] op_sel:[0,1]
	flat_load_dwordx2 v[6:7], v[6:7]
	v_pk_mov_b32 v[8:9], s[8:9], s[8:9] op_sel:[0,1]
	flat_load_dwordx2 v[8:9], v[8:9]
	v_mov_b32_e32 v2, s15
	s_waitcnt vmcnt(0) lgkmcnt(0)
	v_add_co_u32_e32 v6, vcc, s14, v6
	v_addc_co_u32_e32 v7, vcc, v7, v2, vcc
.LBB77_5:                               ;   in Loop: Header=BB77_3 Depth=1
	v_alignbit_b32 v18, v7, v6, 2
	v_lshrrev_b32_e32 v19, 2, v7
	v_xor_b32_e32 v10, v4, v8
	v_and_b32_e32 v2, 3, v6
	v_mad_u64_u32 v[6:7], s[4:5], v18, s55, 0
	v_xor_b32_e32 v10, v10, v19
	v_xor_b32_e32 v7, v7, v9
	v_add_u32_e32 v37, 0xbb67ae85, v9
	v_mad_u64_u32 v[10:11], s[4:5], v10, s55, 0
	v_mad_u64_u32 v[12:13], s[4:5], v7, s50, 0
	v_xor_b32_e32 v11, v37, v11
	v_add_u32_e32 v36, 0x9e3779b9, v8
	v_xor_b32_e32 v7, v0, v13
	v_xor_b32_e32 v11, v11, v6
	v_xor_b32_e32 v7, v7, v36
	v_add_u32_e32 v38, 0x3c6ef372, v8
	v_mad_u64_u32 v[14:15], s[4:5], v11, s50, 0
	v_add_u32_e32 v39, 0x76cf5d0a, v9
	v_mad_u64_u32 v[6:7], s[4:5], v7, s55, 0
	v_xor_b32_e32 v11, v38, v15
	v_xor_b32_e32 v11, v11, v12
	v_xor_b32_e32 v7, v39, v7
	v_xor_b32_e32 v7, v7, v10
	v_add_u32_e32 v41, 0x32370b8f, v9
	v_mad_u64_u32 v[10:11], s[4:5], v11, s55, 0
	v_add_u32_e32 v40, 0xdaa66d2b, v8
	v_mad_u64_u32 v[12:13], s[4:5], v7, s50, 0
	v_xor_b32_e32 v11, v41, v11
	;; [unrolled: 8-line block ×5, first 2 shown]
	v_xor_b32_e32 v11, v11, v12
	v_xor_b32_e32 v7, v47, v7
	;; [unrolled: 1-line block ×3, first 2 shown]
	v_add_u32_e32 v49, 0x1fd5c5a3, v9
	v_mad_u64_u32 v[10:11], s[4:5], v11, s55, 0
	v_xor_b32_e32 v11, v49, v11
	v_xor_b32_e32 v6, v11, v6
	v_add_u32_e32 v48, 0x5384540f, v8
	v_mad_u64_u32 v[16:17], s[4:5], v7, s50, 0
	v_add_co_u32_e32 v34, vcc, s56, v8
	v_mad_u64_u32 v[12:13], s[4:5], v6, s50, 0
	v_xor_b32_e32 v7, v48, v17
	v_xor_b32_e32 v6, v34, v13
	;; [unrolled: 1-line block ×4, first 2 shown]
	v_mad_u64_u32 v[14:15], s[4:5], v7, s55, 0
	v_mad_u64_u32 v[6:7], s[4:5], v6, s55, 0
	v_add_u32_e32 v35, 0x96a522ad, v9
	v_xor_b32_e32 v7, v7, v14
	v_xor_b32_e32 v33, v35, v7
	v_add_co_u32_e32 v7, vcc, 1, v18
	v_cndmask_b32_e64 v14, 0, 1, vcc
	v_addc_co_u32_e32 v20, vcc, 0, v19, vcc
	v_cmp_eq_u32_e32 vcc, 0, v20
	v_cndmask_b32_e32 v14, 0, v14, vcc
	v_add_u32_e32 v18, v14, v5
	v_cmp_eq_u32_e32 vcc, 0, v18
	v_mad_u64_u32 v[16:17], s[4:5], v7, s55, 0
	v_mad_u64_u32 v[18:19], s[4:5], v18, s50, 0
	v_add_u32_e32 v13, 0x8ff34781, v8
	v_cndmask_b32_e32 v14, 0, v14, vcc
	v_xor_b32_e32 v7, v19, v8
	v_xor_b32_e32 v8, v17, v9
	;; [unrolled: 1-line block ×4, first 2 shown]
	v_mad_u64_u32 v[20:21], s[4:5], v14, s50, 0
	v_add_u32_e32 v11, 0xdb3d7428, v9
	v_mad_u64_u32 v[8:9], s[4:5], v7, s55, 0
	v_xor_b32_e32 v7, v36, v21
	v_xor_b32_e32 v7, v7, v18
	v_xor_b32_e32 v9, v37, v9
	v_xor_b32_e32 v9, v9, v16
	v_mad_u64_u32 v[16:17], s[4:5], v7, s55, 0
	v_mad_u64_u32 v[18:19], s[4:5], v9, s50, 0
	v_xor_b32_e32 v9, v39, v17
	v_xor_b32_e32 v7, v38, v19
	v_xor_b32_e32 v14, v9, v8
	v_xor_b32_e32 v7, v7, v20
	v_mad_u64_u32 v[20:21], s[4:5], v14, s50, 0
	;; [unrolled: 6-line block ×7, first 2 shown]
	v_xor_b32_e32 v7, v11, v19
	v_xor_b32_e32 v7, v7, v8
	v_mad_u64_u32 v[20:21], s[4:5], v9, s50, 0
	v_mad_u64_u32 v[8:9], s[4:5], v7, s50, 0
	v_xor_b32_e32 v7, v9, v20
	v_xor_b32_e32 v7, v13, v7
	v_cmp_lt_i32_e32 vcc, 1, v2
                                        ; implicit-def: $vgpr17
	s_and_saveexec_b64 s[4:5], vcc
	s_xor_b64 s[4:5], exec, s[4:5]
	s_cbranch_execz .LBB77_11
; %bb.6:                                ;   in Loop: Header=BB77_3 Depth=1
	v_cmp_lt_i32_e32 vcc, 2, v2
                                        ; implicit-def: $vgpr17
	s_and_saveexec_b64 s[36:37], vcc
	s_xor_b64 s[36:37], exec, s[36:37]
; %bb.7:                                ;   in Loop: Header=BB77_3 Depth=1
	v_xor_b32_e32 v2, v34, v21
	v_xor_b32_e32 v2, v2, v16
	v_mul_hi_u32 v2, v2, s55
	v_xor_b32_e32 v2, v2, v18
	v_xor_b32_e32 v17, v35, v2
                                        ; implicit-def: $vgpr33
; %bb.8:                                ;   in Loop: Header=BB77_3 Depth=1
	s_andn2_saveexec_b64 s[36:37], s[36:37]
; %bb.9:                                ;   in Loop: Header=BB77_3 Depth=1
	v_mov_b32_e32 v17, v8
	v_mov_b32_e32 v8, v7
	v_mov_b32_e32 v7, v6
	v_mov_b32_e32 v6, v33
; %bb.10:                               ;   in Loop: Header=BB77_3 Depth=1
	s_or_b64 exec, exec, s[36:37]
                                        ; implicit-def: $vgpr10_vgpr11
                                        ; implicit-def: $vgpr12_vgpr13
                                        ; implicit-def: $vgpr2
                                        ; implicit-def: $vgpr33
                                        ; implicit-def: $vgpr14_vgpr15
                                        ; implicit-def: $vgpr11
                                        ; implicit-def: $vgpr13
.LBB77_11:                              ;   in Loop: Header=BB77_3 Depth=1
	s_andn2_saveexec_b64 s[4:5], s[4:5]
	s_cbranch_execz .LBB77_15
; %bb.12:                               ;   in Loop: Header=BB77_3 Depth=1
	v_xor_b32_e32 v8, v11, v15
	v_xor_b32_e32 v8, v8, v10
	v_mad_u64_u32 v[10:11], s[36:37], v8, s50, 0
	v_xor_b32_e32 v8, v11, v12
	v_xor_b32_e32 v9, v13, v8
	v_cmp_eq_u32_e32 vcc, 1, v2
	v_mov_b32_e32 v17, v6
	v_mov_b32_e32 v8, v33
	v_mov_b32_e32 v2, v10
	s_and_saveexec_b64 s[36:37], vcc
; %bb.13:                               ;   in Loop: Header=BB77_3 Depth=1
	v_mov_b32_e32 v17, v7
	v_mov_b32_e32 v8, v6
	;; [unrolled: 1-line block ×4, first 2 shown]
; %bb.14:                               ;   in Loop: Header=BB77_3 Depth=1
	s_or_b64 exec, exec, s[36:37]
	v_mov_b32_e32 v6, v9
	v_mov_b32_e32 v7, v2
.LBB77_15:                              ;   in Loop: Header=BB77_3 Depth=1
	s_or_b64 exec, exec, s[4:5]
	v_min_i32_e32 v9, 4, v1
	v_cmp_lt_i32_e32 vcc, 2, v9
	s_mov_b64 s[36:37], 0
	s_mov_b64 s[4:5], 0
                                        ; implicit-def: $sgpr38_sgpr39
                                        ; implicit-def: $sgpr40_sgpr41
                                        ; implicit-def: $sgpr42_sgpr43
	s_and_saveexec_b64 s[44:45], vcc
	s_xor_b64 s[44:45], exec, s[44:45]
	s_cbranch_execz .LBB77_25
; %bb.16:                               ;   in Loop: Header=BB77_3 Depth=1
	v_cmp_lt_i32_e32 vcc, 3, v9
	s_mov_b64 s[4:5], -1
                                        ; implicit-def: $sgpr38_sgpr39
                                        ; implicit-def: $sgpr46_sgpr47
	s_and_saveexec_b64 s[40:41], vcc
	s_cbranch_execz .LBB77_20
; %bb.17:                               ;   in Loop: Header=BB77_3 Depth=1
	s_waitcnt vmcnt(0)
	v_cmp_le_f32_e32 vcc, 0, v32
	v_cmp_ge_f32_e64 s[4:5], 1.0, v32
	s_and_b64 s[46:47], vcc, s[4:5]
	s_mov_b64 s[38:39], 0
	s_mov_b64 s[4:5], 0
	s_and_saveexec_b64 s[42:43], s[46:47]
	s_cbranch_execz .LBB77_19
; %bb.18:                               ;   in Loop: Header=BB77_3 Depth=1
	v_cvt_f32_u32_e32 v2, v17
	v_mov_b32_e32 v12, 0x2f800000
	v_add_u32_e32 v10, s57, v25
	s_mov_b64 s[4:5], exec
	v_fmac_f32_e32 v12, 0x2f800000, v2
	v_cndmask_b32_e64 v2, 0, v10, s[2:3]
	v_lshlrev_b64 v[10:11], 2, v[2:3]
	v_mov_b32_e32 v2, s7
	v_add_co_u32_e32 v10, vcc, s6, v10
	v_addc_co_u32_e32 v11, vcc, v2, v11, vcc
	v_cmp_le_f32_e32 vcc, v12, v32
	v_cndmask_b32_e64 v2, 0, 1.0, vcc
	global_store_dword v[10:11], v2, off
.LBB77_19:                              ;   in Loop: Header=BB77_3 Depth=1
	s_or_b64 exec, exec, s[42:43]
	s_mov_b64 s[46:47], -1
	s_orn2_b64 s[4:5], s[4:5], exec
.LBB77_20:                              ;   in Loop: Header=BB77_3 Depth=1
	s_or_b64 exec, exec, s[40:41]
	s_mov_b64 s[2:3], 0
	s_mov_b64 s[42:43], s[38:39]
	s_and_saveexec_b64 s[40:41], s[4:5]
	s_cbranch_execz .LBB77_24
; %bb.21:                               ;   in Loop: Header=BB77_3 Depth=1
	v_add_u32_e32 v2, s51, v28
	v_cmp_lt_i32_e32 vcc, 2, v1
	v_cndmask_b32_e32 v2, 0, v2, vcc
	v_lshlrev_b64 v[10:11], 2, v[2:3]
	v_mov_b32_e32 v2, s13
	v_add_co_u32_e64 v10, s[2:3], s12, v10
	v_addc_co_u32_e64 v11, s[2:3], v2, v11, s[2:3]
	global_load_dword v10, v[10:11], off
	s_waitcnt vmcnt(0)
	v_cmp_le_f32_e64 s[2:3], 0, v10
	v_cmp_ge_f32_e64 s[4:5], 1.0, v10
	s_and_b64 s[4:5], s[2:3], s[4:5]
	s_mov_b64 s[2:3], 0
	s_and_saveexec_b64 s[42:43], s[4:5]
	s_xor_b64 s[4:5], exec, s[42:43]
	s_cbranch_execz .LBB77_23
; %bb.22:                               ;   in Loop: Header=BB77_3 Depth=1
	v_cvt_f32_u32_e32 v2, v8
	v_mov_b32_e32 v8, 0x2f800000
	v_add_u32_e32 v11, s57, v24
	s_mov_b64 s[2:3], exec
	v_fmac_f32_e32 v8, 0x2f800000, v2
	v_cndmask_b32_e32 v2, 0, v11, vcc
	v_lshlrev_b64 v[12:13], 2, v[2:3]
	v_mov_b32_e32 v2, s7
	v_add_co_u32_e32 v12, vcc, s6, v12
	v_addc_co_u32_e32 v13, vcc, v2, v13, vcc
	v_cmp_le_f32_e32 vcc, v8, v10
	v_cndmask_b32_e64 v2, 0, 1.0, vcc
	global_store_dword v[12:13], v2, off
.LBB77_23:                              ;   in Loop: Header=BB77_3 Depth=1
	s_or_b64 exec, exec, s[4:5]
	s_andn2_b64 s[42:43], s[38:39], exec
	s_or_b64 s[38:39], s[38:39], exec
	s_andn2_b64 s[46:47], s[46:47], exec
	s_and_b64 s[2:3], s[2:3], exec
.LBB77_24:                              ;   in Loop: Header=BB77_3 Depth=1
	s_or_b64 exec, exec, s[40:41]
	s_and_b64 s[42:43], s[42:43], exec
	s_and_b64 s[40:41], s[38:39], exec
	;; [unrolled: 1-line block ×4, first 2 shown]
.LBB77_25:                              ;   in Loop: Header=BB77_3 Depth=1
	s_andn2_saveexec_b64 s[2:3], s[44:45]
; %bb.26:                               ;   in Loop: Header=BB77_3 Depth=1
	v_cmp_lt_i32_e32 vcc, 1, v9
	s_andn2_b64 s[4:5], s[4:5], exec
	s_and_b64 s[44:45], vcc, exec
	s_mov_b64 s[36:37], exec
	s_andn2_b64 s[42:43], s[42:43], exec
	s_andn2_b64 s[40:41], s[40:41], exec
	;; [unrolled: 1-line block ×3, first 2 shown]
	s_or_b64 s[4:5], s[4:5], s[44:45]
; %bb.27:                               ;   in Loop: Header=BB77_3 Depth=1
	s_or_b64 exec, exec, s[2:3]
	s_mov_b64 s[44:45], 0
	s_mov_b64 s[2:3], 0
	;; [unrolled: 1-line block ×3, first 2 shown]
	s_and_saveexec_b64 s[48:49], s[4:5]
	s_cbranch_execnz .LBB77_30
; %bb.28:                               ;   in Loop: Header=BB77_3 Depth=1
	s_or_b64 exec, exec, s[48:49]
	s_and_saveexec_b64 s[4:5], s[36:37]
	s_cbranch_execnz .LBB77_33
.LBB77_29:                              ;   in Loop: Header=BB77_3 Depth=1
	s_or_b64 exec, exec, s[4:5]
	s_and_saveexec_b64 s[36:37], s[2:3]
	s_cbranch_execnz .LBB77_34
	s_branch .LBB77_37
.LBB77_30:                              ;   in Loop: Header=BB77_3 Depth=1
	v_add_u32_e32 v2, s51, v27
	v_cmp_lt_i32_e32 vcc, 1, v1
	v_cndmask_b32_e32 v2, 0, v2, vcc
	v_lshlrev_b64 v[10:11], 2, v[2:3]
	v_mov_b32_e32 v2, s13
	v_add_co_u32_e64 v10, s[2:3], s12, v10
	v_addc_co_u32_e64 v11, s[2:3], v2, v11, s[2:3]
	global_load_dword v8, v[10:11], off
	s_waitcnt vmcnt(0)
	v_cmp_le_f32_e64 s[2:3], 0, v8
	v_cmp_ge_f32_e64 s[4:5], 1.0, v8
	s_and_b64 s[4:5], s[2:3], s[4:5]
	s_mov_b64 s[2:3], 0
	s_and_saveexec_b64 s[46:47], s[4:5]
	s_xor_b64 s[4:5], exec, s[46:47]
	s_cbranch_execz .LBB77_32
; %bb.31:                               ;   in Loop: Header=BB77_3 Depth=1
	v_cvt_f32_u32_e32 v2, v7
	v_mov_b32_e32 v7, 0x2f800000
	v_add_u32_e32 v10, s57, v23
	s_mov_b64 s[2:3], exec
	v_fmac_f32_e32 v7, 0x2f800000, v2
	v_cndmask_b32_e32 v2, 0, v10, vcc
	v_lshlrev_b64 v[10:11], 2, v[2:3]
	v_mov_b32_e32 v2, s7
	v_add_co_u32_e32 v10, vcc, s6, v10
	v_addc_co_u32_e32 v11, vcc, v2, v11, vcc
	v_cmp_le_f32_e32 vcc, v7, v8
	v_cndmask_b32_e64 v2, 0, 1.0, vcc
	global_store_dword v[10:11], v2, off
.LBB77_32:                              ;   in Loop: Header=BB77_3 Depth=1
	s_or_b64 exec, exec, s[4:5]
	s_andn2_b64 s[46:47], s[42:43], exec
	s_or_b64 s[42:43], s[42:43], exec
	s_andn2_b64 s[40:41], s[40:41], exec
	s_andn2_b64 s[38:39], s[38:39], exec
	s_and_b64 s[2:3], s[2:3], exec
	s_andn2_b64 s[36:37], s[36:37], exec
	s_or_b64 exec, exec, s[48:49]
	s_and_saveexec_b64 s[4:5], s[36:37]
	s_cbranch_execz .LBB77_29
.LBB77_33:                              ;   in Loop: Header=BB77_3 Depth=1
	v_cmp_eq_u32_e32 vcc, 1, v9
	s_andn2_b64 s[2:3], s[2:3], exec
	s_and_b64 s[36:37], vcc, exec
	s_mov_b64 s[44:45], exec
	s_andn2_b64 s[46:47], s[46:47], exec
	s_andn2_b64 s[42:43], s[42:43], exec
	;; [unrolled: 1-line block ×4, first 2 shown]
	s_or_b64 s[2:3], s[2:3], s[36:37]
	s_or_b64 exec, exec, s[4:5]
	s_and_saveexec_b64 s[36:37], s[2:3]
	s_cbranch_execz .LBB77_37
.LBB77_34:                              ;   in Loop: Header=BB77_3 Depth=1
	v_add_u32_e32 v2, s51, v30
	v_cmp_lt_i32_e32 vcc, 0, v1
	v_cndmask_b32_e32 v2, 0, v2, vcc
	v_lshlrev_b64 v[8:9], 2, v[2:3]
	v_mov_b32_e32 v2, s13
	v_add_co_u32_e64 v8, s[2:3], s12, v8
	v_addc_co_u32_e64 v9, s[2:3], v2, v9, s[2:3]
	global_load_dword v7, v[8:9], off
	s_waitcnt vmcnt(0)
	v_cmp_le_f32_e64 s[2:3], 0, v7
	v_cmp_ge_f32_e64 s[4:5], 1.0, v7
	s_and_b64 s[48:49], s[2:3], s[4:5]
	s_mov_b64 s[2:3], 0
	s_and_saveexec_b64 s[4:5], s[48:49]
	s_cbranch_execz .LBB77_36
; %bb.35:                               ;   in Loop: Header=BB77_3 Depth=1
	v_cvt_f32_u32_e32 v2, v6
	v_mov_b32_e32 v6, 0x2f800000
	v_add_u32_e32 v8, s57, v26
	s_mov_b64 s[2:3], exec
	v_fmac_f32_e32 v6, 0x2f800000, v2
	v_cndmask_b32_e32 v2, 0, v8, vcc
	v_lshlrev_b64 v[8:9], 2, v[2:3]
	v_mov_b32_e32 v2, s7
	v_add_co_u32_e32 v8, vcc, s6, v8
	v_addc_co_u32_e32 v9, vcc, v2, v9, vcc
	v_cmp_le_f32_e32 vcc, v6, v7
	v_cndmask_b32_e64 v2, 0, 1.0, vcc
	global_store_dword v[8:9], v2, off
.LBB77_36:                              ;   in Loop: Header=BB77_3 Depth=1
	s_or_b64 exec, exec, s[4:5]
	s_andn2_b64 s[4:5], s[44:45], exec
	s_and_b64 s[2:3], s[2:3], exec
	s_or_b64 s[46:47], s[46:47], exec
	s_andn2_b64 s[42:43], s[42:43], exec
	s_andn2_b64 s[40:41], s[40:41], exec
	;; [unrolled: 1-line block ×3, first 2 shown]
	s_or_b64 s[44:45], s[4:5], s[2:3]
.LBB77_37:                              ;   in Loop: Header=BB77_3 Depth=1
	s_or_b64 exec, exec, s[36:37]
	s_andn2_b64 s[4:5], s[34:35], exec
	s_and_b64 s[34:35], s[46:47], exec
	s_or_b64 s[34:35], s[4:5], s[34:35]
	s_andn2_b64 s[4:5], s[30:31], exec
	s_and_b64 s[30:31], s[42:43], exec
	s_or_b64 s[30:31], s[4:5], s[30:31]
	;; [unrolled: 3-line block ×3, first 2 shown]
	s_andn2_b64 s[4:5], s[26:27], exec
	s_and_b64 s[26:27], s[38:39], exec
	s_mov_b64 s[2:3], -1
	s_or_b64 s[26:27], s[4:5], s[26:27]
	s_and_saveexec_b64 s[4:5], s[44:45]
	s_cbranch_execz .LBB77_2
; %bb.38:                               ;   in Loop: Header=BB77_3 Depth=1
	v_add_u32_e32 v22, s52, v22
	v_cmp_le_u32_e32 vcc, s33, v22
	v_subrev_u32_e32 v1, s52, v1
	s_add_i32 s57, s57, s53
	s_add_i32 s51, s51, s54
	s_andn2_b64 s[34:35], s[34:35], exec
	s_andn2_b64 s[30:31], s[30:31], exec
	;; [unrolled: 1-line block ×4, first 2 shown]
	s_orn2_b64 s[2:3], vcc, exec
	s_branch .LBB77_2
.LBB77_39:
	s_or_b64 exec, exec, s[18:19]
	s_xor_b64 s[6:7], s[24:25], -1
	s_xor_b64 s[8:9], s[22:23], -1
	;; [unrolled: 1-line block ×3, first 2 shown]
	s_mov_b64 s[2:3], 0
	s_and_saveexec_b64 s[4:5], s[0:1]
	s_xor_b64 s[0:1], exec, s[4:5]
	s_cbranch_execnz .LBB77_44
; %bb.40:
	s_andn2_saveexec_b64 s[0:1], s[0:1]
	s_cbranch_execnz .LBB77_52
.LBB77_41:
	s_or_b64 exec, exec, s[0:1]
	s_and_b64 exec, exec, s[2:3]
.LBB77_42:
	; divergent unreachable
.LBB77_43:
	s_endpgm
.LBB77_44:
	s_mov_b64 s[4:5], 0
	s_and_saveexec_b64 s[2:3], s[8:9]
	s_xor_b64 s[2:3], exec, s[2:3]
	s_cbranch_execz .LBB77_50
; %bb.45:
	s_and_saveexec_b64 s[8:9], s[6:7]
	s_xor_b64 s[6:7], exec, s[8:9]
	s_cbranch_execz .LBB77_48
; %bb.46:
	s_and_saveexec_b64 s[8:9], s[16:17]
	s_xor_b64 s[8:9], exec, s[8:9]
	s_cbranch_execnz .LBB77_55
.LBB77_47:
	s_or_b64 exec, exec, s[8:9]
	s_and_b64 s[4:5], s[4:5], exec
.LBB77_48:
	s_andn2_saveexec_b64 s[6:7], s[6:7]
	s_cbranch_execnz .LBB77_54
.LBB77_49:
	s_or_b64 exec, exec, s[6:7]
	s_and_b64 s[4:5], s[4:5], exec
.LBB77_50:
	s_andn2_saveexec_b64 s[2:3], s[2:3]
	s_cbranch_execnz .LBB77_53
.LBB77_51:
	s_or_b64 exec, exec, s[2:3]
	s_and_b64 s[2:3], s[4:5], exec
	s_andn2_saveexec_b64 s[0:1], s[0:1]
	s_cbranch_execz .LBB77_41
.LBB77_52:
	s_or_b64 s[2:3], s[2:3], exec
	s_trap 2
	s_or_b64 exec, exec, s[0:1]
	s_and_b64 exec, exec, s[2:3]
	s_cbranch_execnz .LBB77_42
	s_branch .LBB77_43
.LBB77_53:
	s_or_b64 s[4:5], s[4:5], exec
	s_trap 2
	s_branch .LBB77_51
.LBB77_54:
	s_trap 2
	s_or_b64 s[4:5], s[4:5], exec
	s_branch .LBB77_49
.LBB77_55:
	s_mov_b64 s[4:5], exec
	s_trap 2
	s_branch .LBB77_47
	.section	.rodata,"a",@progbits
	.p2align	6, 0x0
	.amdhsa_kernel _ZN2at4cuda12_GLOBAL__N_121kernelPointwiseApply2IZNS_6native9templates4cuda28bernoulli_tensor_cuda_kernelIffEEvRKNS_10TensorBaseES9_NS_15PhiloxCudaStateEEUliRfSB_SB_SB_RKfSD_SD_SD_E_fSC_jLi1ELi1ELi4ELi512ELi2EEEvNS0_6detail10TensorInfoIT0_T2_EENSG_IT1_SI_EESI_T_
		.amdhsa_group_segment_fixed_size 0
		.amdhsa_private_segment_fixed_size 0
		.amdhsa_kernarg_size 728
		.amdhsa_user_sgpr_count 6
		.amdhsa_user_sgpr_private_segment_buffer 1
		.amdhsa_user_sgpr_dispatch_ptr 0
		.amdhsa_user_sgpr_queue_ptr 0
		.amdhsa_user_sgpr_kernarg_segment_ptr 1
		.amdhsa_user_sgpr_dispatch_id 0
		.amdhsa_user_sgpr_flat_scratch_init 0
		.amdhsa_user_sgpr_kernarg_preload_length 0
		.amdhsa_user_sgpr_kernarg_preload_offset 0
		.amdhsa_user_sgpr_private_segment_size 0
		.amdhsa_uses_dynamic_stack 0
		.amdhsa_system_sgpr_private_segment_wavefront_offset 0
		.amdhsa_system_sgpr_workgroup_id_x 1
		.amdhsa_system_sgpr_workgroup_id_y 0
		.amdhsa_system_sgpr_workgroup_id_z 0
		.amdhsa_system_sgpr_workgroup_info 0
		.amdhsa_system_vgpr_workitem_id 0
		.amdhsa_next_free_vgpr 50
		.amdhsa_next_free_sgpr 58
		.amdhsa_accum_offset 52
		.amdhsa_reserve_vcc 1
		.amdhsa_reserve_flat_scratch 0
		.amdhsa_float_round_mode_32 0
		.amdhsa_float_round_mode_16_64 0
		.amdhsa_float_denorm_mode_32 3
		.amdhsa_float_denorm_mode_16_64 3
		.amdhsa_dx10_clamp 1
		.amdhsa_ieee_mode 1
		.amdhsa_fp16_overflow 0
		.amdhsa_tg_split 0
		.amdhsa_exception_fp_ieee_invalid_op 0
		.amdhsa_exception_fp_denorm_src 0
		.amdhsa_exception_fp_ieee_div_zero 0
		.amdhsa_exception_fp_ieee_overflow 0
		.amdhsa_exception_fp_ieee_underflow 0
		.amdhsa_exception_fp_ieee_inexact 0
		.amdhsa_exception_int_div_zero 0
	.end_amdhsa_kernel
	.section	.text._ZN2at4cuda12_GLOBAL__N_121kernelPointwiseApply2IZNS_6native9templates4cuda28bernoulli_tensor_cuda_kernelIffEEvRKNS_10TensorBaseES9_NS_15PhiloxCudaStateEEUliRfSB_SB_SB_RKfSD_SD_SD_E_fSC_jLi1ELi1ELi4ELi512ELi2EEEvNS0_6detail10TensorInfoIT0_T2_EENSG_IT1_SI_EESI_T_,"axG",@progbits,_ZN2at4cuda12_GLOBAL__N_121kernelPointwiseApply2IZNS_6native9templates4cuda28bernoulli_tensor_cuda_kernelIffEEvRKNS_10TensorBaseES9_NS_15PhiloxCudaStateEEUliRfSB_SB_SB_RKfSD_SD_SD_E_fSC_jLi1ELi1ELi4ELi512ELi2EEEvNS0_6detail10TensorInfoIT0_T2_EENSG_IT1_SI_EESI_T_,comdat
.Lfunc_end77:
	.size	_ZN2at4cuda12_GLOBAL__N_121kernelPointwiseApply2IZNS_6native9templates4cuda28bernoulli_tensor_cuda_kernelIffEEvRKNS_10TensorBaseES9_NS_15PhiloxCudaStateEEUliRfSB_SB_SB_RKfSD_SD_SD_E_fSC_jLi1ELi1ELi4ELi512ELi2EEEvNS0_6detail10TensorInfoIT0_T2_EENSG_IT1_SI_EESI_T_, .Lfunc_end77-_ZN2at4cuda12_GLOBAL__N_121kernelPointwiseApply2IZNS_6native9templates4cuda28bernoulli_tensor_cuda_kernelIffEEvRKNS_10TensorBaseES9_NS_15PhiloxCudaStateEEUliRfSB_SB_SB_RKfSD_SD_SD_E_fSC_jLi1ELi1ELi4ELi512ELi2EEEvNS0_6detail10TensorInfoIT0_T2_EENSG_IT1_SI_EESI_T_
                                        ; -- End function
	.section	.AMDGPU.csdata,"",@progbits
; Kernel info:
; codeLenInByte = 2668
; NumSgprs: 62
; NumVgprs: 50
; NumAgprs: 0
; TotalNumVgprs: 50
; ScratchSize: 0
; MemoryBound: 0
; FloatMode: 240
; IeeeMode: 1
; LDSByteSize: 0 bytes/workgroup (compile time only)
; SGPRBlocks: 7
; VGPRBlocks: 6
; NumSGPRsForWavesPerEU: 62
; NumVGPRsForWavesPerEU: 50
; AccumOffset: 52
; Occupancy: 8
; WaveLimiterHint : 1
; COMPUTE_PGM_RSRC2:SCRATCH_EN: 0
; COMPUTE_PGM_RSRC2:USER_SGPR: 6
; COMPUTE_PGM_RSRC2:TRAP_HANDLER: 0
; COMPUTE_PGM_RSRC2:TGID_X_EN: 1
; COMPUTE_PGM_RSRC2:TGID_Y_EN: 0
; COMPUTE_PGM_RSRC2:TGID_Z_EN: 0
; COMPUTE_PGM_RSRC2:TIDIG_COMP_CNT: 0
; COMPUTE_PGM_RSRC3_GFX90A:ACCUM_OFFSET: 12
; COMPUTE_PGM_RSRC3_GFX90A:TG_SPLIT: 0
	.section	.text._ZN2at4cuda12_GLOBAL__N_121kernelPointwiseApply2IZNS_6native9templates4cuda28bernoulli_tensor_cuda_kernelIffEEvRKNS_10TensorBaseES9_NS_15PhiloxCudaStateEEUliRfSB_SB_SB_RKfSD_SD_SD_E_fSC_jLi1ELi2ELi4ELi512ELi2EEEvNS0_6detail10TensorInfoIT0_T2_EENSG_IT1_SI_EESI_T_,"axG",@progbits,_ZN2at4cuda12_GLOBAL__N_121kernelPointwiseApply2IZNS_6native9templates4cuda28bernoulli_tensor_cuda_kernelIffEEvRKNS_10TensorBaseES9_NS_15PhiloxCudaStateEEUliRfSB_SB_SB_RKfSD_SD_SD_E_fSC_jLi1ELi2ELi4ELi512ELi2EEEvNS0_6detail10TensorInfoIT0_T2_EENSG_IT1_SI_EESI_T_,comdat
	.globl	_ZN2at4cuda12_GLOBAL__N_121kernelPointwiseApply2IZNS_6native9templates4cuda28bernoulli_tensor_cuda_kernelIffEEvRKNS_10TensorBaseES9_NS_15PhiloxCudaStateEEUliRfSB_SB_SB_RKfSD_SD_SD_E_fSC_jLi1ELi2ELi4ELi512ELi2EEEvNS0_6detail10TensorInfoIT0_T2_EENSG_IT1_SI_EESI_T_ ; -- Begin function _ZN2at4cuda12_GLOBAL__N_121kernelPointwiseApply2IZNS_6native9templates4cuda28bernoulli_tensor_cuda_kernelIffEEvRKNS_10TensorBaseES9_NS_15PhiloxCudaStateEEUliRfSB_SB_SB_RKfSD_SD_SD_E_fSC_jLi1ELi2ELi4ELi512ELi2EEEvNS0_6detail10TensorInfoIT0_T2_EENSG_IT1_SI_EESI_T_
	.p2align	8
	.type	_ZN2at4cuda12_GLOBAL__N_121kernelPointwiseApply2IZNS_6native9templates4cuda28bernoulli_tensor_cuda_kernelIffEEvRKNS_10TensorBaseES9_NS_15PhiloxCudaStateEEUliRfSB_SB_SB_RKfSD_SD_SD_E_fSC_jLi1ELi2ELi4ELi512ELi2EEEvNS0_6detail10TensorInfoIT0_T2_EENSG_IT1_SI_EESI_T_,@function
_ZN2at4cuda12_GLOBAL__N_121kernelPointwiseApply2IZNS_6native9templates4cuda28bernoulli_tensor_cuda_kernelIffEEvRKNS_10TensorBaseES9_NS_15PhiloxCudaStateEEUliRfSB_SB_SB_RKfSD_SD_SD_E_fSC_jLi1ELi2ELi4ELi512ELi2EEEvNS0_6detail10TensorInfoIT0_T2_EENSG_IT1_SI_EESI_T_: ; @_ZN2at4cuda12_GLOBAL__N_121kernelPointwiseApply2IZNS_6native9templates4cuda28bernoulli_tensor_cuda_kernelIffEEvRKNS_10TensorBaseES9_NS_15PhiloxCudaStateEEUliRfSB_SB_SB_RKfSD_SD_SD_E_fSC_jLi1ELi2ELi4ELi512ELi2EEEvNS0_6detail10TensorInfoIT0_T2_EENSG_IT1_SI_EESI_T_
; %bb.0:
	s_load_dword s2, s[4:5], 0x1e4
	s_load_dword s33, s[4:5], 0x1b0
	s_add_u32 s0, s4, 0x1d8
	s_addc_u32 s1, s5, 0
	s_waitcnt lgkmcnt(0)
	s_and_b32 s2, s2, 0xffff
	s_mul_i32 s6, s6, s2
	v_add_u32_e32 v1, s6, v0
	v_lshlrev_b32_e32 v0, 2, v1
	v_cmp_gt_u32_e32 vcc, s33, v0
	s_and_saveexec_b64 s[6:7], vcc
	s_cbranch_execz .LBB78_51
; %bb.1:
	s_load_dwordx2 s[12:13], s[4:5], 0x0
	s_load_dword s3, s[4:5], 0x6c
	s_load_dwordx2 s[14:15], s[4:5], 0xd8
	s_load_dword s56, s[4:5], 0xe4
	s_load_dword s6, s[0:1], 0x0
	s_load_dwordx2 s[16:17], s[4:5], 0x1c8
	s_load_dword s7, s[4:5], 0x1d0
	s_load_dwordx2 s[18:19], s[4:5], 0x144
	s_load_dwordx4 s[8:11], s[4:5], 0x1b8
	s_waitcnt lgkmcnt(0)
	v_cvt_f32_u32_e32 v2, s56
	s_mov_b32 s57, 0xcd9e8d57
	s_bitcmp1_b32 s7, 0
	s_cselect_b64 s[22:23], -1, 0
	v_rcp_iflag_f32_e32 v4, v2
	v_mad_u64_u32 v[2:3], s[0:1], v1, s57, 0
	s_sub_i32 s60, 0, s56
	v_mul_f32_e32 v4, 0x4f7ffffe, v4
	v_cvt_u32_f32_e32 v4, v4
	v_mov_b32_e32 v6, v3
	s_mul_i32 s6, s6, s2
	s_lshl_b32 s59, s6, 2
	v_mul_lo_u32 v3, s60, v4
	v_mul_hi_u32 v3, v4, v3
	v_add_u32_e32 v3, v4, v3
	v_add_u32_e32 v4, 2, v0
	v_mul_lo_u32 v32, v0, s3
	v_mul_lo_u32 v34, s3, v4
	v_add_u32_e32 v4, 3, v0
	s_mov_b32 s58, 0
	v_mov_b32_e32 v5, 0
	v_sub_u32_e32 v7, s33, v0
	v_add_u32_e32 v33, s3, v32
	s_mul_i32 s61, s59, s3
	v_mul_lo_u32 v35, s3, v4
	s_mov_b64 s[24:25], 0
	s_mov_b32 s62, 0xd2511f53
	s_mov_b32 s63, 0xf1bbcdc8
                                        ; implicit-def: $sgpr26_sgpr27
                                        ; implicit-def: $sgpr28_sgpr29
                                        ; implicit-def: $sgpr30_sgpr31
                                        ; implicit-def: $sgpr20_sgpr21
                                        ; implicit-def: $sgpr34_sgpr35
                                        ; implicit-def: $sgpr36_sgpr37
                                        ; implicit-def: $sgpr38_sgpr39
                                        ; implicit-def: $sgpr40_sgpr41
	s_branch .LBB78_3
.LBB78_2:                               ;   in Loop: Header=BB78_3 Depth=1
	s_or_b64 exec, exec, s[2:3]
	s_and_b64 s[0:1], exec, s[0:1]
	s_or_b64 s[24:25], s[0:1], s[24:25]
	s_andn2_b64 s[0:1], s[20:21], exec
	s_and_b64 s[2:3], s[40:41], exec
	s_or_b64 s[20:21], s[0:1], s[2:3]
	s_andn2_b64 s[0:1], s[30:31], exec
	s_and_b64 s[2:3], s[38:39], exec
	;; [unrolled: 3-line block ×4, first 2 shown]
	s_or_b64 s[26:27], s[0:1], s[2:3]
	s_andn2_b64 exec, exec, s[24:25]
	s_cbranch_execz .LBB78_47
.LBB78_3:                               ; =>This Inner Loop Header: Depth=1
	v_pk_mov_b32 v[10:11], 0, 0
	v_cmp_lt_i32_e64 s[0:1], 0, v7
	v_pk_mov_b32 v[8:9], v[10:11], v[10:11] op_sel:[0,1]
	s_and_saveexec_b64 s[2:3], s[0:1]
	s_cbranch_execz .LBB78_5
; %bb.4:                                ;   in Loop: Header=BB78_3 Depth=1
	s_waitcnt vmcnt(0)
	v_mul_hi_u32 v4, v3, v0
	v_not_b32_e32 v12, v4
	v_mad_u64_u32 v[8:9], s[4:5], s60, v4, v[0:1]
	v_add_u32_e32 v9, 1, v4
	v_cmp_le_u32_e32 vcc, s56, v8
	v_mad_u64_u32 v[12:13], s[4:5], s56, v12, v[0:1]
	v_cndmask_b32_e32 v4, v4, v9, vcc
	v_cndmask_b32_e32 v8, v8, v12, vcc
	v_add_u32_e32 v9, 1, v4
	v_cmp_le_u32_e32 vcc, s56, v8
	v_cndmask_b32_e32 v12, v4, v9, vcc
	v_mad_u64_u32 v[8:9], s[4:5], s60, v12, v[0:1]
	v_mul_lo_u32 v4, v8, s19
	v_mad_u64_u32 v[8:9], s[4:5], v12, s18, v[4:5]
	v_mov_b32_e32 v9, v5
.LBB78_5:                               ;   in Loop: Header=BB78_3 Depth=1
	s_or_b64 exec, exec, s[2:3]
	v_cmp_lt_i32_e64 s[2:3], 1, v7
	s_and_saveexec_b64 s[4:5], s[2:3]
	s_cbranch_execz .LBB78_7
; %bb.6:                                ;   in Loop: Header=BB78_3 Depth=1
	s_waitcnt vmcnt(0)
	v_add_u32_e32 v4, 1, v0
	v_mul_hi_u32 v10, v4, v3
	v_mul_lo_u32 v11, v10, s56
	v_sub_u32_e32 v11, v4, v11
	v_add_u32_e32 v12, 1, v10
	v_cmp_le_u32_e32 vcc, s56, v11
	v_cndmask_b32_e32 v10, v10, v12, vcc
	v_subrev_u32_e32 v12, s56, v11
	v_cndmask_b32_e32 v11, v11, v12, vcc
	v_add_u32_e32 v12, 1, v10
	v_cmp_le_u32_e32 vcc, s56, v11
	v_cndmask_b32_e32 v10, v10, v12, vcc
	v_mul_lo_u32 v11, v10, s56
	v_sub_u32_e32 v4, v4, v11
	v_mul_lo_u32 v4, v4, s19
	v_mad_u64_u32 v[10:11], s[6:7], v10, s18, v[4:5]
	v_mov_b32_e32 v11, v5
.LBB78_7:                               ;   in Loop: Header=BB78_3 Depth=1
	s_or_b64 exec, exec, s[4:5]
	v_pk_mov_b32 v[16:17], 0, 0
	v_cmp_lt_i32_e64 s[4:5], 2, v7
	v_pk_mov_b32 v[14:15], v[16:17], v[16:17] op_sel:[0,1]
	s_and_saveexec_b64 s[6:7], s[4:5]
	s_cbranch_execz .LBB78_9
; %bb.8:                                ;   in Loop: Header=BB78_3 Depth=1
	s_waitcnt vmcnt(0)
	v_add_u32_e32 v4, 2, v0
	v_mul_hi_u32 v12, v4, v3
	v_mul_lo_u32 v13, v12, s56
	v_sub_u32_e32 v13, v4, v13
	v_add_u32_e32 v14, 1, v12
	v_cmp_le_u32_e32 vcc, s56, v13
	v_cndmask_b32_e32 v12, v12, v14, vcc
	v_subrev_u32_e32 v14, s56, v13
	v_cndmask_b32_e32 v13, v13, v14, vcc
	v_add_u32_e32 v14, 1, v12
	v_cmp_le_u32_e32 vcc, s56, v13
	v_cndmask_b32_e32 v12, v12, v14, vcc
	v_mul_lo_u32 v13, v12, s56
	v_sub_u32_e32 v4, v4, v13
	v_mul_lo_u32 v4, v4, s19
	v_mad_u64_u32 v[14:15], s[42:43], v12, s18, v[4:5]
	v_mov_b32_e32 v15, v5
.LBB78_9:                               ;   in Loop: Header=BB78_3 Depth=1
	s_or_b64 exec, exec, s[6:7]
	v_cmp_lt_i32_e32 vcc, 3, v7
	v_pk_mov_b32 v[12:13], v[16:17], v[16:17] op_sel:[0,1]
	s_and_saveexec_b64 s[6:7], vcc
	s_cbranch_execz .LBB78_11
; %bb.10:                               ;   in Loop: Header=BB78_3 Depth=1
	v_add_u32_e32 v12, 3, v0
	v_mul_hi_u32 v13, v12, v3
	v_mul_lo_u32 v16, v13, s56
	v_sub_u32_e32 v16, v12, v16
	v_add_u32_e32 v17, 1, v13
	v_cmp_le_u32_e32 vcc, s56, v16
	v_cndmask_b32_e32 v13, v13, v17, vcc
	v_subrev_u32_e32 v17, s56, v16
	v_cndmask_b32_e32 v16, v16, v17, vcc
	v_add_u32_e32 v17, 1, v13
	v_cmp_le_u32_e32 vcc, s56, v16
	v_cndmask_b32_e32 v13, v13, v17, vcc
	v_mul_lo_u32 v16, v13, s56
	v_sub_u32_e32 v12, v12, v16
	v_mul_lo_u32 v12, v12, s19
	s_waitcnt vmcnt(0)
	v_add_u32_e32 v4, s58, v35
	v_mad_u64_u32 v[12:13], s[42:43], v13, s18, v[12:13]
	v_mov_b32_e32 v13, v5
	v_pk_mov_b32 v[16:17], v[4:5], v[4:5] op_sel:[0,1]
.LBB78_11:                              ;   in Loop: Header=BB78_3 Depth=1
	s_or_b64 exec, exec, s[6:7]
	v_lshlrev_b64 v[12:13], 2, v[12:13]
	s_waitcnt vmcnt(0)
	v_mov_b32_e32 v4, s15
	v_add_co_u32_e32 v12, vcc, s14, v12
	v_addc_co_u32_e32 v13, vcc, v4, v13, vcc
	global_load_dword v4, v[12:13], off
	s_andn2_b64 vcc, exec, s[22:23]
	v_pk_mov_b32 v[12:13], s[10:11], s[10:11] op_sel:[0,1]
	v_pk_mov_b32 v[18:19], s[8:9], s[8:9] op_sel:[0,1]
	s_cbranch_vccnz .LBB78_13
; %bb.12:                               ;   in Loop: Header=BB78_3 Depth=1
	v_pk_mov_b32 v[12:13], s[10:11], s[10:11] op_sel:[0,1]
	flat_load_dwordx2 v[12:13], v[12:13]
	v_pk_mov_b32 v[18:19], s[8:9], s[8:9] op_sel:[0,1]
	flat_load_dwordx2 v[18:19], v[18:19]
	v_mov_b32_e32 v20, s17
	s_waitcnt vmcnt(0) lgkmcnt(0)
	v_add_co_u32_e32 v12, vcc, s16, v12
	v_addc_co_u32_e32 v13, vcc, v13, v20, vcc
.LBB78_13:                              ;   in Loop: Header=BB78_3 Depth=1
	v_alignbit_b32 v28, v13, v12, 2
	v_lshrrev_b32_e32 v29, 2, v13
	v_xor_b32_e32 v20, v6, v18
	v_and_b32_e32 v36, 3, v12
	v_mad_u64_u32 v[12:13], s[6:7], v28, s62, 0
	v_xor_b32_e32 v20, v20, v29
	v_xor_b32_e32 v13, v13, v19
	v_add_u32_e32 v41, 0xbb67ae85, v19
	v_mad_u64_u32 v[20:21], s[6:7], v20, s62, 0
	v_mad_u64_u32 v[22:23], s[6:7], v13, s57, 0
	v_xor_b32_e32 v21, v41, v21
	v_add_u32_e32 v40, 0x9e3779b9, v18
	v_xor_b32_e32 v13, v2, v23
	v_xor_b32_e32 v21, v21, v12
	v_xor_b32_e32 v13, v13, v40
	v_add_u32_e32 v42, 0x3c6ef372, v18
	v_mad_u64_u32 v[24:25], s[6:7], v21, s57, 0
	v_add_u32_e32 v43, 0x76cf5d0a, v19
	v_mad_u64_u32 v[12:13], s[6:7], v13, s62, 0
	v_xor_b32_e32 v21, v42, v25
	v_xor_b32_e32 v21, v21, v22
	v_xor_b32_e32 v13, v43, v13
	v_xor_b32_e32 v13, v13, v20
	v_add_u32_e32 v45, 0x32370b8f, v19
	v_mad_u64_u32 v[20:21], s[6:7], v21, s62, 0
	v_add_u32_e32 v44, 0xdaa66d2b, v18
	v_mad_u64_u32 v[22:23], s[6:7], v13, s57, 0
	v_xor_b32_e32 v21, v45, v21
	;; [unrolled: 8-line block ×5, first 2 shown]
	v_xor_b32_e32 v21, v21, v22
	v_xor_b32_e32 v13, v51, v13
	;; [unrolled: 1-line block ×3, first 2 shown]
	v_add_u32_e32 v53, 0x1fd5c5a3, v19
	v_mad_u64_u32 v[20:21], s[6:7], v21, s62, 0
	v_xor_b32_e32 v21, v53, v21
	v_xor_b32_e32 v12, v21, v12
	v_add_u32_e32 v52, 0x5384540f, v18
	v_mad_u64_u32 v[26:27], s[6:7], v13, s57, 0
	v_add_co_u32_e32 v38, vcc, s63, v18
	v_mad_u64_u32 v[22:23], s[6:7], v12, s57, 0
	v_xor_b32_e32 v13, v52, v27
	v_xor_b32_e32 v12, v38, v23
	;; [unrolled: 1-line block ×4, first 2 shown]
	v_mad_u64_u32 v[24:25], s[6:7], v13, s62, 0
	v_mad_u64_u32 v[12:13], s[6:7], v12, s62, 0
	v_add_u32_e32 v39, 0x96a522ad, v19
	v_xor_b32_e32 v13, v13, v24
	v_xor_b32_e32 v37, v39, v13
	v_add_co_u32_e32 v13, vcc, 1, v28
	v_cndmask_b32_e64 v24, 0, 1, vcc
	v_addc_co_u32_e32 v30, vcc, 0, v29, vcc
	v_cmp_eq_u32_e32 vcc, 0, v30
	v_cndmask_b32_e32 v24, 0, v24, vcc
	v_add_u32_e32 v28, v24, v1
	v_cmp_eq_u32_e32 vcc, 0, v28
	v_mad_u64_u32 v[26:27], s[6:7], v13, s62, 0
	v_mad_u64_u32 v[28:29], s[6:7], v28, s57, 0
	v_add_u32_e32 v23, 0x8ff34781, v18
	v_cndmask_b32_e32 v24, 0, v24, vcc
	v_xor_b32_e32 v13, v29, v18
	v_xor_b32_e32 v18, v27, v19
	;; [unrolled: 1-line block ×4, first 2 shown]
	v_mad_u64_u32 v[30:31], s[6:7], v24, s57, 0
	v_add_u32_e32 v21, 0xdb3d7428, v19
	v_mad_u64_u32 v[18:19], s[6:7], v13, s62, 0
	v_xor_b32_e32 v13, v40, v31
	v_xor_b32_e32 v13, v13, v28
	v_xor_b32_e32 v19, v41, v19
	v_xor_b32_e32 v19, v19, v26
	v_mad_u64_u32 v[26:27], s[6:7], v13, s62, 0
	v_mad_u64_u32 v[28:29], s[6:7], v19, s57, 0
	v_xor_b32_e32 v19, v43, v27
	v_xor_b32_e32 v13, v42, v29
	v_xor_b32_e32 v24, v19, v18
	v_xor_b32_e32 v13, v13, v30
	v_mad_u64_u32 v[30:31], s[6:7], v24, s57, 0
	;; [unrolled: 6-line block ×7, first 2 shown]
	v_xor_b32_e32 v13, v21, v29
	v_xor_b32_e32 v13, v13, v18
	v_mad_u64_u32 v[30:31], s[6:7], v19, s57, 0
	v_mad_u64_u32 v[18:19], s[6:7], v13, s57, 0
	v_xor_b32_e32 v13, v19, v30
	v_xor_b32_e32 v13, v23, v13
	v_cmp_lt_i32_e32 vcc, 1, v36
                                        ; implicit-def: $vgpr27
	s_and_saveexec_b64 s[6:7], vcc
	s_xor_b64 s[6:7], exec, s[6:7]
	s_cbranch_execz .LBB78_19
; %bb.14:                               ;   in Loop: Header=BB78_3 Depth=1
	v_cmp_lt_i32_e32 vcc, 2, v36
                                        ; implicit-def: $vgpr27
	s_and_saveexec_b64 s[42:43], vcc
	s_xor_b64 s[42:43], exec, s[42:43]
; %bb.15:                               ;   in Loop: Header=BB78_3 Depth=1
	v_xor_b32_e32 v19, v38, v31
	v_xor_b32_e32 v19, v19, v26
	v_mul_hi_u32 v19, v19, s62
	v_xor_b32_e32 v19, v19, v28
	v_xor_b32_e32 v27, v39, v19
                                        ; implicit-def: $vgpr37
; %bb.16:                               ;   in Loop: Header=BB78_3 Depth=1
	s_andn2_saveexec_b64 s[42:43], s[42:43]
; %bb.17:                               ;   in Loop: Header=BB78_3 Depth=1
	v_mov_b32_e32 v27, v18
	v_mov_b32_e32 v18, v13
	;; [unrolled: 1-line block ×4, first 2 shown]
; %bb.18:                               ;   in Loop: Header=BB78_3 Depth=1
	s_or_b64 exec, exec, s[42:43]
                                        ; implicit-def: $vgpr20_vgpr21
                                        ; implicit-def: $vgpr22_vgpr23
                                        ; implicit-def: $vgpr36
                                        ; implicit-def: $vgpr37
                                        ; implicit-def: $vgpr24_vgpr25
                                        ; implicit-def: $vgpr21
                                        ; implicit-def: $vgpr23
.LBB78_19:                              ;   in Loop: Header=BB78_3 Depth=1
	s_andn2_saveexec_b64 s[6:7], s[6:7]
	s_cbranch_execz .LBB78_23
; %bb.20:                               ;   in Loop: Header=BB78_3 Depth=1
	v_xor_b32_e32 v18, v21, v25
	v_xor_b32_e32 v18, v18, v20
	v_mad_u64_u32 v[20:21], s[42:43], v18, s57, 0
	v_xor_b32_e32 v18, v21, v22
	v_xor_b32_e32 v19, v23, v18
	v_cmp_eq_u32_e32 vcc, 1, v36
	v_mov_b32_e32 v27, v12
	v_mov_b32_e32 v18, v37
	;; [unrolled: 1-line block ×3, first 2 shown]
	s_and_saveexec_b64 s[42:43], vcc
; %bb.21:                               ;   in Loop: Header=BB78_3 Depth=1
	v_mov_b32_e32 v27, v13
	v_mov_b32_e32 v18, v12
	;; [unrolled: 1-line block ×4, first 2 shown]
; %bb.22:                               ;   in Loop: Header=BB78_3 Depth=1
	s_or_b64 exec, exec, s[42:43]
	v_mov_b32_e32 v12, v19
	v_mov_b32_e32 v13, v21
.LBB78_23:                              ;   in Loop: Header=BB78_3 Depth=1
	s_or_b64 exec, exec, s[6:7]
	v_min_i32_e32 v19, 4, v7
	v_cmp_lt_i32_e32 vcc, 2, v19
	s_mov_b64 s[42:43], 0
	s_mov_b64 s[54:55], 0
                                        ; implicit-def: $sgpr6_sgpr7
                                        ; implicit-def: $sgpr44_sgpr45
                                        ; implicit-def: $sgpr46_sgpr47
	s_and_saveexec_b64 s[48:49], vcc
	s_xor_b64 s[48:49], exec, s[48:49]
	s_cbranch_execz .LBB78_33
; %bb.24:                               ;   in Loop: Header=BB78_3 Depth=1
	v_cmp_lt_i32_e32 vcc, 3, v19
	s_mov_b64 s[6:7], -1
                                        ; implicit-def: $sgpr44_sgpr45
                                        ; implicit-def: $sgpr50_sgpr51
	s_and_saveexec_b64 s[46:47], vcc
	s_cbranch_execz .LBB78_28
; %bb.25:                               ;   in Loop: Header=BB78_3 Depth=1
	s_waitcnt vmcnt(0)
	v_cmp_le_f32_e32 vcc, 0, v4
	v_cmp_ge_f32_e64 s[6:7], 1.0, v4
	s_and_b64 s[52:53], vcc, s[6:7]
	s_mov_b64 s[44:45], 0
	s_mov_b64 s[6:7], 0
	s_and_saveexec_b64 s[50:51], s[52:53]
	s_cbranch_execz .LBB78_27
; %bb.26:                               ;   in Loop: Header=BB78_3 Depth=1
	v_cvt_f32_u32_e32 v20, v27
	v_mov_b32_e32 v21, 0x2f800000
	v_lshlrev_b64 v[16:17], 2, v[16:17]
	v_add_co_u32_e32 v16, vcc, s12, v16
	v_fmac_f32_e32 v21, 0x2f800000, v20
	v_mov_b32_e32 v20, s13
	v_addc_co_u32_e32 v17, vcc, v20, v17, vcc
	v_cmp_le_f32_e32 vcc, v21, v4
	s_mov_b64 s[6:7], exec
	v_cndmask_b32_e64 v4, 0, 1.0, vcc
	global_store_dword v[16:17], v4, off
.LBB78_27:                              ;   in Loop: Header=BB78_3 Depth=1
	s_or_b64 exec, exec, s[50:51]
	s_mov_b64 s[50:51], -1
	s_orn2_b64 s[6:7], s[6:7], exec
.LBB78_28:                              ;   in Loop: Header=BB78_3 Depth=1
	s_or_b64 exec, exec, s[46:47]
	s_mov_b64 s[52:53], 0
	s_mov_b64 s[54:55], s[44:45]
	s_and_saveexec_b64 s[46:47], s[6:7]
	s_cbranch_execz .LBB78_32
; %bb.29:                               ;   in Loop: Header=BB78_3 Depth=1
	v_lshlrev_b64 v[14:15], 2, v[14:15]
	s_waitcnt vmcnt(0)
	v_mov_b32_e32 v4, s15
	v_add_co_u32_e32 v14, vcc, s14, v14
	v_addc_co_u32_e32 v15, vcc, v4, v15, vcc
	global_load_dword v14, v[14:15], off
	s_waitcnt vmcnt(0)
	v_cmp_le_f32_e32 vcc, 0, v14
	v_cmp_ge_f32_e64 s[6:7], 1.0, v14
	s_and_b64 s[52:53], vcc, s[6:7]
	s_mov_b64 s[6:7], 0
	s_and_saveexec_b64 s[54:55], s[52:53]
	s_xor_b64 s[52:53], exec, s[54:55]
	s_cbranch_execz .LBB78_31
; %bb.30:                               ;   in Loop: Header=BB78_3 Depth=1
	v_cvt_f32_u32_e32 v4, v18
	v_mov_b32_e32 v15, 0x2f800000
	v_add_u32_e32 v16, s58, v34
	s_mov_b64 s[6:7], exec
	v_fmac_f32_e32 v15, 0x2f800000, v4
	v_cndmask_b32_e64 v4, 0, v16, s[4:5]
	v_lshlrev_b64 v[16:17], 2, v[4:5]
	v_mov_b32_e32 v4, s13
	v_add_co_u32_e32 v16, vcc, s12, v16
	v_addc_co_u32_e32 v17, vcc, v4, v17, vcc
	v_cmp_le_f32_e32 vcc, v15, v14
	v_cndmask_b32_e64 v4, 0, 1.0, vcc
	global_store_dword v[16:17], v4, off
.LBB78_31:                              ;   in Loop: Header=BB78_3 Depth=1
	s_or_b64 exec, exec, s[52:53]
	s_andn2_b64 s[54:55], s[44:45], exec
	s_or_b64 s[44:45], s[44:45], exec
	s_andn2_b64 s[50:51], s[50:51], exec
	s_and_b64 s[52:53], s[6:7], exec
.LBB78_32:                              ;   in Loop: Header=BB78_3 Depth=1
	s_or_b64 exec, exec, s[46:47]
	s_and_b64 s[46:47], s[54:55], exec
	s_and_b64 s[44:45], s[44:45], exec
	;; [unrolled: 1-line block ×4, first 2 shown]
.LBB78_33:                              ;   in Loop: Header=BB78_3 Depth=1
	s_andn2_saveexec_b64 s[4:5], s[48:49]
; %bb.34:                               ;   in Loop: Header=BB78_3 Depth=1
	v_cmp_lt_i32_e32 vcc, 1, v19
	s_andn2_b64 s[48:49], s[54:55], exec
	s_and_b64 s[50:51], vcc, exec
	s_mov_b64 s[42:43], exec
	s_andn2_b64 s[46:47], s[46:47], exec
	s_andn2_b64 s[44:45], s[44:45], exec
	;; [unrolled: 1-line block ×3, first 2 shown]
	s_or_b64 s[54:55], s[48:49], s[50:51]
; %bb.35:                               ;   in Loop: Header=BB78_3 Depth=1
	s_or_b64 exec, exec, s[4:5]
	s_mov_b64 s[48:49], 0
	s_mov_b64 s[50:51], 0
	;; [unrolled: 1-line block ×3, first 2 shown]
	s_and_saveexec_b64 s[52:53], s[54:55]
	s_cbranch_execnz .LBB78_38
; %bb.36:                               ;   in Loop: Header=BB78_3 Depth=1
	s_or_b64 exec, exec, s[52:53]
	s_and_saveexec_b64 s[2:3], s[42:43]
	s_cbranch_execnz .LBB78_41
.LBB78_37:                              ;   in Loop: Header=BB78_3 Depth=1
	s_or_b64 exec, exec, s[2:3]
	s_and_saveexec_b64 s[42:43], s[50:51]
	s_cbranch_execnz .LBB78_42
	s_branch .LBB78_45
.LBB78_38:                              ;   in Loop: Header=BB78_3 Depth=1
	v_lshlrev_b64 v[10:11], 2, v[10:11]
	s_waitcnt vmcnt(0)
	v_mov_b32_e32 v4, s15
	v_add_co_u32_e32 v10, vcc, s14, v10
	v_addc_co_u32_e32 v11, vcc, v4, v11, vcc
	global_load_dword v10, v[10:11], off
	s_waitcnt vmcnt(0)
	v_cmp_le_f32_e32 vcc, 0, v10
	v_cmp_ge_f32_e64 s[4:5], 1.0, v10
	s_and_b64 s[4:5], vcc, s[4:5]
	s_and_saveexec_b64 s[54:55], s[4:5]
	s_xor_b64 s[4:5], exec, s[54:55]
	s_cbranch_execz .LBB78_40
; %bb.39:                               ;   in Loop: Header=BB78_3 Depth=1
	v_cvt_f32_u32_e32 v4, v13
	v_mov_b32_e32 v11, 0x2f800000
	v_add_u32_e32 v13, s58, v33
	s_mov_b64 s[50:51], exec
	v_fmac_f32_e32 v11, 0x2f800000, v4
	v_cndmask_b32_e64 v4, 0, v13, s[2:3]
	v_lshlrev_b64 v[14:15], 2, v[4:5]
	v_mov_b32_e32 v4, s13
	v_add_co_u32_e32 v14, vcc, s12, v14
	v_addc_co_u32_e32 v15, vcc, v4, v15, vcc
	v_cmp_le_f32_e32 vcc, v11, v10
	v_cndmask_b32_e64 v4, 0, 1.0, vcc
	global_store_dword v[14:15], v4, off
.LBB78_40:                              ;   in Loop: Header=BB78_3 Depth=1
	s_or_b64 exec, exec, s[4:5]
	s_andn2_b64 s[4:5], s[46:47], exec
	s_or_b64 s[46:47], s[46:47], exec
	s_andn2_b64 s[44:45], s[44:45], exec
	s_andn2_b64 s[6:7], s[6:7], exec
	s_and_b64 s[50:51], s[50:51], exec
	s_andn2_b64 s[42:43], s[42:43], exec
	s_or_b64 exec, exec, s[52:53]
	s_and_saveexec_b64 s[2:3], s[42:43]
	s_cbranch_execz .LBB78_37
.LBB78_41:                              ;   in Loop: Header=BB78_3 Depth=1
	v_cmp_eq_u32_e32 vcc, 1, v19
	s_andn2_b64 s[42:43], s[50:51], exec
	s_and_b64 s[50:51], vcc, exec
	s_mov_b64 s[48:49], exec
	s_andn2_b64 s[4:5], s[4:5], exec
	s_andn2_b64 s[46:47], s[46:47], exec
	;; [unrolled: 1-line block ×4, first 2 shown]
	s_or_b64 s[50:51], s[42:43], s[50:51]
	s_or_b64 exec, exec, s[2:3]
	s_and_saveexec_b64 s[42:43], s[50:51]
	s_cbranch_execz .LBB78_45
.LBB78_42:                              ;   in Loop: Header=BB78_3 Depth=1
	v_lshlrev_b64 v[8:9], 2, v[8:9]
	s_waitcnt vmcnt(0)
	v_mov_b32_e32 v4, s15
	v_add_co_u32_e32 v8, vcc, s14, v8
	v_addc_co_u32_e32 v9, vcc, v4, v9, vcc
	global_load_dword v8, v[8:9], off
	s_waitcnt vmcnt(0)
	v_cmp_le_f32_e32 vcc, 0, v8
	v_cmp_ge_f32_e64 s[2:3], 1.0, v8
	s_and_b64 s[52:53], vcc, s[2:3]
	s_mov_b64 s[2:3], 0
	s_and_saveexec_b64 s[50:51], s[52:53]
	s_cbranch_execz .LBB78_44
; %bb.43:                               ;   in Loop: Header=BB78_3 Depth=1
	v_cvt_f32_u32_e32 v4, v12
	v_mov_b32_e32 v9, 0x2f800000
	v_add_u32_e32 v10, s58, v32
	s_mov_b64 s[2:3], exec
	v_fmac_f32_e32 v9, 0x2f800000, v4
	v_cndmask_b32_e64 v4, 0, v10, s[0:1]
	v_lshlrev_b64 v[10:11], 2, v[4:5]
	v_mov_b32_e32 v4, s13
	v_add_co_u32_e32 v10, vcc, s12, v10
	v_addc_co_u32_e32 v11, vcc, v4, v11, vcc
	v_cmp_le_f32_e32 vcc, v9, v8
	v_cndmask_b32_e64 v4, 0, 1.0, vcc
	global_store_dword v[10:11], v4, off
.LBB78_44:                              ;   in Loop: Header=BB78_3 Depth=1
	s_or_b64 exec, exec, s[50:51]
	s_andn2_b64 s[0:1], s[48:49], exec
	s_and_b64 s[2:3], s[2:3], exec
	s_or_b64 s[4:5], s[4:5], exec
	s_andn2_b64 s[46:47], s[46:47], exec
	s_andn2_b64 s[44:45], s[44:45], exec
	;; [unrolled: 1-line block ×3, first 2 shown]
	s_or_b64 s[48:49], s[0:1], s[2:3]
.LBB78_45:                              ;   in Loop: Header=BB78_3 Depth=1
	s_or_b64 exec, exec, s[42:43]
	s_andn2_b64 s[2:3], s[40:41], exec
	s_and_b64 s[4:5], s[4:5], exec
	s_or_b64 s[40:41], s[2:3], s[4:5]
	s_andn2_b64 s[2:3], s[38:39], exec
	s_and_b64 s[4:5], s[46:47], exec
	s_or_b64 s[38:39], s[2:3], s[4:5]
	;; [unrolled: 3-line block ×3, first 2 shown]
	s_andn2_b64 s[2:3], s[34:35], exec
	s_and_b64 s[4:5], s[6:7], exec
	s_mov_b64 s[0:1], -1
	s_or_b64 s[34:35], s[2:3], s[4:5]
	s_and_saveexec_b64 s[2:3], s[48:49]
	s_cbranch_execz .LBB78_2
; %bb.46:                               ;   in Loop: Header=BB78_3 Depth=1
	v_add_u32_e32 v0, s59, v0
	v_cmp_le_u32_e32 vcc, s33, v0
	v_subrev_u32_e32 v7, s59, v7
	s_add_i32 s58, s58, s61
	s_andn2_b64 s[40:41], s[40:41], exec
	s_andn2_b64 s[38:39], s[38:39], exec
	;; [unrolled: 1-line block ×4, first 2 shown]
	s_orn2_b64 s[0:1], vcc, exec
	s_branch .LBB78_2
.LBB78_47:
	s_or_b64 exec, exec, s[24:25]
	s_xor_b64 s[6:7], s[30:31], -1
	s_xor_b64 s[8:9], s[28:29], -1
	;; [unrolled: 1-line block ×3, first 2 shown]
	s_mov_b64 s[2:3], 0
	s_and_saveexec_b64 s[4:5], s[0:1]
	s_xor_b64 s[0:1], exec, s[4:5]
	s_cbranch_execnz .LBB78_52
; %bb.48:
	s_andn2_saveexec_b64 s[0:1], s[0:1]
	s_cbranch_execnz .LBB78_60
.LBB78_49:
	s_or_b64 exec, exec, s[0:1]
	s_and_b64 exec, exec, s[2:3]
.LBB78_50:
	; divergent unreachable
.LBB78_51:
	s_endpgm
.LBB78_52:
	s_mov_b64 s[4:5], 0
	s_and_saveexec_b64 s[2:3], s[8:9]
	s_xor_b64 s[2:3], exec, s[2:3]
	s_cbranch_execz .LBB78_58
; %bb.53:
	s_and_saveexec_b64 s[8:9], s[6:7]
	s_xor_b64 s[6:7], exec, s[8:9]
	s_cbranch_execz .LBB78_56
; %bb.54:
	s_and_saveexec_b64 s[8:9], s[20:21]
	s_xor_b64 s[8:9], exec, s[8:9]
	s_cbranch_execnz .LBB78_63
.LBB78_55:
	s_or_b64 exec, exec, s[8:9]
	s_and_b64 s[4:5], s[4:5], exec
.LBB78_56:
	s_andn2_saveexec_b64 s[6:7], s[6:7]
	s_cbranch_execnz .LBB78_62
.LBB78_57:
	s_or_b64 exec, exec, s[6:7]
	s_and_b64 s[4:5], s[4:5], exec
.LBB78_58:
	s_andn2_saveexec_b64 s[2:3], s[2:3]
	s_cbranch_execnz .LBB78_61
.LBB78_59:
	s_or_b64 exec, exec, s[2:3]
	s_and_b64 s[2:3], s[4:5], exec
	s_andn2_saveexec_b64 s[0:1], s[0:1]
	s_cbranch_execz .LBB78_49
.LBB78_60:
	s_or_b64 s[2:3], s[2:3], exec
	s_trap 2
	s_or_b64 exec, exec, s[0:1]
	s_and_b64 exec, exec, s[2:3]
	s_cbranch_execnz .LBB78_50
	s_branch .LBB78_51
.LBB78_61:
	s_or_b64 s[4:5], s[4:5], exec
	s_trap 2
	s_branch .LBB78_59
.LBB78_62:
	s_trap 2
	s_or_b64 s[4:5], s[4:5], exec
	s_branch .LBB78_57
.LBB78_63:
	s_mov_b64 s[4:5], exec
	s_trap 2
	s_branch .LBB78_55
	.section	.rodata,"a",@progbits
	.p2align	6, 0x0
	.amdhsa_kernel _ZN2at4cuda12_GLOBAL__N_121kernelPointwiseApply2IZNS_6native9templates4cuda28bernoulli_tensor_cuda_kernelIffEEvRKNS_10TensorBaseES9_NS_15PhiloxCudaStateEEUliRfSB_SB_SB_RKfSD_SD_SD_E_fSC_jLi1ELi2ELi4ELi512ELi2EEEvNS0_6detail10TensorInfoIT0_T2_EENSG_IT1_SI_EESI_T_
		.amdhsa_group_segment_fixed_size 0
		.amdhsa_private_segment_fixed_size 0
		.amdhsa_kernarg_size 728
		.amdhsa_user_sgpr_count 6
		.amdhsa_user_sgpr_private_segment_buffer 1
		.amdhsa_user_sgpr_dispatch_ptr 0
		.amdhsa_user_sgpr_queue_ptr 0
		.amdhsa_user_sgpr_kernarg_segment_ptr 1
		.amdhsa_user_sgpr_dispatch_id 0
		.amdhsa_user_sgpr_flat_scratch_init 0
		.amdhsa_user_sgpr_kernarg_preload_length 0
		.amdhsa_user_sgpr_kernarg_preload_offset 0
		.amdhsa_user_sgpr_private_segment_size 0
		.amdhsa_uses_dynamic_stack 0
		.amdhsa_system_sgpr_private_segment_wavefront_offset 0
		.amdhsa_system_sgpr_workgroup_id_x 1
		.amdhsa_system_sgpr_workgroup_id_y 0
		.amdhsa_system_sgpr_workgroup_id_z 0
		.amdhsa_system_sgpr_workgroup_info 0
		.amdhsa_system_vgpr_workitem_id 0
		.amdhsa_next_free_vgpr 54
		.amdhsa_next_free_sgpr 64
		.amdhsa_accum_offset 56
		.amdhsa_reserve_vcc 1
		.amdhsa_reserve_flat_scratch 0
		.amdhsa_float_round_mode_32 0
		.amdhsa_float_round_mode_16_64 0
		.amdhsa_float_denorm_mode_32 3
		.amdhsa_float_denorm_mode_16_64 3
		.amdhsa_dx10_clamp 1
		.amdhsa_ieee_mode 1
		.amdhsa_fp16_overflow 0
		.amdhsa_tg_split 0
		.amdhsa_exception_fp_ieee_invalid_op 0
		.amdhsa_exception_fp_denorm_src 0
		.amdhsa_exception_fp_ieee_div_zero 0
		.amdhsa_exception_fp_ieee_overflow 0
		.amdhsa_exception_fp_ieee_underflow 0
		.amdhsa_exception_fp_ieee_inexact 0
		.amdhsa_exception_int_div_zero 0
	.end_amdhsa_kernel
	.section	.text._ZN2at4cuda12_GLOBAL__N_121kernelPointwiseApply2IZNS_6native9templates4cuda28bernoulli_tensor_cuda_kernelIffEEvRKNS_10TensorBaseES9_NS_15PhiloxCudaStateEEUliRfSB_SB_SB_RKfSD_SD_SD_E_fSC_jLi1ELi2ELi4ELi512ELi2EEEvNS0_6detail10TensorInfoIT0_T2_EENSG_IT1_SI_EESI_T_,"axG",@progbits,_ZN2at4cuda12_GLOBAL__N_121kernelPointwiseApply2IZNS_6native9templates4cuda28bernoulli_tensor_cuda_kernelIffEEvRKNS_10TensorBaseES9_NS_15PhiloxCudaStateEEUliRfSB_SB_SB_RKfSD_SD_SD_E_fSC_jLi1ELi2ELi4ELi512ELi2EEEvNS0_6detail10TensorInfoIT0_T2_EENSG_IT1_SI_EESI_T_,comdat
.Lfunc_end78:
	.size	_ZN2at4cuda12_GLOBAL__N_121kernelPointwiseApply2IZNS_6native9templates4cuda28bernoulli_tensor_cuda_kernelIffEEvRKNS_10TensorBaseES9_NS_15PhiloxCudaStateEEUliRfSB_SB_SB_RKfSD_SD_SD_E_fSC_jLi1ELi2ELi4ELi512ELi2EEEvNS0_6detail10TensorInfoIT0_T2_EENSG_IT1_SI_EESI_T_, .Lfunc_end78-_ZN2at4cuda12_GLOBAL__N_121kernelPointwiseApply2IZNS_6native9templates4cuda28bernoulli_tensor_cuda_kernelIffEEvRKNS_10TensorBaseES9_NS_15PhiloxCudaStateEEUliRfSB_SB_SB_RKfSD_SD_SD_E_fSC_jLi1ELi2ELi4ELi512ELi2EEEvNS0_6detail10TensorInfoIT0_T2_EENSG_IT1_SI_EESI_T_
                                        ; -- End function
	.section	.AMDGPU.csdata,"",@progbits
; Kernel info:
; codeLenInByte = 3044
; NumSgprs: 68
; NumVgprs: 54
; NumAgprs: 0
; TotalNumVgprs: 54
; ScratchSize: 0
; MemoryBound: 0
; FloatMode: 240
; IeeeMode: 1
; LDSByteSize: 0 bytes/workgroup (compile time only)
; SGPRBlocks: 8
; VGPRBlocks: 6
; NumSGPRsForWavesPerEU: 68
; NumVGPRsForWavesPerEU: 54
; AccumOffset: 56
; Occupancy: 8
; WaveLimiterHint : 1
; COMPUTE_PGM_RSRC2:SCRATCH_EN: 0
; COMPUTE_PGM_RSRC2:USER_SGPR: 6
; COMPUTE_PGM_RSRC2:TRAP_HANDLER: 0
; COMPUTE_PGM_RSRC2:TGID_X_EN: 1
; COMPUTE_PGM_RSRC2:TGID_Y_EN: 0
; COMPUTE_PGM_RSRC2:TGID_Z_EN: 0
; COMPUTE_PGM_RSRC2:TIDIG_COMP_CNT: 0
; COMPUTE_PGM_RSRC3_GFX90A:ACCUM_OFFSET: 13
; COMPUTE_PGM_RSRC3_GFX90A:TG_SPLIT: 0
	.section	.text._ZN2at4cuda12_GLOBAL__N_121kernelPointwiseApply2IZNS_6native9templates4cuda28bernoulli_tensor_cuda_kernelIffEEvRKNS_10TensorBaseES9_NS_15PhiloxCudaStateEEUliRfSB_SB_SB_RKfSD_SD_SD_E_fSC_jLi1ELin1ELi4ELi512ELi2EEEvNS0_6detail10TensorInfoIT0_T2_EENSG_IT1_SI_EESI_T_,"axG",@progbits,_ZN2at4cuda12_GLOBAL__N_121kernelPointwiseApply2IZNS_6native9templates4cuda28bernoulli_tensor_cuda_kernelIffEEvRKNS_10TensorBaseES9_NS_15PhiloxCudaStateEEUliRfSB_SB_SB_RKfSD_SD_SD_E_fSC_jLi1ELin1ELi4ELi512ELi2EEEvNS0_6detail10TensorInfoIT0_T2_EENSG_IT1_SI_EESI_T_,comdat
	.globl	_ZN2at4cuda12_GLOBAL__N_121kernelPointwiseApply2IZNS_6native9templates4cuda28bernoulli_tensor_cuda_kernelIffEEvRKNS_10TensorBaseES9_NS_15PhiloxCudaStateEEUliRfSB_SB_SB_RKfSD_SD_SD_E_fSC_jLi1ELin1ELi4ELi512ELi2EEEvNS0_6detail10TensorInfoIT0_T2_EENSG_IT1_SI_EESI_T_ ; -- Begin function _ZN2at4cuda12_GLOBAL__N_121kernelPointwiseApply2IZNS_6native9templates4cuda28bernoulli_tensor_cuda_kernelIffEEvRKNS_10TensorBaseES9_NS_15PhiloxCudaStateEEUliRfSB_SB_SB_RKfSD_SD_SD_E_fSC_jLi1ELin1ELi4ELi512ELi2EEEvNS0_6detail10TensorInfoIT0_T2_EENSG_IT1_SI_EESI_T_
	.p2align	8
	.type	_ZN2at4cuda12_GLOBAL__N_121kernelPointwiseApply2IZNS_6native9templates4cuda28bernoulli_tensor_cuda_kernelIffEEvRKNS_10TensorBaseES9_NS_15PhiloxCudaStateEEUliRfSB_SB_SB_RKfSD_SD_SD_E_fSC_jLi1ELin1ELi4ELi512ELi2EEEvNS0_6detail10TensorInfoIT0_T2_EENSG_IT1_SI_EESI_T_,@function
_ZN2at4cuda12_GLOBAL__N_121kernelPointwiseApply2IZNS_6native9templates4cuda28bernoulli_tensor_cuda_kernelIffEEvRKNS_10TensorBaseES9_NS_15PhiloxCudaStateEEUliRfSB_SB_SB_RKfSD_SD_SD_E_fSC_jLi1ELin1ELi4ELi512ELi2EEEvNS0_6detail10TensorInfoIT0_T2_EENSG_IT1_SI_EESI_T_: ; @_ZN2at4cuda12_GLOBAL__N_121kernelPointwiseApply2IZNS_6native9templates4cuda28bernoulli_tensor_cuda_kernelIffEEvRKNS_10TensorBaseES9_NS_15PhiloxCudaStateEEUliRfSB_SB_SB_RKfSD_SD_SD_E_fSC_jLi1ELin1ELi4ELi512ELi2EEEvNS0_6detail10TensorInfoIT0_T2_EENSG_IT1_SI_EESI_T_
; %bb.0:
	s_load_dword s2, s[4:5], 0x1e4
	s_load_dword s33, s[4:5], 0x1b0
	s_add_u32 s0, s4, 0x1d8
	s_addc_u32 s1, s5, 0
	s_waitcnt lgkmcnt(0)
	s_and_b32 s2, s2, 0xffff
	s_mul_i32 s6, s6, s2
	v_add_u32_e32 v5, s6, v0
	v_lshlrev_b32_e32 v28, 2, v5
	v_cmp_gt_u32_e32 vcc, s33, v28
	s_and_saveexec_b64 s[6:7], vcc
	s_cbranch_execz .LBB79_65
; %bb.1:
	s_load_dword s3, s[0:1], 0x0
	s_load_dwordx4 s[12:15], s[4:5], 0x1b8
	s_load_dword s8, s[4:5], 0x1a8
	s_load_dwordx2 s[10:11], s[4:5], 0x0
	s_load_dword s60, s[4:5], 0x6c
	s_waitcnt lgkmcnt(0)
	s_mul_i32 s9, s3, s2
	s_load_dwordx2 s[16:17], s[4:5], 0x1c8
	s_load_dword s2, s[4:5], 0x1d0
	s_add_u32 s6, s4, 0xd8
	s_addc_u32 s7, s5, 0
	s_cmp_gt_i32 s8, 1
	s_mov_b32 s62, 0xcd9e8d57
	s_cselect_b64 s[0:1], -1, 0
	s_waitcnt lgkmcnt(0)
	s_bitcmp1_b32 s2, 0
	v_mad_u64_u32 v[0:1], s[2:3], v5, s62, 0
	s_cselect_b64 s[22:23], -1, 0
	s_add_i32 s2, s8, -1
	s_mov_b32 s3, 0
	s_load_dword s61, s[4:5], 0x144
	s_load_dwordx2 s[18:19], s[4:5], 0xd8
	s_lshl_b32 s63, s9, 2
	s_add_i32 s64, s8, 1
	s_lshl_b64 s[2:3], s[2:3], 2
	s_add_u32 s2, s2, s6
	s_addc_u32 s3, s3, s7
	v_mov_b32_e32 v4, v1
	s_add_u32 s24, s2, 8
	v_cndmask_b32_e64 v1, 0, 1, s[0:1]
	v_mov_b32_e32 v3, 0
	s_addc_u32 s25, s3, 0
	s_mov_b64 s[26:27], 0
	s_mov_b32 s65, 0xd2511f53
	v_cmp_ne_u32_e64 s[0:1], 1, v1
	s_mov_b32 s66, 0xf1bbcdc8
                                        ; implicit-def: $sgpr28_sgpr29
                                        ; implicit-def: $sgpr30_sgpr31
                                        ; implicit-def: $sgpr34_sgpr35
                                        ; implicit-def: $sgpr20_sgpr21
                                        ; implicit-def: $sgpr36_sgpr37
                                        ; implicit-def: $sgpr38_sgpr39
                                        ; implicit-def: $sgpr40_sgpr41
                                        ; implicit-def: $sgpr42_sgpr43
	s_branch .LBB79_3
.LBB79_2:                               ;   in Loop: Header=BB79_3 Depth=1
	s_or_b64 exec, exec, s[4:5]
	s_and_b64 s[2:3], exec, s[2:3]
	s_or_b64 s[26:27], s[2:3], s[26:27]
	s_andn2_b64 s[2:3], s[20:21], exec
	s_and_b64 s[4:5], s[42:43], exec
	s_or_b64 s[20:21], s[2:3], s[4:5]
	s_andn2_b64 s[2:3], s[34:35], exec
	s_and_b64 s[4:5], s[40:41], exec
	;; [unrolled: 3-line block ×4, first 2 shown]
	s_or_b64 s[28:29], s[2:3], s[4:5]
	s_andn2_b64 exec, exec, s[26:27]
	s_cbranch_execz .LBB79_61
.LBB79_3:                               ; =>This Loop Header: Depth=1
                                        ;     Child Loop BB79_6 Depth 2
                                        ;     Child Loop BB79_11 Depth 2
	;; [unrolled: 1-line block ×4, first 2 shown]
	v_sub_u32_e32 v29, s33, v28
	v_cmp_lt_i32_e64 s[2:3], 0, v29
	v_mov_b32_e32 v2, 0
	s_and_saveexec_b64 s[4:5], s[2:3]
	s_cbranch_execz .LBB79_8
; %bb.4:                                ;   in Loop: Header=BB79_3 Depth=1
	s_and_b64 vcc, exec, s[0:1]
	v_mov_b32_e32 v6, 0
	v_mov_b32_e32 v1, v28
	s_cbranch_vccnz .LBB79_7
; %bb.5:                                ;   in Loop: Header=BB79_3 Depth=1
	v_mov_b32_e32 v6, 0
	s_mov_b64 s[6:7], s[24:25]
	s_mov_b32 s8, s64
	v_mov_b32_e32 v1, v28
.LBB79_6:                               ;   Parent Loop BB79_3 Depth=1
                                        ; =>  This Inner Loop Header: Depth=2
	s_load_dword s9, s[6:7], 0x0
	s_load_dword s44, s[6:7], 0x64
	v_mov_b32_e32 v2, v1
	s_add_i32 s8, s8, -1
	s_waitcnt lgkmcnt(0)
	v_cvt_f32_u32_e32 v1, s9
	s_sub_i32 s45, 0, s9
	s_add_u32 s6, s6, -4
	s_addc_u32 s7, s7, -1
	v_rcp_iflag_f32_e32 v1, v1
	s_cmp_gt_u32 s8, 2
	v_mul_f32_e32 v1, 0x4f7ffffe, v1
	v_cvt_u32_f32_e32 v1, v1
	v_mul_lo_u32 v7, s45, v1
	v_mul_hi_u32 v7, v1, v7
	v_add_u32_e32 v1, v1, v7
	v_mul_hi_u32 v1, v2, v1
	v_mul_lo_u32 v7, v1, s9
	v_sub_u32_e32 v7, v2, v7
	v_add_u32_e32 v8, 1, v1
	v_cmp_le_u32_e32 vcc, s9, v7
	v_cndmask_b32_e32 v1, v1, v8, vcc
	v_subrev_u32_e32 v8, s9, v7
	v_cndmask_b32_e32 v7, v7, v8, vcc
	v_add_u32_e32 v8, 1, v1
	v_cmp_le_u32_e32 vcc, s9, v7
	v_cndmask_b32_e32 v1, v1, v8, vcc
	v_mul_lo_u32 v7, v1, s9
	v_sub_u32_e32 v2, v2, v7
	v_mad_u64_u32 v[6:7], s[44:45], s44, v2, v[6:7]
	s_cbranch_scc1 .LBB79_6
.LBB79_7:                               ;   in Loop: Header=BB79_3 Depth=1
	s_waitcnt lgkmcnt(0)
	v_mad_u64_u32 v[6:7], s[6:7], s61, v1, v[6:7]
	v_mov_b32_e32 v2, v6
.LBB79_8:                               ;   in Loop: Header=BB79_3 Depth=1
	s_or_b64 exec, exec, s[4:5]
	v_cmp_lt_i32_e64 s[4:5], 1, v29
	v_pk_mov_b32 v[6:7], 0, 0
	s_and_saveexec_b64 s[6:7], s[4:5]
	s_cbranch_execz .LBB79_13
; %bb.9:                                ;   in Loop: Header=BB79_3 Depth=1
	v_or_b32_e32 v1, 1, v28
	s_and_b64 vcc, exec, s[0:1]
	v_mov_b32_e32 v6, 0
	s_cbranch_vccnz .LBB79_12
; %bb.10:                               ;   in Loop: Header=BB79_3 Depth=1
	v_mov_b32_e32 v6, 0
	s_mov_b64 s[8:9], s[24:25]
	s_mov_b32 s44, s64
.LBB79_11:                              ;   Parent Loop BB79_3 Depth=1
                                        ; =>  This Inner Loop Header: Depth=2
	s_load_dword s45, s[8:9], 0x0
	s_load_dword s46, s[8:9], 0x64
	v_mov_b32_e32 v7, v1
	s_add_i32 s44, s44, -1
	s_waitcnt lgkmcnt(0)
	v_cvt_f32_u32_e32 v1, s45
	s_sub_i32 s47, 0, s45
	s_add_u32 s8, s8, -4
	s_addc_u32 s9, s9, -1
	v_rcp_iflag_f32_e32 v1, v1
	s_cmp_gt_u32 s44, 2
	v_mul_f32_e32 v1, 0x4f7ffffe, v1
	v_cvt_u32_f32_e32 v1, v1
	v_mul_lo_u32 v8, s47, v1
	v_mul_hi_u32 v8, v1, v8
	v_add_u32_e32 v1, v1, v8
	v_mul_hi_u32 v1, v7, v1
	v_mul_lo_u32 v8, v1, s45
	v_sub_u32_e32 v8, v7, v8
	v_add_u32_e32 v9, 1, v1
	v_cmp_le_u32_e32 vcc, s45, v8
	v_cndmask_b32_e32 v1, v1, v9, vcc
	v_subrev_u32_e32 v9, s45, v8
	v_cndmask_b32_e32 v8, v8, v9, vcc
	v_add_u32_e32 v9, 1, v1
	v_cmp_le_u32_e32 vcc, s45, v8
	v_cndmask_b32_e32 v1, v1, v9, vcc
	v_mul_lo_u32 v8, v1, s45
	v_sub_u32_e32 v7, v7, v8
	v_mad_u64_u32 v[6:7], s[46:47], s46, v7, v[6:7]
	s_cbranch_scc1 .LBB79_11
.LBB79_12:                              ;   in Loop: Header=BB79_3 Depth=1
	s_waitcnt lgkmcnt(0)
	v_mad_u64_u32 v[6:7], s[8:9], s61, v1, v[6:7]
	v_mov_b32_e32 v7, v3
.LBB79_13:                              ;   in Loop: Header=BB79_3 Depth=1
	s_or_b64 exec, exec, s[6:7]
	v_cmp_lt_i32_e64 s[6:7], 2, v29
	v_pk_mov_b32 v[10:11], 0, 0
	s_and_saveexec_b64 s[8:9], s[6:7]
	s_cbranch_execz .LBB79_18
; %bb.14:                               ;   in Loop: Header=BB79_3 Depth=1
	v_or_b32_e32 v1, 2, v28
	s_and_b64 vcc, exec, s[0:1]
	v_mov_b32_e32 v8, 0
	s_cbranch_vccnz .LBB79_17
; %bb.15:                               ;   in Loop: Header=BB79_3 Depth=1
	v_mov_b32_e32 v8, 0
	s_mov_b64 s[44:45], s[24:25]
	s_mov_b32 s46, s64
.LBB79_16:                              ;   Parent Loop BB79_3 Depth=1
                                        ; =>  This Inner Loop Header: Depth=2
	s_load_dword s47, s[44:45], 0x0
	s_load_dword s48, s[44:45], 0x64
	v_mov_b32_e32 v9, v1
	s_add_i32 s46, s46, -1
	s_waitcnt lgkmcnt(0)
	v_cvt_f32_u32_e32 v1, s47
	s_sub_i32 s49, 0, s47
	s_add_u32 s44, s44, -4
	s_addc_u32 s45, s45, -1
	v_rcp_iflag_f32_e32 v1, v1
	s_cmp_gt_u32 s46, 2
	v_mul_f32_e32 v1, 0x4f7ffffe, v1
	v_cvt_u32_f32_e32 v1, v1
	v_mul_lo_u32 v10, s49, v1
	v_mul_hi_u32 v10, v1, v10
	v_add_u32_e32 v1, v1, v10
	v_mul_hi_u32 v1, v9, v1
	v_mul_lo_u32 v10, v1, s47
	v_sub_u32_e32 v10, v9, v10
	v_add_u32_e32 v11, 1, v1
	v_cmp_le_u32_e32 vcc, s47, v10
	v_cndmask_b32_e32 v1, v1, v11, vcc
	v_subrev_u32_e32 v11, s47, v10
	v_cndmask_b32_e32 v10, v10, v11, vcc
	v_add_u32_e32 v11, 1, v1
	v_cmp_le_u32_e32 vcc, s47, v10
	v_cndmask_b32_e32 v1, v1, v11, vcc
	v_mul_lo_u32 v10, v1, s47
	v_sub_u32_e32 v9, v9, v10
	v_mad_u64_u32 v[8:9], s[48:49], s48, v9, v[8:9]
	s_cbranch_scc1 .LBB79_16
.LBB79_17:                              ;   in Loop: Header=BB79_3 Depth=1
	s_waitcnt lgkmcnt(0)
	v_mad_u64_u32 v[10:11], s[44:45], s61, v1, v[8:9]
	v_mov_b32_e32 v11, v3
.LBB79_18:                              ;   in Loop: Header=BB79_3 Depth=1
	s_or_b64 exec, exec, s[8:9]
	v_mul_lo_u32 v1, v28, s60
	v_add_u32_e32 v30, s60, v1
	v_pk_mov_b32 v[8:9], 0, 0
	v_add_u32_e32 v31, s60, v30
	v_cmp_lt_i32_e32 vcc, 3, v29
	v_pk_mov_b32 v[12:13], v[8:9], v[8:9] op_sel:[0,1]
	s_and_saveexec_b64 s[8:9], vcc
	s_cbranch_execz .LBB79_23
; %bb.19:                               ;   in Loop: Header=BB79_3 Depth=1
	v_or_b32_e32 v14, 3, v28
	s_and_b64 vcc, exec, s[0:1]
	v_mov_b32_e32 v8, 0
	s_cbranch_vccnz .LBB79_22
; %bb.20:                               ;   in Loop: Header=BB79_3 Depth=1
	v_mov_b32_e32 v8, 0
	s_mov_b64 s[44:45], s[24:25]
	s_mov_b32 s46, s64
.LBB79_21:                              ;   Parent Loop BB79_3 Depth=1
                                        ; =>  This Inner Loop Header: Depth=2
	s_load_dword s47, s[44:45], 0x0
	s_load_dword s48, s[44:45], 0x64
	v_mov_b32_e32 v9, v14
	s_add_i32 s46, s46, -1
	s_waitcnt lgkmcnt(0)
	v_cvt_f32_u32_e32 v12, s47
	s_sub_i32 s49, 0, s47
	s_add_u32 s44, s44, -4
	s_addc_u32 s45, s45, -1
	v_rcp_iflag_f32_e32 v12, v12
	s_cmp_gt_u32 s46, 2
	v_mul_f32_e32 v12, 0x4f7ffffe, v12
	v_cvt_u32_f32_e32 v12, v12
	v_mul_lo_u32 v13, s49, v12
	v_mul_hi_u32 v13, v12, v13
	v_add_u32_e32 v12, v12, v13
	v_mul_hi_u32 v12, v9, v12
	v_mul_lo_u32 v13, v12, s47
	v_sub_u32_e32 v13, v9, v13
	v_add_u32_e32 v14, 1, v12
	v_cmp_le_u32_e32 vcc, s47, v13
	v_cndmask_b32_e32 v12, v12, v14, vcc
	v_subrev_u32_e32 v14, s47, v13
	v_cndmask_b32_e32 v13, v13, v14, vcc
	v_add_u32_e32 v14, 1, v12
	v_cmp_le_u32_e32 vcc, s47, v13
	v_cndmask_b32_e32 v14, v12, v14, vcc
	v_mul_lo_u32 v12, v14, s47
	v_sub_u32_e32 v9, v9, v12
	v_mad_u64_u32 v[8:9], s[48:49], s48, v9, v[8:9]
	s_cbranch_scc1 .LBB79_21
.LBB79_22:                              ;   in Loop: Header=BB79_3 Depth=1
	s_waitcnt lgkmcnt(0)
	v_mad_u64_u32 v[8:9], s[44:45], s61, v14, v[8:9]
	v_add_u32_e32 v12, s60, v31
	v_mov_b32_e32 v13, v3
	v_mov_b32_e32 v9, v3
.LBB79_23:                              ;   in Loop: Header=BB79_3 Depth=1
	s_or_b64 exec, exec, s[8:9]
	v_lshlrev_b64 v[8:9], 2, v[8:9]
	s_waitcnt lgkmcnt(0)
	v_mov_b32_e32 v14, s19
	v_add_co_u32_e32 v8, vcc, s18, v8
	v_addc_co_u32_e32 v9, vcc, v14, v9, vcc
	global_load_dword v32, v[8:9], off
	s_andn2_b64 vcc, exec, s[22:23]
	v_pk_mov_b32 v[8:9], s[14:15], s[14:15] op_sel:[0,1]
	v_pk_mov_b32 v[14:15], s[12:13], s[12:13] op_sel:[0,1]
	s_cbranch_vccnz .LBB79_25
; %bb.24:                               ;   in Loop: Header=BB79_3 Depth=1
	v_pk_mov_b32 v[8:9], s[14:15], s[14:15] op_sel:[0,1]
	flat_load_dwordx2 v[8:9], v[8:9]
	v_pk_mov_b32 v[14:15], s[12:13], s[12:13] op_sel:[0,1]
	flat_load_dwordx2 v[14:15], v[14:15]
	v_mov_b32_e32 v16, s17
	s_waitcnt vmcnt(0) lgkmcnt(0)
	v_add_co_u32_e32 v8, vcc, s16, v8
	v_addc_co_u32_e32 v9, vcc, v9, v16, vcc
.LBB79_25:                              ;   in Loop: Header=BB79_3 Depth=1
	v_alignbit_b32 v24, v9, v8, 2
	v_lshrrev_b32_e32 v25, 2, v9
	v_xor_b32_e32 v16, v4, v14
	v_and_b32_e32 v33, 3, v8
	v_mad_u64_u32 v[8:9], s[8:9], v24, s65, 0
	v_xor_b32_e32 v16, v16, v25
	v_xor_b32_e32 v9, v9, v15
	v_add_u32_e32 v38, 0xbb67ae85, v15
	v_mad_u64_u32 v[16:17], s[8:9], v16, s65, 0
	v_mad_u64_u32 v[18:19], s[8:9], v9, s62, 0
	v_xor_b32_e32 v17, v38, v17
	v_add_u32_e32 v37, 0x9e3779b9, v14
	v_xor_b32_e32 v9, v0, v19
	v_xor_b32_e32 v17, v17, v8
	v_xor_b32_e32 v9, v9, v37
	v_add_u32_e32 v39, 0x3c6ef372, v14
	v_mad_u64_u32 v[20:21], s[8:9], v17, s62, 0
	v_add_u32_e32 v40, 0x76cf5d0a, v15
	v_mad_u64_u32 v[8:9], s[8:9], v9, s65, 0
	v_xor_b32_e32 v17, v39, v21
	v_xor_b32_e32 v17, v17, v18
	v_xor_b32_e32 v9, v40, v9
	v_xor_b32_e32 v9, v9, v16
	v_add_u32_e32 v42, 0x32370b8f, v15
	v_mad_u64_u32 v[16:17], s[8:9], v17, s65, 0
	v_add_u32_e32 v41, 0xdaa66d2b, v14
	v_mad_u64_u32 v[18:19], s[8:9], v9, s62, 0
	v_xor_b32_e32 v17, v42, v17
	v_xor_b32_e32 v9, v41, v19
	v_xor_b32_e32 v17, v17, v8
	v_xor_b32_e32 v9, v9, v20
	v_add_u32_e32 v43, 0x78dde6e4, v14
	v_mad_u64_u32 v[20:21], s[8:9], v17, s62, 0
	v_add_u32_e32 v44, 0xed9eba14, v15
	v_mad_u64_u32 v[8:9], s[8:9], v9, s65, 0
	v_xor_b32_e32 v17, v43, v21
	v_xor_b32_e32 v17, v17, v18
	v_xor_b32_e32 v9, v44, v9
	v_xor_b32_e32 v9, v9, v16
	v_add_u32_e32 v46, 0xa9066899, v15
	v_mad_u64_u32 v[16:17], s[8:9], v17, s65, 0
	v_add_u32_e32 v45, 0x1715609d, v14
	v_mad_u64_u32 v[18:19], s[8:9], v9, s62, 0
	v_xor_b32_e32 v17, v46, v17
	v_xor_b32_e32 v9, v45, v19
	v_xor_b32_e32 v17, v17, v8
	v_xor_b32_e32 v9, v9, v20
	v_add_u32_e32 v47, 0xb54cda56, v14
	v_mad_u64_u32 v[20:21], s[8:9], v17, s62, 0
	v_add_u32_e32 v48, 0x646e171e, v15
	v_mad_u64_u32 v[8:9], s[8:9], v9, s65, 0
	v_xor_b32_e32 v17, v47, v21
	v_xor_b32_e32 v17, v17, v18
	v_xor_b32_e32 v9, v48, v9
	;; [unrolled: 1-line block ×3, first 2 shown]
	v_add_u32_e32 v50, 0x1fd5c5a3, v15
	v_mad_u64_u32 v[16:17], s[8:9], v17, s65, 0
	v_xor_b32_e32 v17, v50, v17
	v_xor_b32_e32 v8, v17, v8
	v_add_u32_e32 v49, 0x5384540f, v14
	v_mad_u64_u32 v[22:23], s[8:9], v9, s62, 0
	v_add_co_u32_e32 v35, vcc, s66, v14
	v_mad_u64_u32 v[18:19], s[8:9], v8, s62, 0
	v_xor_b32_e32 v9, v49, v23
	v_xor_b32_e32 v8, v35, v19
	;; [unrolled: 1-line block ×4, first 2 shown]
	v_mad_u64_u32 v[20:21], s[8:9], v9, s65, 0
	v_mad_u64_u32 v[8:9], s[8:9], v8, s65, 0
	v_add_u32_e32 v36, 0x96a522ad, v15
	v_xor_b32_e32 v9, v9, v20
	v_xor_b32_e32 v34, v36, v9
	v_add_co_u32_e32 v9, vcc, 1, v24
	v_cndmask_b32_e64 v20, 0, 1, vcc
	v_addc_co_u32_e32 v26, vcc, 0, v25, vcc
	v_cmp_eq_u32_e32 vcc, 0, v26
	v_cndmask_b32_e32 v20, 0, v20, vcc
	v_add_u32_e32 v24, v20, v5
	v_cmp_eq_u32_e32 vcc, 0, v24
	v_mad_u64_u32 v[22:23], s[8:9], v9, s65, 0
	v_mad_u64_u32 v[24:25], s[8:9], v24, s62, 0
	v_add_u32_e32 v19, 0x8ff34781, v14
	v_cndmask_b32_e32 v20, 0, v20, vcc
	v_xor_b32_e32 v9, v25, v14
	v_xor_b32_e32 v14, v23, v15
	v_xor_b32_e32 v20, v20, v14
	v_xor_b32_e32 v9, v26, v9
	v_mad_u64_u32 v[26:27], s[8:9], v20, s62, 0
	v_add_u32_e32 v17, 0xdb3d7428, v15
	v_mad_u64_u32 v[14:15], s[8:9], v9, s65, 0
	v_xor_b32_e32 v9, v37, v27
	v_xor_b32_e32 v9, v9, v24
	v_xor_b32_e32 v15, v38, v15
	v_xor_b32_e32 v15, v15, v22
	v_mad_u64_u32 v[22:23], s[8:9], v9, s65, 0
	v_mad_u64_u32 v[24:25], s[8:9], v15, s62, 0
	v_xor_b32_e32 v15, v40, v23
	v_xor_b32_e32 v9, v39, v25
	v_xor_b32_e32 v20, v15, v14
	v_xor_b32_e32 v9, v9, v26
	v_mad_u64_u32 v[26:27], s[8:9], v20, s62, 0
	;; [unrolled: 6-line block ×7, first 2 shown]
	v_xor_b32_e32 v9, v17, v25
	v_xor_b32_e32 v9, v9, v14
	v_mad_u64_u32 v[26:27], s[8:9], v15, s62, 0
	v_mad_u64_u32 v[14:15], s[8:9], v9, s62, 0
	v_xor_b32_e32 v9, v15, v26
	v_xor_b32_e32 v9, v19, v9
	v_cmp_lt_i32_e32 vcc, 1, v33
                                        ; implicit-def: $vgpr23
	s_and_saveexec_b64 s[8:9], vcc
	s_xor_b64 s[8:9], exec, s[8:9]
	s_cbranch_execz .LBB79_31
; %bb.26:                               ;   in Loop: Header=BB79_3 Depth=1
	v_cmp_lt_i32_e32 vcc, 2, v33
                                        ; implicit-def: $vgpr23
	s_and_saveexec_b64 s[44:45], vcc
	s_xor_b64 s[44:45], exec, s[44:45]
; %bb.27:                               ;   in Loop: Header=BB79_3 Depth=1
	v_xor_b32_e32 v15, v35, v27
	v_xor_b32_e32 v15, v15, v22
	v_mul_hi_u32 v15, v15, s65
	v_xor_b32_e32 v15, v15, v24
	v_xor_b32_e32 v23, v36, v15
                                        ; implicit-def: $vgpr34
; %bb.28:                               ;   in Loop: Header=BB79_3 Depth=1
	s_andn2_saveexec_b64 s[44:45], s[44:45]
; %bb.29:                               ;   in Loop: Header=BB79_3 Depth=1
	v_mov_b32_e32 v23, v14
	v_mov_b32_e32 v14, v9
	;; [unrolled: 1-line block ×4, first 2 shown]
; %bb.30:                               ;   in Loop: Header=BB79_3 Depth=1
	s_or_b64 exec, exec, s[44:45]
                                        ; implicit-def: $vgpr16_vgpr17
                                        ; implicit-def: $vgpr18_vgpr19
                                        ; implicit-def: $vgpr33
                                        ; implicit-def: $vgpr34
                                        ; implicit-def: $vgpr20_vgpr21
                                        ; implicit-def: $vgpr17
                                        ; implicit-def: $vgpr19
.LBB79_31:                              ;   in Loop: Header=BB79_3 Depth=1
	s_andn2_saveexec_b64 s[8:9], s[8:9]
	s_cbranch_execz .LBB79_35
; %bb.32:                               ;   in Loop: Header=BB79_3 Depth=1
	v_xor_b32_e32 v14, v17, v21
	v_xor_b32_e32 v14, v14, v16
	v_mad_u64_u32 v[16:17], s[44:45], v14, s62, 0
	v_xor_b32_e32 v14, v17, v18
	v_xor_b32_e32 v15, v19, v14
	v_cmp_eq_u32_e32 vcc, 1, v33
	v_mov_b32_e32 v23, v8
	v_mov_b32_e32 v14, v34
	;; [unrolled: 1-line block ×3, first 2 shown]
	s_and_saveexec_b64 s[44:45], vcc
; %bb.33:                               ;   in Loop: Header=BB79_3 Depth=1
	v_mov_b32_e32 v23, v9
	v_mov_b32_e32 v14, v8
	v_mov_b32_e32 v17, v34
	v_mov_b32_e32 v15, v16
; %bb.34:                               ;   in Loop: Header=BB79_3 Depth=1
	s_or_b64 exec, exec, s[44:45]
	v_mov_b32_e32 v8, v15
	v_mov_b32_e32 v9, v17
.LBB79_35:                              ;   in Loop: Header=BB79_3 Depth=1
	s_or_b64 exec, exec, s[8:9]
	v_min_i32_e32 v15, 4, v29
	v_cmp_lt_i32_e32 vcc, 2, v15
	s_mov_b64 s[44:45], 0
	s_mov_b64 s[56:57], 0
	;; [unrolled: 1-line block ×3, first 2 shown]
                                        ; implicit-def: $sgpr46_sgpr47
                                        ; implicit-def: $sgpr48_sgpr49
                                        ; implicit-def: $sgpr50_sgpr51
	s_and_saveexec_b64 s[52:53], vcc
	s_xor_b64 s[52:53], exec, s[52:53]
	s_cbranch_execz .LBB79_47
; %bb.36:                               ;   in Loop: Header=BB79_3 Depth=1
	v_cmp_lt_i32_e32 vcc, 3, v15
	s_mov_b64 s[8:9], -1
	s_mov_b64 s[58:59], 0
                                        ; implicit-def: $sgpr46_sgpr47
                                        ; implicit-def: $sgpr54_sgpr55
	s_and_saveexec_b64 s[48:49], vcc
	s_cbranch_execz .LBB79_42
; %bb.37:                               ;   in Loop: Header=BB79_3 Depth=1
	v_cmp_eq_u32_e32 vcc, 4, v15
	s_mov_b64 s[8:9], 0
	s_mov_b64 s[58:59], -1
                                        ; implicit-def: $sgpr46_sgpr47
                                        ; implicit-def: $sgpr54_sgpr55
	s_and_saveexec_b64 s[50:51], vcc
	s_cbranch_execz .LBB79_41
; %bb.38:                               ;   in Loop: Header=BB79_3 Depth=1
	s_waitcnt vmcnt(0)
	v_cmp_le_f32_e32 vcc, 0, v32
	v_cmp_ge_f32_e64 s[8:9], 1.0, v32
	s_and_b64 s[58:59], vcc, s[8:9]
	s_mov_b64 s[46:47], 0
	s_mov_b64 s[8:9], 0
	s_and_saveexec_b64 s[54:55], s[58:59]
	s_cbranch_execz .LBB79_40
; %bb.39:                               ;   in Loop: Header=BB79_3 Depth=1
	v_cvt_f32_u32_e32 v16, v23
	v_mov_b32_e32 v17, 0x2f800000
	v_lshlrev_b64 v[12:13], 2, v[12:13]
	v_add_co_u32_e32 v12, vcc, s10, v12
	v_fmac_f32_e32 v17, 0x2f800000, v16
	v_mov_b32_e32 v16, s11
	v_addc_co_u32_e32 v13, vcc, v16, v13, vcc
	v_cmp_le_f32_e32 vcc, v17, v32
	s_mov_b64 s[8:9], exec
	v_cndmask_b32_e64 v16, 0, 1.0, vcc
	global_store_dword v[12:13], v16, off
.LBB79_40:                              ;   in Loop: Header=BB79_3 Depth=1
	s_or_b64 exec, exec, s[54:55]
	s_mov_b64 s[54:55], -1
	s_xor_b64 s[58:59], exec, -1
	s_and_b64 s[8:9], s[8:9], exec
.LBB79_41:                              ;   in Loop: Header=BB79_3 Depth=1
	s_or_b64 exec, exec, s[50:51]
	s_and_b64 s[58:59], s[58:59], exec
	s_orn2_b64 s[8:9], s[8:9], exec
.LBB79_42:                              ;   in Loop: Header=BB79_3 Depth=1
	s_or_b64 exec, exec, s[48:49]
	s_mov_b64 s[50:51], s[46:47]
	s_and_saveexec_b64 s[48:49], s[8:9]
	s_cbranch_execz .LBB79_46
; %bb.43:                               ;   in Loop: Header=BB79_3 Depth=1
	v_lshlrev_b64 v[10:11], 2, v[10:11]
	v_mov_b32_e32 v12, s19
	v_add_co_u32_e32 v10, vcc, s18, v10
	v_addc_co_u32_e32 v11, vcc, v12, v11, vcc
	global_load_dword v10, v[10:11], off
	s_waitcnt vmcnt(0)
	v_cmp_le_f32_e32 vcc, 0, v10
	v_cmp_ge_f32_e64 s[8:9], 1.0, v10
	s_and_b64 s[50:51], vcc, s[8:9]
	s_mov_b64 s[8:9], 0
	s_and_saveexec_b64 s[56:57], s[50:51]
	s_xor_b64 s[50:51], exec, s[56:57]
	s_cbranch_execz .LBB79_45
; %bb.44:                               ;   in Loop: Header=BB79_3 Depth=1
	v_cvt_f32_u32_e32 v11, v14
	v_cndmask_b32_e64 v12, 0, v31, s[6:7]
	v_mov_b32_e32 v13, v3
	v_mov_b32_e32 v14, 0x2f800000
	v_lshlrev_b64 v[12:13], 2, v[12:13]
	v_fmac_f32_e32 v14, 0x2f800000, v11
	v_mov_b32_e32 v11, s11
	v_add_co_u32_e32 v12, vcc, s10, v12
	v_addc_co_u32_e32 v13, vcc, v11, v13, vcc
	v_cmp_le_f32_e32 vcc, v14, v10
	v_cndmask_b32_e64 v10, 0, 1.0, vcc
	s_mov_b64 s[8:9], exec
	global_store_dword v[12:13], v10, off
.LBB79_45:                              ;   in Loop: Header=BB79_3 Depth=1
	s_or_b64 exec, exec, s[50:51]
	s_andn2_b64 s[50:51], s[46:47], exec
	s_or_b64 s[46:47], s[46:47], exec
	s_andn2_b64 s[54:55], s[54:55], exec
	s_and_b64 s[56:57], s[8:9], exec
.LBB79_46:                              ;   in Loop: Header=BB79_3 Depth=1
	s_or_b64 exec, exec, s[48:49]
	s_and_b64 s[50:51], s[50:51], exec
	s_and_b64 s[48:49], s[46:47], exec
	;; [unrolled: 1-line block ×5, first 2 shown]
.LBB79_47:                              ;   in Loop: Header=BB79_3 Depth=1
	s_andn2_saveexec_b64 s[6:7], s[52:53]
; %bb.48:                               ;   in Loop: Header=BB79_3 Depth=1
	v_cmp_lt_i32_e32 vcc, 1, v15
	s_andn2_b64 s[52:53], s[56:57], exec
	s_and_b64 s[54:55], vcc, exec
	s_mov_b64 s[44:45], exec
	s_andn2_b64 s[50:51], s[50:51], exec
	s_andn2_b64 s[48:49], s[48:49], exec
	;; [unrolled: 1-line block ×3, first 2 shown]
	s_or_b64 s[56:57], s[52:53], s[54:55]
; %bb.49:                               ;   in Loop: Header=BB79_3 Depth=1
	s_or_b64 exec, exec, s[6:7]
	s_mov_b64 s[52:53], 0
	s_mov_b64 s[6:7], s[50:51]
	s_and_saveexec_b64 s[54:55], s[56:57]
	s_cbranch_execnz .LBB79_52
; %bb.50:                               ;   in Loop: Header=BB79_3 Depth=1
	s_or_b64 exec, exec, s[54:55]
	s_and_saveexec_b64 s[4:5], s[44:45]
	s_cbranch_execnz .LBB79_55
.LBB79_51:                              ;   in Loop: Header=BB79_3 Depth=1
	s_or_b64 exec, exec, s[4:5]
	s_and_saveexec_b64 s[44:45], s[52:53]
	s_cbranch_execnz .LBB79_56
	s_branch .LBB79_59
.LBB79_52:                              ;   in Loop: Header=BB79_3 Depth=1
	v_lshlrev_b64 v[6:7], 2, v[6:7]
	v_mov_b32_e32 v10, s19
	v_add_co_u32_e32 v6, vcc, s18, v6
	v_addc_co_u32_e32 v7, vcc, v10, v7, vcc
	global_load_dword v6, v[6:7], off
	s_waitcnt vmcnt(0)
	v_cmp_le_f32_e32 vcc, 0, v6
	v_cmp_ge_f32_e64 s[6:7], 1.0, v6
	s_and_b64 s[6:7], vcc, s[6:7]
	s_and_saveexec_b64 s[56:57], s[6:7]
	s_xor_b64 s[6:7], exec, s[56:57]
	s_cbranch_execz .LBB79_54
; %bb.53:                               ;   in Loop: Header=BB79_3 Depth=1
	v_cvt_f32_u32_e32 v7, v9
	v_cndmask_b32_e64 v10, 0, v30, s[4:5]
	v_mov_b32_e32 v11, v3
	v_mov_b32_e32 v9, 0x2f800000
	v_lshlrev_b64 v[10:11], 2, v[10:11]
	v_fmac_f32_e32 v9, 0x2f800000, v7
	v_mov_b32_e32 v7, s11
	v_add_co_u32_e32 v10, vcc, s10, v10
	v_addc_co_u32_e32 v11, vcc, v7, v11, vcc
	v_cmp_le_f32_e32 vcc, v9, v6
	v_cndmask_b32_e64 v6, 0, 1.0, vcc
	s_mov_b64 s[52:53], exec
	global_store_dword v[10:11], v6, off
.LBB79_54:                              ;   in Loop: Header=BB79_3 Depth=1
	s_or_b64 exec, exec, s[6:7]
	s_andn2_b64 s[6:7], s[50:51], exec
	s_or_b64 s[50:51], s[50:51], exec
	s_andn2_b64 s[48:49], s[48:49], exec
	s_andn2_b64 s[46:47], s[46:47], exec
	s_and_b64 s[52:53], s[52:53], exec
	s_andn2_b64 s[44:45], s[44:45], exec
	s_or_b64 exec, exec, s[54:55]
	s_and_saveexec_b64 s[4:5], s[44:45]
	s_cbranch_execz .LBB79_51
.LBB79_55:                              ;   in Loop: Header=BB79_3 Depth=1
	v_cmp_eq_u32_e32 vcc, 1, v15
	s_andn2_b64 s[44:45], s[52:53], exec
	s_and_b64 s[52:53], vcc, exec
	s_andn2_b64 s[6:7], s[6:7], exec
	s_andn2_b64 s[50:51], s[50:51], exec
	;; [unrolled: 1-line block ×4, first 2 shown]
	s_or_b64 s[8:9], s[8:9], exec
	s_or_b64 s[52:53], s[44:45], s[52:53]
	s_or_b64 exec, exec, s[4:5]
	s_and_saveexec_b64 s[44:45], s[52:53]
	s_cbranch_execz .LBB79_59
.LBB79_56:                              ;   in Loop: Header=BB79_3 Depth=1
	v_lshlrev_b64 v[6:7], 2, v[2:3]
	v_mov_b32_e32 v2, s19
	v_add_co_u32_e32 v6, vcc, s18, v6
	v_addc_co_u32_e32 v7, vcc, v2, v7, vcc
	global_load_dword v6, v[6:7], off
	s_waitcnt vmcnt(0)
	v_cmp_le_f32_e32 vcc, 0, v6
	v_cmp_ge_f32_e64 s[4:5], 1.0, v6
	s_and_b64 s[54:55], vcc, s[4:5]
	s_mov_b64 s[4:5], 0
	s_and_saveexec_b64 s[52:53], s[54:55]
	s_cbranch_execz .LBB79_58
; %bb.57:                               ;   in Loop: Header=BB79_3 Depth=1
	v_cvt_f32_u32_e32 v7, v8
	v_cndmask_b32_e64 v2, 0, v1, s[2:3]
	v_lshlrev_b64 v[8:9], 2, v[2:3]
	v_mov_b32_e32 v10, 0x2f800000
	v_mov_b32_e32 v1, s11
	v_add_co_u32_e32 v8, vcc, s10, v8
	v_fmac_f32_e32 v10, 0x2f800000, v7
	v_addc_co_u32_e32 v9, vcc, v1, v9, vcc
	v_cmp_le_f32_e32 vcc, v10, v6
	s_mov_b64 s[4:5], exec
	v_cndmask_b32_e64 v1, 0, 1.0, vcc
	global_store_dword v[8:9], v1, off
.LBB79_58:                              ;   in Loop: Header=BB79_3 Depth=1
	s_or_b64 exec, exec, s[52:53]
	s_andn2_b64 s[2:3], s[8:9], exec
	s_and_b64 s[4:5], s[4:5], exec
	s_or_b64 s[6:7], s[6:7], exec
	s_andn2_b64 s[50:51], s[50:51], exec
	s_andn2_b64 s[48:49], s[48:49], exec
	;; [unrolled: 1-line block ×3, first 2 shown]
	s_or_b64 s[8:9], s[2:3], s[4:5]
.LBB79_59:                              ;   in Loop: Header=BB79_3 Depth=1
	s_or_b64 exec, exec, s[44:45]
	s_andn2_b64 s[4:5], s[42:43], exec
	s_and_b64 s[6:7], s[6:7], exec
	s_or_b64 s[42:43], s[4:5], s[6:7]
	s_andn2_b64 s[4:5], s[40:41], exec
	s_and_b64 s[6:7], s[50:51], exec
	s_or_b64 s[40:41], s[4:5], s[6:7]
	s_andn2_b64 s[4:5], s[38:39], exec
	s_and_b64 s[6:7], s[48:49], exec
	s_or_b64 s[38:39], s[4:5], s[6:7]
	s_andn2_b64 s[4:5], s[36:37], exec
	s_and_b64 s[6:7], s[46:47], exec
	s_mov_b64 s[2:3], -1
	s_or_b64 s[36:37], s[4:5], s[6:7]
	s_and_saveexec_b64 s[4:5], s[8:9]
	s_cbranch_execz .LBB79_2
; %bb.60:                               ;   in Loop: Header=BB79_3 Depth=1
	v_add_u32_e32 v28, s63, v28
	v_cmp_le_u32_e32 vcc, s33, v28
	s_andn2_b64 s[42:43], s[42:43], exec
	s_andn2_b64 s[40:41], s[40:41], exec
	;; [unrolled: 1-line block ×4, first 2 shown]
	s_orn2_b64 s[2:3], vcc, exec
	s_branch .LBB79_2
.LBB79_61:
	s_or_b64 exec, exec, s[26:27]
	s_xor_b64 s[6:7], s[34:35], -1
	s_xor_b64 s[8:9], s[30:31], -1
	;; [unrolled: 1-line block ×3, first 2 shown]
	s_mov_b64 s[2:3], 0
	s_and_saveexec_b64 s[4:5], s[0:1]
	s_xor_b64 s[0:1], exec, s[4:5]
	s_cbranch_execnz .LBB79_66
; %bb.62:
	s_andn2_saveexec_b64 s[0:1], s[0:1]
	s_cbranch_execnz .LBB79_74
.LBB79_63:
	s_or_b64 exec, exec, s[0:1]
	s_and_b64 exec, exec, s[2:3]
.LBB79_64:
	; divergent unreachable
.LBB79_65:
	s_endpgm
.LBB79_66:
	s_mov_b64 s[4:5], 0
	s_and_saveexec_b64 s[2:3], s[8:9]
	s_xor_b64 s[2:3], exec, s[2:3]
	s_cbranch_execz .LBB79_72
; %bb.67:
	s_and_saveexec_b64 s[8:9], s[6:7]
	s_xor_b64 s[6:7], exec, s[8:9]
	s_cbranch_execz .LBB79_70
; %bb.68:
	s_and_saveexec_b64 s[8:9], s[20:21]
	s_xor_b64 s[8:9], exec, s[8:9]
	s_cbranch_execnz .LBB79_77
.LBB79_69:
	s_or_b64 exec, exec, s[8:9]
	s_and_b64 s[4:5], s[4:5], exec
.LBB79_70:
	s_andn2_saveexec_b64 s[6:7], s[6:7]
	s_cbranch_execnz .LBB79_76
.LBB79_71:
	s_or_b64 exec, exec, s[6:7]
	s_and_b64 s[4:5], s[4:5], exec
.LBB79_72:
	s_andn2_saveexec_b64 s[2:3], s[2:3]
	s_cbranch_execnz .LBB79_75
.LBB79_73:
	s_or_b64 exec, exec, s[2:3]
	s_and_b64 s[2:3], s[4:5], exec
	s_andn2_saveexec_b64 s[0:1], s[0:1]
	s_cbranch_execz .LBB79_63
.LBB79_74:
	s_or_b64 s[2:3], s[2:3], exec
	s_trap 2
	s_or_b64 exec, exec, s[0:1]
	s_and_b64 exec, exec, s[2:3]
	s_cbranch_execnz .LBB79_64
	s_branch .LBB79_65
.LBB79_75:
	s_or_b64 s[4:5], s[4:5], exec
	s_trap 2
	s_branch .LBB79_73
.LBB79_76:
	s_trap 2
	s_or_b64 s[4:5], s[4:5], exec
	s_branch .LBB79_71
.LBB79_77:
	s_mov_b64 s[4:5], exec
	s_trap 2
	s_branch .LBB79_69
	.section	.rodata,"a",@progbits
	.p2align	6, 0x0
	.amdhsa_kernel _ZN2at4cuda12_GLOBAL__N_121kernelPointwiseApply2IZNS_6native9templates4cuda28bernoulli_tensor_cuda_kernelIffEEvRKNS_10TensorBaseES9_NS_15PhiloxCudaStateEEUliRfSB_SB_SB_RKfSD_SD_SD_E_fSC_jLi1ELin1ELi4ELi512ELi2EEEvNS0_6detail10TensorInfoIT0_T2_EENSG_IT1_SI_EESI_T_
		.amdhsa_group_segment_fixed_size 0
		.amdhsa_private_segment_fixed_size 0
		.amdhsa_kernarg_size 728
		.amdhsa_user_sgpr_count 6
		.amdhsa_user_sgpr_private_segment_buffer 1
		.amdhsa_user_sgpr_dispatch_ptr 0
		.amdhsa_user_sgpr_queue_ptr 0
		.amdhsa_user_sgpr_kernarg_segment_ptr 1
		.amdhsa_user_sgpr_dispatch_id 0
		.amdhsa_user_sgpr_flat_scratch_init 0
		.amdhsa_user_sgpr_kernarg_preload_length 0
		.amdhsa_user_sgpr_kernarg_preload_offset 0
		.amdhsa_user_sgpr_private_segment_size 0
		.amdhsa_uses_dynamic_stack 0
		.amdhsa_system_sgpr_private_segment_wavefront_offset 0
		.amdhsa_system_sgpr_workgroup_id_x 1
		.amdhsa_system_sgpr_workgroup_id_y 0
		.amdhsa_system_sgpr_workgroup_id_z 0
		.amdhsa_system_sgpr_workgroup_info 0
		.amdhsa_system_vgpr_workitem_id 0
		.amdhsa_next_free_vgpr 51
		.amdhsa_next_free_sgpr 67
		.amdhsa_accum_offset 52
		.amdhsa_reserve_vcc 1
		.amdhsa_reserve_flat_scratch 0
		.amdhsa_float_round_mode_32 0
		.amdhsa_float_round_mode_16_64 0
		.amdhsa_float_denorm_mode_32 3
		.amdhsa_float_denorm_mode_16_64 3
		.amdhsa_dx10_clamp 1
		.amdhsa_ieee_mode 1
		.amdhsa_fp16_overflow 0
		.amdhsa_tg_split 0
		.amdhsa_exception_fp_ieee_invalid_op 0
		.amdhsa_exception_fp_denorm_src 0
		.amdhsa_exception_fp_ieee_div_zero 0
		.amdhsa_exception_fp_ieee_overflow 0
		.amdhsa_exception_fp_ieee_underflow 0
		.amdhsa_exception_fp_ieee_inexact 0
		.amdhsa_exception_int_div_zero 0
	.end_amdhsa_kernel
	.section	.text._ZN2at4cuda12_GLOBAL__N_121kernelPointwiseApply2IZNS_6native9templates4cuda28bernoulli_tensor_cuda_kernelIffEEvRKNS_10TensorBaseES9_NS_15PhiloxCudaStateEEUliRfSB_SB_SB_RKfSD_SD_SD_E_fSC_jLi1ELin1ELi4ELi512ELi2EEEvNS0_6detail10TensorInfoIT0_T2_EENSG_IT1_SI_EESI_T_,"axG",@progbits,_ZN2at4cuda12_GLOBAL__N_121kernelPointwiseApply2IZNS_6native9templates4cuda28bernoulli_tensor_cuda_kernelIffEEvRKNS_10TensorBaseES9_NS_15PhiloxCudaStateEEUliRfSB_SB_SB_RKfSD_SD_SD_E_fSC_jLi1ELin1ELi4ELi512ELi2EEEvNS0_6detail10TensorInfoIT0_T2_EENSG_IT1_SI_EESI_T_,comdat
.Lfunc_end79:
	.size	_ZN2at4cuda12_GLOBAL__N_121kernelPointwiseApply2IZNS_6native9templates4cuda28bernoulli_tensor_cuda_kernelIffEEvRKNS_10TensorBaseES9_NS_15PhiloxCudaStateEEUliRfSB_SB_SB_RKfSD_SD_SD_E_fSC_jLi1ELin1ELi4ELi512ELi2EEEvNS0_6detail10TensorInfoIT0_T2_EENSG_IT1_SI_EESI_T_, .Lfunc_end79-_ZN2at4cuda12_GLOBAL__N_121kernelPointwiseApply2IZNS_6native9templates4cuda28bernoulli_tensor_cuda_kernelIffEEvRKNS_10TensorBaseES9_NS_15PhiloxCudaStateEEUliRfSB_SB_SB_RKfSD_SD_SD_E_fSC_jLi1ELin1ELi4ELi512ELi2EEEvNS0_6detail10TensorInfoIT0_T2_EENSG_IT1_SI_EESI_T_
                                        ; -- End function
	.section	.AMDGPU.csdata,"",@progbits
; Kernel info:
; codeLenInByte = 3508
; NumSgprs: 71
; NumVgprs: 51
; NumAgprs: 0
; TotalNumVgprs: 51
; ScratchSize: 0
; MemoryBound: 0
; FloatMode: 240
; IeeeMode: 1
; LDSByteSize: 0 bytes/workgroup (compile time only)
; SGPRBlocks: 8
; VGPRBlocks: 6
; NumSGPRsForWavesPerEU: 71
; NumVGPRsForWavesPerEU: 51
; AccumOffset: 52
; Occupancy: 8
; WaveLimiterHint : 1
; COMPUTE_PGM_RSRC2:SCRATCH_EN: 0
; COMPUTE_PGM_RSRC2:USER_SGPR: 6
; COMPUTE_PGM_RSRC2:TRAP_HANDLER: 0
; COMPUTE_PGM_RSRC2:TGID_X_EN: 1
; COMPUTE_PGM_RSRC2:TGID_Y_EN: 0
; COMPUTE_PGM_RSRC2:TGID_Z_EN: 0
; COMPUTE_PGM_RSRC2:TIDIG_COMP_CNT: 0
; COMPUTE_PGM_RSRC3_GFX90A:ACCUM_OFFSET: 12
; COMPUTE_PGM_RSRC3_GFX90A:TG_SPLIT: 0
	.section	.text._ZN2at4cuda12_GLOBAL__N_121kernelPointwiseApply2IZNS_6native9templates4cuda28bernoulli_tensor_cuda_kernelIffEEvRKNS_10TensorBaseES9_NS_15PhiloxCudaStateEEUliRfSB_SB_SB_RKfSD_SD_SD_E_fSC_jLi2ELi1ELi4ELi512ELi2EEEvNS0_6detail10TensorInfoIT0_T2_EENSG_IT1_SI_EESI_T_,"axG",@progbits,_ZN2at4cuda12_GLOBAL__N_121kernelPointwiseApply2IZNS_6native9templates4cuda28bernoulli_tensor_cuda_kernelIffEEvRKNS_10TensorBaseES9_NS_15PhiloxCudaStateEEUliRfSB_SB_SB_RKfSD_SD_SD_E_fSC_jLi2ELi1ELi4ELi512ELi2EEEvNS0_6detail10TensorInfoIT0_T2_EENSG_IT1_SI_EESI_T_,comdat
	.globl	_ZN2at4cuda12_GLOBAL__N_121kernelPointwiseApply2IZNS_6native9templates4cuda28bernoulli_tensor_cuda_kernelIffEEvRKNS_10TensorBaseES9_NS_15PhiloxCudaStateEEUliRfSB_SB_SB_RKfSD_SD_SD_E_fSC_jLi2ELi1ELi4ELi512ELi2EEEvNS0_6detail10TensorInfoIT0_T2_EENSG_IT1_SI_EESI_T_ ; -- Begin function _ZN2at4cuda12_GLOBAL__N_121kernelPointwiseApply2IZNS_6native9templates4cuda28bernoulli_tensor_cuda_kernelIffEEvRKNS_10TensorBaseES9_NS_15PhiloxCudaStateEEUliRfSB_SB_SB_RKfSD_SD_SD_E_fSC_jLi2ELi1ELi4ELi512ELi2EEEvNS0_6detail10TensorInfoIT0_T2_EENSG_IT1_SI_EESI_T_
	.p2align	8
	.type	_ZN2at4cuda12_GLOBAL__N_121kernelPointwiseApply2IZNS_6native9templates4cuda28bernoulli_tensor_cuda_kernelIffEEvRKNS_10TensorBaseES9_NS_15PhiloxCudaStateEEUliRfSB_SB_SB_RKfSD_SD_SD_E_fSC_jLi2ELi1ELi4ELi512ELi2EEEvNS0_6detail10TensorInfoIT0_T2_EENSG_IT1_SI_EESI_T_,@function
_ZN2at4cuda12_GLOBAL__N_121kernelPointwiseApply2IZNS_6native9templates4cuda28bernoulli_tensor_cuda_kernelIffEEvRKNS_10TensorBaseES9_NS_15PhiloxCudaStateEEUliRfSB_SB_SB_RKfSD_SD_SD_E_fSC_jLi2ELi1ELi4ELi512ELi2EEEvNS0_6detail10TensorInfoIT0_T2_EENSG_IT1_SI_EESI_T_: ; @_ZN2at4cuda12_GLOBAL__N_121kernelPointwiseApply2IZNS_6native9templates4cuda28bernoulli_tensor_cuda_kernelIffEEvRKNS_10TensorBaseES9_NS_15PhiloxCudaStateEEUliRfSB_SB_SB_RKfSD_SD_SD_E_fSC_jLi2ELi1ELi4ELi512ELi2EEEvNS0_6detail10TensorInfoIT0_T2_EENSG_IT1_SI_EESI_T_
; %bb.0:
	s_load_dword s2, s[4:5], 0x1e4
	s_load_dword s33, s[4:5], 0x1b0
	s_add_u32 s0, s4, 0x1d8
	s_addc_u32 s1, s5, 0
	s_waitcnt lgkmcnt(0)
	s_and_b32 s2, s2, 0xffff
	s_mul_i32 s6, s6, s2
	v_add_u32_e32 v1, s6, v0
	v_lshlrev_b32_e32 v0, 2, v1
	v_cmp_gt_u32_e32 vcc, s33, v0
	s_and_saveexec_b64 s[6:7], vcc
	s_cbranch_execz .LBB80_51
; %bb.1:
	s_load_dwordx2 s[12:13], s[4:5], 0x0
	s_load_dword s56, s[4:5], 0xc
	s_load_dwordx2 s[14:15], s[4:5], 0x6c
	s_load_dwordx2 s[16:17], s[4:5], 0xd8
	s_load_dword s3, s[0:1], 0x0
	s_load_dwordx2 s[18:19], s[4:5], 0x1c8
	s_load_dword s6, s[4:5], 0x1d0
	s_load_dword s7, s[4:5], 0x144
	s_load_dwordx4 s[8:11], s[4:5], 0x1b8
	s_waitcnt lgkmcnt(0)
	v_cvt_f32_u32_e32 v2, s56
	s_mov_b32 s57, 0xcd9e8d57
	s_bitcmp1_b32 s6, 0
	s_cselect_b64 s[22:23], -1, 0
	v_rcp_iflag_f32_e32 v4, v2
	v_mad_u64_u32 v[2:3], s[0:1], v1, s57, 0
	s_sub_i32 s60, 0, s56
	v_mul_f32_e32 v4, 0x4f7ffffe, v4
	v_cvt_u32_f32_e32 v4, v4
	v_mov_b32_e32 v6, v3
	s_mul_i32 s3, s3, s2
	s_lshl_b32 s59, s3, 2
	v_mul_lo_u32 v3, s60, v4
	v_mul_hi_u32 v3, v4, v3
	v_add_u32_e32 v3, v4, v3
	v_add_u32_e32 v4, 2, v0
	v_mul_lo_u32 v32, v0, s7
	v_mul_lo_u32 v34, s7, v4
	v_add_u32_e32 v4, 3, v0
	s_mov_b32 s58, 0
	v_mov_b32_e32 v5, 0
	v_sub_u32_e32 v7, s33, v0
	v_add_u32_e32 v33, s7, v32
	s_mul_i32 s61, s59, s7
	v_mul_lo_u32 v35, s7, v4
	s_mov_b64 s[24:25], 0
	s_mov_b32 s62, 0xd2511f53
	s_mov_b32 s63, 0xf1bbcdc8
                                        ; implicit-def: $sgpr26_sgpr27
                                        ; implicit-def: $sgpr28_sgpr29
                                        ; implicit-def: $sgpr30_sgpr31
                                        ; implicit-def: $sgpr20_sgpr21
                                        ; implicit-def: $sgpr34_sgpr35
                                        ; implicit-def: $sgpr36_sgpr37
                                        ; implicit-def: $sgpr38_sgpr39
                                        ; implicit-def: $sgpr40_sgpr41
	s_branch .LBB80_3
.LBB80_2:                               ;   in Loop: Header=BB80_3 Depth=1
	s_or_b64 exec, exec, s[2:3]
	s_and_b64 s[0:1], exec, s[0:1]
	s_or_b64 s[24:25], s[0:1], s[24:25]
	s_andn2_b64 s[0:1], s[20:21], exec
	s_and_b64 s[2:3], s[40:41], exec
	s_or_b64 s[20:21], s[0:1], s[2:3]
	s_andn2_b64 s[0:1], s[30:31], exec
	s_and_b64 s[2:3], s[38:39], exec
	;; [unrolled: 3-line block ×4, first 2 shown]
	s_or_b64 s[26:27], s[0:1], s[2:3]
	s_andn2_b64 exec, exec, s[24:25]
	s_cbranch_execz .LBB80_47
.LBB80_3:                               ; =>This Inner Loop Header: Depth=1
	v_pk_mov_b32 v[10:11], 0, 0
	v_cmp_lt_i32_e64 s[0:1], 0, v7
	v_pk_mov_b32 v[8:9], v[10:11], v[10:11] op_sel:[0,1]
	s_and_saveexec_b64 s[2:3], s[0:1]
	s_cbranch_execz .LBB80_5
; %bb.4:                                ;   in Loop: Header=BB80_3 Depth=1
	s_waitcnt vmcnt(0)
	v_mul_hi_u32 v4, v3, v0
	v_not_b32_e32 v12, v4
	v_mad_u64_u32 v[8:9], s[4:5], s60, v4, v[0:1]
	v_add_u32_e32 v9, 1, v4
	v_cmp_le_u32_e32 vcc, s56, v8
	v_mad_u64_u32 v[12:13], s[4:5], s56, v12, v[0:1]
	v_cndmask_b32_e32 v4, v4, v9, vcc
	v_cndmask_b32_e32 v8, v8, v12, vcc
	v_add_u32_e32 v9, 1, v4
	v_cmp_le_u32_e32 vcc, s56, v8
	v_cndmask_b32_e32 v12, v4, v9, vcc
	v_mad_u64_u32 v[8:9], s[4:5], s60, v12, v[0:1]
	v_mul_lo_u32 v4, v8, s15
	v_mad_u64_u32 v[8:9], s[4:5], v12, s14, v[4:5]
	v_mov_b32_e32 v9, v5
.LBB80_5:                               ;   in Loop: Header=BB80_3 Depth=1
	s_or_b64 exec, exec, s[2:3]
	v_cmp_lt_i32_e64 s[2:3], 1, v7
	s_and_saveexec_b64 s[4:5], s[2:3]
	s_cbranch_execz .LBB80_7
; %bb.6:                                ;   in Loop: Header=BB80_3 Depth=1
	s_waitcnt vmcnt(0)
	v_add_u32_e32 v4, 1, v0
	v_mul_hi_u32 v10, v4, v3
	v_mul_lo_u32 v11, v10, s56
	v_sub_u32_e32 v11, v4, v11
	v_add_u32_e32 v12, 1, v10
	v_cmp_le_u32_e32 vcc, s56, v11
	v_cndmask_b32_e32 v10, v10, v12, vcc
	v_subrev_u32_e32 v12, s56, v11
	v_cndmask_b32_e32 v11, v11, v12, vcc
	v_add_u32_e32 v12, 1, v10
	v_cmp_le_u32_e32 vcc, s56, v11
	v_cndmask_b32_e32 v10, v10, v12, vcc
	v_mul_lo_u32 v11, v10, s56
	v_sub_u32_e32 v4, v4, v11
	v_mul_lo_u32 v4, v4, s15
	v_mad_u64_u32 v[10:11], s[6:7], v10, s14, v[4:5]
	v_mov_b32_e32 v11, v5
.LBB80_7:                               ;   in Loop: Header=BB80_3 Depth=1
	s_or_b64 exec, exec, s[4:5]
	v_pk_mov_b32 v[16:17], 0, 0
	v_cmp_lt_i32_e64 s[4:5], 2, v7
	v_pk_mov_b32 v[14:15], v[16:17], v[16:17] op_sel:[0,1]
	s_and_saveexec_b64 s[6:7], s[4:5]
	s_cbranch_execz .LBB80_9
; %bb.8:                                ;   in Loop: Header=BB80_3 Depth=1
	s_waitcnt vmcnt(0)
	v_add_u32_e32 v4, 2, v0
	v_mul_hi_u32 v12, v4, v3
	v_mul_lo_u32 v13, v12, s56
	v_sub_u32_e32 v13, v4, v13
	v_add_u32_e32 v14, 1, v12
	v_cmp_le_u32_e32 vcc, s56, v13
	v_cndmask_b32_e32 v12, v12, v14, vcc
	v_subrev_u32_e32 v14, s56, v13
	v_cndmask_b32_e32 v13, v13, v14, vcc
	v_add_u32_e32 v14, 1, v12
	v_cmp_le_u32_e32 vcc, s56, v13
	v_cndmask_b32_e32 v12, v12, v14, vcc
	v_mul_lo_u32 v13, v12, s56
	v_sub_u32_e32 v4, v4, v13
	v_mul_lo_u32 v4, v4, s15
	v_mad_u64_u32 v[14:15], s[42:43], v12, s14, v[4:5]
	v_mov_b32_e32 v15, v5
.LBB80_9:                               ;   in Loop: Header=BB80_3 Depth=1
	s_or_b64 exec, exec, s[6:7]
	v_cmp_lt_i32_e32 vcc, 3, v7
	s_and_saveexec_b64 s[42:43], vcc
	s_cbranch_execz .LBB80_11
; %bb.10:                               ;   in Loop: Header=BB80_3 Depth=1
	s_waitcnt vmcnt(0)
	v_add_u32_e32 v4, 3, v0
	v_mul_hi_u32 v12, v4, v3
	v_mul_lo_u32 v13, v12, s56
	v_sub_u32_e32 v13, v4, v13
	v_add_u32_e32 v16, 1, v12
	v_cmp_le_u32_e64 s[6:7], s56, v13
	v_cndmask_b32_e64 v12, v12, v16, s[6:7]
	v_subrev_u32_e32 v16, s56, v13
	v_cndmask_b32_e64 v13, v13, v16, s[6:7]
	v_add_u32_e32 v16, 1, v12
	v_cmp_le_u32_e64 s[6:7], s56, v13
	v_cndmask_b32_e64 v12, v12, v16, s[6:7]
	v_mul_lo_u32 v13, v12, s56
	v_sub_u32_e32 v4, v4, v13
	v_mul_lo_u32 v4, v4, s15
	v_mad_u64_u32 v[16:17], s[6:7], v12, s14, v[4:5]
	v_mov_b32_e32 v17, v5
.LBB80_11:                              ;   in Loop: Header=BB80_3 Depth=1
	s_or_b64 exec, exec, s[42:43]
	s_waitcnt vmcnt(0)
	v_add_u32_e32 v4, s58, v35
	v_cndmask_b32_e32 v4, 0, v4, vcc
	v_lshlrev_b64 v[12:13], 2, v[4:5]
	v_mov_b32_e32 v4, s17
	v_add_co_u32_e32 v12, vcc, s16, v12
	v_addc_co_u32_e32 v13, vcc, v4, v13, vcc
	global_load_dword v4, v[12:13], off
	s_andn2_b64 vcc, exec, s[22:23]
	v_pk_mov_b32 v[12:13], s[10:11], s[10:11] op_sel:[0,1]
	v_pk_mov_b32 v[18:19], s[8:9], s[8:9] op_sel:[0,1]
	s_cbranch_vccnz .LBB80_13
; %bb.12:                               ;   in Loop: Header=BB80_3 Depth=1
	v_pk_mov_b32 v[12:13], s[10:11], s[10:11] op_sel:[0,1]
	flat_load_dwordx2 v[12:13], v[12:13]
	v_pk_mov_b32 v[18:19], s[8:9], s[8:9] op_sel:[0,1]
	flat_load_dwordx2 v[18:19], v[18:19]
	v_mov_b32_e32 v20, s19
	s_waitcnt vmcnt(0) lgkmcnt(0)
	v_add_co_u32_e32 v12, vcc, s18, v12
	v_addc_co_u32_e32 v13, vcc, v13, v20, vcc
.LBB80_13:                              ;   in Loop: Header=BB80_3 Depth=1
	v_alignbit_b32 v28, v13, v12, 2
	v_lshrrev_b32_e32 v29, 2, v13
	v_xor_b32_e32 v20, v6, v18
	v_and_b32_e32 v36, 3, v12
	v_mad_u64_u32 v[12:13], s[6:7], v28, s62, 0
	v_xor_b32_e32 v20, v20, v29
	v_xor_b32_e32 v13, v13, v19
	v_add_u32_e32 v41, 0xbb67ae85, v19
	v_mad_u64_u32 v[20:21], s[6:7], v20, s62, 0
	v_mad_u64_u32 v[22:23], s[6:7], v13, s57, 0
	v_xor_b32_e32 v21, v41, v21
	v_add_u32_e32 v40, 0x9e3779b9, v18
	v_xor_b32_e32 v13, v2, v23
	v_xor_b32_e32 v21, v21, v12
	v_xor_b32_e32 v13, v13, v40
	v_add_u32_e32 v42, 0x3c6ef372, v18
	v_mad_u64_u32 v[24:25], s[6:7], v21, s57, 0
	v_add_u32_e32 v43, 0x76cf5d0a, v19
	v_mad_u64_u32 v[12:13], s[6:7], v13, s62, 0
	v_xor_b32_e32 v21, v42, v25
	v_xor_b32_e32 v21, v21, v22
	v_xor_b32_e32 v13, v43, v13
	v_xor_b32_e32 v13, v13, v20
	v_add_u32_e32 v45, 0x32370b8f, v19
	v_mad_u64_u32 v[20:21], s[6:7], v21, s62, 0
	v_add_u32_e32 v44, 0xdaa66d2b, v18
	v_mad_u64_u32 v[22:23], s[6:7], v13, s57, 0
	v_xor_b32_e32 v21, v45, v21
	;; [unrolled: 8-line block ×5, first 2 shown]
	v_xor_b32_e32 v21, v21, v22
	v_xor_b32_e32 v13, v51, v13
	;; [unrolled: 1-line block ×3, first 2 shown]
	v_add_u32_e32 v53, 0x1fd5c5a3, v19
	v_mad_u64_u32 v[20:21], s[6:7], v21, s62, 0
	v_xor_b32_e32 v21, v53, v21
	v_xor_b32_e32 v12, v21, v12
	v_add_u32_e32 v52, 0x5384540f, v18
	v_mad_u64_u32 v[26:27], s[6:7], v13, s57, 0
	v_add_co_u32_e32 v38, vcc, s63, v18
	v_mad_u64_u32 v[22:23], s[6:7], v12, s57, 0
	v_xor_b32_e32 v13, v52, v27
	v_xor_b32_e32 v12, v38, v23
	v_xor_b32_e32 v13, v13, v24
	v_xor_b32_e32 v12, v12, v26
	v_mad_u64_u32 v[24:25], s[6:7], v13, s62, 0
	v_mad_u64_u32 v[12:13], s[6:7], v12, s62, 0
	v_add_u32_e32 v39, 0x96a522ad, v19
	v_xor_b32_e32 v13, v13, v24
	v_xor_b32_e32 v37, v39, v13
	v_add_co_u32_e32 v13, vcc, 1, v28
	v_cndmask_b32_e64 v24, 0, 1, vcc
	v_addc_co_u32_e32 v30, vcc, 0, v29, vcc
	v_cmp_eq_u32_e32 vcc, 0, v30
	v_cndmask_b32_e32 v24, 0, v24, vcc
	v_add_u32_e32 v28, v24, v1
	v_cmp_eq_u32_e32 vcc, 0, v28
	v_mad_u64_u32 v[26:27], s[6:7], v13, s62, 0
	v_mad_u64_u32 v[28:29], s[6:7], v28, s57, 0
	v_add_u32_e32 v23, 0x8ff34781, v18
	v_cndmask_b32_e32 v24, 0, v24, vcc
	v_xor_b32_e32 v13, v29, v18
	v_xor_b32_e32 v18, v27, v19
	;; [unrolled: 1-line block ×4, first 2 shown]
	v_mad_u64_u32 v[30:31], s[6:7], v24, s57, 0
	v_add_u32_e32 v21, 0xdb3d7428, v19
	v_mad_u64_u32 v[18:19], s[6:7], v13, s62, 0
	v_xor_b32_e32 v13, v40, v31
	v_xor_b32_e32 v13, v13, v28
	v_xor_b32_e32 v19, v41, v19
	v_xor_b32_e32 v19, v19, v26
	v_mad_u64_u32 v[26:27], s[6:7], v13, s62, 0
	v_mad_u64_u32 v[28:29], s[6:7], v19, s57, 0
	v_xor_b32_e32 v19, v43, v27
	v_xor_b32_e32 v13, v42, v29
	v_xor_b32_e32 v24, v19, v18
	v_xor_b32_e32 v13, v13, v30
	v_mad_u64_u32 v[30:31], s[6:7], v24, s57, 0
	;; [unrolled: 6-line block ×7, first 2 shown]
	v_xor_b32_e32 v13, v21, v29
	v_xor_b32_e32 v13, v13, v18
	v_mad_u64_u32 v[30:31], s[6:7], v19, s57, 0
	v_mad_u64_u32 v[18:19], s[6:7], v13, s57, 0
	v_xor_b32_e32 v13, v19, v30
	v_xor_b32_e32 v13, v23, v13
	v_cmp_lt_i32_e32 vcc, 1, v36
                                        ; implicit-def: $vgpr27
	s_and_saveexec_b64 s[6:7], vcc
	s_xor_b64 s[6:7], exec, s[6:7]
	s_cbranch_execz .LBB80_19
; %bb.14:                               ;   in Loop: Header=BB80_3 Depth=1
	v_cmp_lt_i32_e32 vcc, 2, v36
                                        ; implicit-def: $vgpr27
	s_and_saveexec_b64 s[42:43], vcc
	s_xor_b64 s[42:43], exec, s[42:43]
; %bb.15:                               ;   in Loop: Header=BB80_3 Depth=1
	v_xor_b32_e32 v19, v38, v31
	v_xor_b32_e32 v19, v19, v26
	v_mul_hi_u32 v19, v19, s62
	v_xor_b32_e32 v19, v19, v28
	v_xor_b32_e32 v27, v39, v19
                                        ; implicit-def: $vgpr37
; %bb.16:                               ;   in Loop: Header=BB80_3 Depth=1
	s_andn2_saveexec_b64 s[42:43], s[42:43]
; %bb.17:                               ;   in Loop: Header=BB80_3 Depth=1
	v_mov_b32_e32 v27, v18
	v_mov_b32_e32 v18, v13
	;; [unrolled: 1-line block ×4, first 2 shown]
; %bb.18:                               ;   in Loop: Header=BB80_3 Depth=1
	s_or_b64 exec, exec, s[42:43]
                                        ; implicit-def: $vgpr20_vgpr21
                                        ; implicit-def: $vgpr22_vgpr23
                                        ; implicit-def: $vgpr36
                                        ; implicit-def: $vgpr37
                                        ; implicit-def: $vgpr24_vgpr25
                                        ; implicit-def: $vgpr21
                                        ; implicit-def: $vgpr23
.LBB80_19:                              ;   in Loop: Header=BB80_3 Depth=1
	s_andn2_saveexec_b64 s[6:7], s[6:7]
	s_cbranch_execz .LBB80_23
; %bb.20:                               ;   in Loop: Header=BB80_3 Depth=1
	v_xor_b32_e32 v18, v21, v25
	v_xor_b32_e32 v18, v18, v20
	v_mad_u64_u32 v[20:21], s[42:43], v18, s57, 0
	v_xor_b32_e32 v18, v21, v22
	v_xor_b32_e32 v19, v23, v18
	v_cmp_eq_u32_e32 vcc, 1, v36
	v_mov_b32_e32 v27, v12
	v_mov_b32_e32 v18, v37
	;; [unrolled: 1-line block ×3, first 2 shown]
	s_and_saveexec_b64 s[42:43], vcc
; %bb.21:                               ;   in Loop: Header=BB80_3 Depth=1
	v_mov_b32_e32 v27, v13
	v_mov_b32_e32 v18, v12
	;; [unrolled: 1-line block ×4, first 2 shown]
; %bb.22:                               ;   in Loop: Header=BB80_3 Depth=1
	s_or_b64 exec, exec, s[42:43]
	v_mov_b32_e32 v12, v19
	v_mov_b32_e32 v13, v21
.LBB80_23:                              ;   in Loop: Header=BB80_3 Depth=1
	s_or_b64 exec, exec, s[6:7]
	v_min_i32_e32 v19, 4, v7
	v_cmp_lt_i32_e32 vcc, 2, v19
	s_mov_b64 s[42:43], 0
	s_mov_b64 s[54:55], 0
                                        ; implicit-def: $sgpr6_sgpr7
                                        ; implicit-def: $sgpr44_sgpr45
                                        ; implicit-def: $sgpr46_sgpr47
	s_and_saveexec_b64 s[48:49], vcc
	s_xor_b64 s[48:49], exec, s[48:49]
	s_cbranch_execz .LBB80_33
; %bb.24:                               ;   in Loop: Header=BB80_3 Depth=1
	v_cmp_lt_i32_e32 vcc, 3, v19
	s_mov_b64 s[46:47], -1
                                        ; implicit-def: $sgpr6_sgpr7
                                        ; implicit-def: $sgpr50_sgpr51
	s_and_saveexec_b64 s[44:45], vcc
	s_cbranch_execz .LBB80_28
; %bb.25:                               ;   in Loop: Header=BB80_3 Depth=1
	s_waitcnt vmcnt(0)
	v_cmp_le_f32_e32 vcc, 0, v4
	v_cmp_ge_f32_e64 s[6:7], 1.0, v4
	s_and_b64 s[52:53], vcc, s[6:7]
	s_mov_b64 s[6:7], 0
	s_mov_b64 s[46:47], 0
	s_and_saveexec_b64 s[50:51], s[52:53]
	s_cbranch_execz .LBB80_27
; %bb.26:                               ;   in Loop: Header=BB80_3 Depth=1
	v_cvt_f32_u32_e32 v20, v27
	v_mov_b32_e32 v21, 0x2f800000
	v_lshlrev_b64 v[16:17], 2, v[16:17]
	v_add_co_u32_e32 v16, vcc, s12, v16
	v_fmac_f32_e32 v21, 0x2f800000, v20
	v_mov_b32_e32 v20, s13
	v_addc_co_u32_e32 v17, vcc, v20, v17, vcc
	v_cmp_le_f32_e32 vcc, v21, v4
	s_mov_b64 s[46:47], exec
	v_cndmask_b32_e64 v4, 0, 1.0, vcc
	global_store_dword v[16:17], v4, off
.LBB80_27:                              ;   in Loop: Header=BB80_3 Depth=1
	s_or_b64 exec, exec, s[50:51]
	s_mov_b64 s[50:51], -1
	s_orn2_b64 s[46:47], s[46:47], exec
.LBB80_28:                              ;   in Loop: Header=BB80_3 Depth=1
	s_or_b64 exec, exec, s[44:45]
	s_mov_b64 s[52:53], 0
	s_mov_b64 s[54:55], s[6:7]
	s_and_saveexec_b64 s[44:45], s[46:47]
	s_cbranch_execz .LBB80_32
; %bb.29:                               ;   in Loop: Header=BB80_3 Depth=1
	s_waitcnt vmcnt(0)
	v_add_u32_e32 v4, s58, v34
	v_cndmask_b32_e64 v4, 0, v4, s[4:5]
	v_lshlrev_b64 v[16:17], 2, v[4:5]
	v_mov_b32_e32 v4, s17
	v_add_co_u32_e32 v16, vcc, s16, v16
	v_addc_co_u32_e32 v17, vcc, v4, v17, vcc
	global_load_dword v4, v[16:17], off
	s_waitcnt vmcnt(0)
	v_cmp_le_f32_e32 vcc, 0, v4
	v_cmp_ge_f32_e64 s[4:5], 1.0, v4
	s_and_b64 s[46:47], vcc, s[4:5]
	s_mov_b64 s[4:5], 0
	s_and_saveexec_b64 s[52:53], s[46:47]
	s_xor_b64 s[46:47], exec, s[52:53]
	s_cbranch_execz .LBB80_31
; %bb.30:                               ;   in Loop: Header=BB80_3 Depth=1
	v_cvt_f32_u32_e32 v16, v18
	v_mov_b32_e32 v17, 0x2f800000
	v_lshlrev_b64 v[14:15], 2, v[14:15]
	v_add_co_u32_e32 v14, vcc, s12, v14
	v_fmac_f32_e32 v17, 0x2f800000, v16
	v_mov_b32_e32 v16, s13
	v_addc_co_u32_e32 v15, vcc, v16, v15, vcc
	v_cmp_le_f32_e32 vcc, v17, v4
	v_cndmask_b32_e64 v4, 0, 1.0, vcc
	s_mov_b64 s[4:5], exec
	global_store_dword v[14:15], v4, off
.LBB80_31:                              ;   in Loop: Header=BB80_3 Depth=1
	s_or_b64 exec, exec, s[46:47]
	s_andn2_b64 s[54:55], s[6:7], exec
	s_or_b64 s[6:7], s[6:7], exec
	s_andn2_b64 s[50:51], s[50:51], exec
	s_and_b64 s[52:53], s[4:5], exec
.LBB80_32:                              ;   in Loop: Header=BB80_3 Depth=1
	s_or_b64 exec, exec, s[44:45]
	s_and_b64 s[46:47], s[54:55], exec
	s_and_b64 s[44:45], s[6:7], exec
	;; [unrolled: 1-line block ×4, first 2 shown]
.LBB80_33:                              ;   in Loop: Header=BB80_3 Depth=1
	s_andn2_saveexec_b64 s[4:5], s[48:49]
; %bb.34:                               ;   in Loop: Header=BB80_3 Depth=1
	v_cmp_lt_i32_e32 vcc, 1, v19
	s_andn2_b64 s[48:49], s[54:55], exec
	s_and_b64 s[50:51], vcc, exec
	s_mov_b64 s[42:43], exec
	s_andn2_b64 s[46:47], s[46:47], exec
	s_andn2_b64 s[44:45], s[44:45], exec
	;; [unrolled: 1-line block ×3, first 2 shown]
	s_or_b64 s[54:55], s[48:49], s[50:51]
; %bb.35:                               ;   in Loop: Header=BB80_3 Depth=1
	s_or_b64 exec, exec, s[4:5]
	s_mov_b64 s[4:5], 0
	s_mov_b64 s[50:51], 0
	;; [unrolled: 1-line block ×3, first 2 shown]
	s_and_saveexec_b64 s[52:53], s[54:55]
	s_cbranch_execnz .LBB80_38
; %bb.36:                               ;   in Loop: Header=BB80_3 Depth=1
	s_or_b64 exec, exec, s[52:53]
	s_and_saveexec_b64 s[2:3], s[42:43]
	s_cbranch_execnz .LBB80_41
.LBB80_37:                              ;   in Loop: Header=BB80_3 Depth=1
	s_or_b64 exec, exec, s[2:3]
	s_and_saveexec_b64 s[2:3], s[50:51]
	s_cbranch_execnz .LBB80_42
	s_branch .LBB80_45
.LBB80_38:                              ;   in Loop: Header=BB80_3 Depth=1
	s_waitcnt vmcnt(0)
	v_add_u32_e32 v4, s58, v33
	v_cndmask_b32_e64 v4, 0, v4, s[2:3]
	v_lshlrev_b64 v[14:15], 2, v[4:5]
	v_mov_b32_e32 v4, s17
	v_add_co_u32_e32 v14, vcc, s16, v14
	v_addc_co_u32_e32 v15, vcc, v4, v15, vcc
	global_load_dword v4, v[14:15], off
	s_waitcnt vmcnt(0)
	v_cmp_le_f32_e32 vcc, 0, v4
	v_cmp_ge_f32_e64 s[2:3], 1.0, v4
	s_and_b64 s[48:49], vcc, s[2:3]
	s_mov_b64 s[2:3], 0
	s_and_saveexec_b64 s[50:51], s[48:49]
	s_xor_b64 s[48:49], exec, s[50:51]
	s_cbranch_execz .LBB80_40
; %bb.39:                               ;   in Loop: Header=BB80_3 Depth=1
	v_cvt_f32_u32_e32 v13, v13
	v_mov_b32_e32 v14, 0x2f800000
	v_lshlrev_b64 v[10:11], 2, v[10:11]
	v_add_co_u32_e32 v10, vcc, s12, v10
	v_fmac_f32_e32 v14, 0x2f800000, v13
	v_mov_b32_e32 v13, s13
	v_addc_co_u32_e32 v11, vcc, v13, v11, vcc
	v_cmp_le_f32_e32 vcc, v14, v4
	v_cndmask_b32_e64 v4, 0, 1.0, vcc
	s_mov_b64 s[2:3], exec
	global_store_dword v[10:11], v4, off
.LBB80_40:                              ;   in Loop: Header=BB80_3 Depth=1
	s_or_b64 exec, exec, s[48:49]
	s_andn2_b64 s[48:49], s[46:47], exec
	s_or_b64 s[46:47], s[46:47], exec
	s_andn2_b64 s[44:45], s[44:45], exec
	s_andn2_b64 s[6:7], s[6:7], exec
	s_and_b64 s[50:51], s[2:3], exec
	s_andn2_b64 s[42:43], s[42:43], exec
	s_or_b64 exec, exec, s[52:53]
	s_and_saveexec_b64 s[2:3], s[42:43]
	s_cbranch_execz .LBB80_37
.LBB80_41:                              ;   in Loop: Header=BB80_3 Depth=1
	v_cmp_eq_u32_e32 vcc, 1, v19
	s_andn2_b64 s[42:43], s[50:51], exec
	s_and_b64 s[50:51], vcc, exec
	s_mov_b64 s[4:5], exec
	s_andn2_b64 s[48:49], s[48:49], exec
	s_andn2_b64 s[46:47], s[46:47], exec
	s_andn2_b64 s[44:45], s[44:45], exec
	s_andn2_b64 s[6:7], s[6:7], exec
	s_or_b64 s[50:51], s[42:43], s[50:51]
	s_or_b64 exec, exec, s[2:3]
	s_and_saveexec_b64 s[2:3], s[50:51]
	s_cbranch_execz .LBB80_45
.LBB80_42:                              ;   in Loop: Header=BB80_3 Depth=1
	s_waitcnt vmcnt(0)
	v_add_u32_e32 v4, s58, v32
	v_cndmask_b32_e64 v4, 0, v4, s[0:1]
	v_lshlrev_b64 v[10:11], 2, v[4:5]
	v_mov_b32_e32 v4, s17
	v_add_co_u32_e32 v10, vcc, s16, v10
	v_addc_co_u32_e32 v11, vcc, v4, v11, vcc
	global_load_dword v4, v[10:11], off
	s_waitcnt vmcnt(0)
	v_cmp_le_f32_e32 vcc, 0, v4
	v_cmp_ge_f32_e64 s[0:1], 1.0, v4
	s_and_b64 s[50:51], vcc, s[0:1]
	s_mov_b64 s[0:1], 0
	s_and_saveexec_b64 s[42:43], s[50:51]
	s_cbranch_execz .LBB80_44
; %bb.43:                               ;   in Loop: Header=BB80_3 Depth=1
	v_cvt_f32_u32_e32 v10, v12
	v_mov_b32_e32 v11, 0x2f800000
	v_lshlrev_b64 v[8:9], 2, v[8:9]
	v_add_co_u32_e32 v8, vcc, s12, v8
	v_fmac_f32_e32 v11, 0x2f800000, v10
	v_mov_b32_e32 v10, s13
	v_addc_co_u32_e32 v9, vcc, v10, v9, vcc
	v_cmp_le_f32_e32 vcc, v11, v4
	s_mov_b64 s[0:1], exec
	v_cndmask_b32_e64 v4, 0, 1.0, vcc
	global_store_dword v[8:9], v4, off
.LBB80_44:                              ;   in Loop: Header=BB80_3 Depth=1
	s_or_b64 exec, exec, s[42:43]
	s_andn2_b64 s[4:5], s[4:5], exec
	s_and_b64 s[0:1], s[0:1], exec
	s_or_b64 s[48:49], s[48:49], exec
	s_andn2_b64 s[46:47], s[46:47], exec
	s_andn2_b64 s[44:45], s[44:45], exec
	;; [unrolled: 1-line block ×3, first 2 shown]
	s_or_b64 s[4:5], s[4:5], s[0:1]
.LBB80_45:                              ;   in Loop: Header=BB80_3 Depth=1
	s_or_b64 exec, exec, s[2:3]
	s_andn2_b64 s[2:3], s[40:41], exec
	s_and_b64 s[40:41], s[48:49], exec
	s_or_b64 s[40:41], s[2:3], s[40:41]
	s_andn2_b64 s[2:3], s[38:39], exec
	s_and_b64 s[38:39], s[46:47], exec
	s_or_b64 s[38:39], s[2:3], s[38:39]
	;; [unrolled: 3-line block ×3, first 2 shown]
	s_andn2_b64 s[2:3], s[34:35], exec
	s_and_b64 s[6:7], s[6:7], exec
	s_mov_b64 s[0:1], -1
	s_or_b64 s[34:35], s[2:3], s[6:7]
	s_and_saveexec_b64 s[2:3], s[4:5]
	s_cbranch_execz .LBB80_2
; %bb.46:                               ;   in Loop: Header=BB80_3 Depth=1
	v_add_u32_e32 v0, s59, v0
	v_cmp_le_u32_e32 vcc, s33, v0
	v_subrev_u32_e32 v7, s59, v7
	s_add_i32 s58, s58, s61
	s_andn2_b64 s[40:41], s[40:41], exec
	s_andn2_b64 s[38:39], s[38:39], exec
	;; [unrolled: 1-line block ×4, first 2 shown]
	s_orn2_b64 s[0:1], vcc, exec
	s_branch .LBB80_2
.LBB80_47:
	s_or_b64 exec, exec, s[24:25]
	s_xor_b64 s[6:7], s[30:31], -1
	s_xor_b64 s[8:9], s[28:29], -1
	;; [unrolled: 1-line block ×3, first 2 shown]
	s_mov_b64 s[2:3], 0
	s_and_saveexec_b64 s[4:5], s[0:1]
	s_xor_b64 s[0:1], exec, s[4:5]
	s_cbranch_execnz .LBB80_52
; %bb.48:
	s_andn2_saveexec_b64 s[0:1], s[0:1]
	s_cbranch_execnz .LBB80_60
.LBB80_49:
	s_or_b64 exec, exec, s[0:1]
	s_and_b64 exec, exec, s[2:3]
.LBB80_50:
	; divergent unreachable
.LBB80_51:
	s_endpgm
.LBB80_52:
	s_mov_b64 s[4:5], 0
	s_and_saveexec_b64 s[2:3], s[8:9]
	s_xor_b64 s[2:3], exec, s[2:3]
	s_cbranch_execz .LBB80_58
; %bb.53:
	s_and_saveexec_b64 s[8:9], s[6:7]
	s_xor_b64 s[6:7], exec, s[8:9]
	s_cbranch_execz .LBB80_56
; %bb.54:
	s_and_saveexec_b64 s[8:9], s[20:21]
	s_xor_b64 s[8:9], exec, s[8:9]
	s_cbranch_execnz .LBB80_63
.LBB80_55:
	s_or_b64 exec, exec, s[8:9]
	s_and_b64 s[4:5], s[4:5], exec
.LBB80_56:
	s_andn2_saveexec_b64 s[6:7], s[6:7]
	s_cbranch_execnz .LBB80_62
.LBB80_57:
	s_or_b64 exec, exec, s[6:7]
	s_and_b64 s[4:5], s[4:5], exec
.LBB80_58:
	s_andn2_saveexec_b64 s[2:3], s[2:3]
	s_cbranch_execnz .LBB80_61
.LBB80_59:
	s_or_b64 exec, exec, s[2:3]
	s_and_b64 s[2:3], s[4:5], exec
	s_andn2_saveexec_b64 s[0:1], s[0:1]
	s_cbranch_execz .LBB80_49
.LBB80_60:
	s_or_b64 s[2:3], s[2:3], exec
	s_trap 2
	s_or_b64 exec, exec, s[0:1]
	s_and_b64 exec, exec, s[2:3]
	s_cbranch_execnz .LBB80_50
	s_branch .LBB80_51
.LBB80_61:
	s_or_b64 s[4:5], s[4:5], exec
	s_trap 2
	s_branch .LBB80_59
.LBB80_62:
	s_trap 2
	s_or_b64 s[4:5], s[4:5], exec
	s_branch .LBB80_57
.LBB80_63:
	s_mov_b64 s[4:5], exec
	s_trap 2
	s_branch .LBB80_55
	.section	.rodata,"a",@progbits
	.p2align	6, 0x0
	.amdhsa_kernel _ZN2at4cuda12_GLOBAL__N_121kernelPointwiseApply2IZNS_6native9templates4cuda28bernoulli_tensor_cuda_kernelIffEEvRKNS_10TensorBaseES9_NS_15PhiloxCudaStateEEUliRfSB_SB_SB_RKfSD_SD_SD_E_fSC_jLi2ELi1ELi4ELi512ELi2EEEvNS0_6detail10TensorInfoIT0_T2_EENSG_IT1_SI_EESI_T_
		.amdhsa_group_segment_fixed_size 0
		.amdhsa_private_segment_fixed_size 0
		.amdhsa_kernarg_size 728
		.amdhsa_user_sgpr_count 6
		.amdhsa_user_sgpr_private_segment_buffer 1
		.amdhsa_user_sgpr_dispatch_ptr 0
		.amdhsa_user_sgpr_queue_ptr 0
		.amdhsa_user_sgpr_kernarg_segment_ptr 1
		.amdhsa_user_sgpr_dispatch_id 0
		.amdhsa_user_sgpr_flat_scratch_init 0
		.amdhsa_user_sgpr_kernarg_preload_length 0
		.amdhsa_user_sgpr_kernarg_preload_offset 0
		.amdhsa_user_sgpr_private_segment_size 0
		.amdhsa_uses_dynamic_stack 0
		.amdhsa_system_sgpr_private_segment_wavefront_offset 0
		.amdhsa_system_sgpr_workgroup_id_x 1
		.amdhsa_system_sgpr_workgroup_id_y 0
		.amdhsa_system_sgpr_workgroup_id_z 0
		.amdhsa_system_sgpr_workgroup_info 0
		.amdhsa_system_vgpr_workitem_id 0
		.amdhsa_next_free_vgpr 54
		.amdhsa_next_free_sgpr 64
		.amdhsa_accum_offset 56
		.amdhsa_reserve_vcc 1
		.amdhsa_reserve_flat_scratch 0
		.amdhsa_float_round_mode_32 0
		.amdhsa_float_round_mode_16_64 0
		.amdhsa_float_denorm_mode_32 3
		.amdhsa_float_denorm_mode_16_64 3
		.amdhsa_dx10_clamp 1
		.amdhsa_ieee_mode 1
		.amdhsa_fp16_overflow 0
		.amdhsa_tg_split 0
		.amdhsa_exception_fp_ieee_invalid_op 0
		.amdhsa_exception_fp_denorm_src 0
		.amdhsa_exception_fp_ieee_div_zero 0
		.amdhsa_exception_fp_ieee_overflow 0
		.amdhsa_exception_fp_ieee_underflow 0
		.amdhsa_exception_fp_ieee_inexact 0
		.amdhsa_exception_int_div_zero 0
	.end_amdhsa_kernel
	.section	.text._ZN2at4cuda12_GLOBAL__N_121kernelPointwiseApply2IZNS_6native9templates4cuda28bernoulli_tensor_cuda_kernelIffEEvRKNS_10TensorBaseES9_NS_15PhiloxCudaStateEEUliRfSB_SB_SB_RKfSD_SD_SD_E_fSC_jLi2ELi1ELi4ELi512ELi2EEEvNS0_6detail10TensorInfoIT0_T2_EENSG_IT1_SI_EESI_T_,"axG",@progbits,_ZN2at4cuda12_GLOBAL__N_121kernelPointwiseApply2IZNS_6native9templates4cuda28bernoulli_tensor_cuda_kernelIffEEvRKNS_10TensorBaseES9_NS_15PhiloxCudaStateEEUliRfSB_SB_SB_RKfSD_SD_SD_E_fSC_jLi2ELi1ELi4ELi512ELi2EEEvNS0_6detail10TensorInfoIT0_T2_EENSG_IT1_SI_EESI_T_,comdat
.Lfunc_end80:
	.size	_ZN2at4cuda12_GLOBAL__N_121kernelPointwiseApply2IZNS_6native9templates4cuda28bernoulli_tensor_cuda_kernelIffEEvRKNS_10TensorBaseES9_NS_15PhiloxCudaStateEEUliRfSB_SB_SB_RKfSD_SD_SD_E_fSC_jLi2ELi1ELi4ELi512ELi2EEEvNS0_6detail10TensorInfoIT0_T2_EENSG_IT1_SI_EESI_T_, .Lfunc_end80-_ZN2at4cuda12_GLOBAL__N_121kernelPointwiseApply2IZNS_6native9templates4cuda28bernoulli_tensor_cuda_kernelIffEEvRKNS_10TensorBaseES9_NS_15PhiloxCudaStateEEUliRfSB_SB_SB_RKfSD_SD_SD_E_fSC_jLi2ELi1ELi4ELi512ELi2EEEvNS0_6detail10TensorInfoIT0_T2_EENSG_IT1_SI_EESI_T_
                                        ; -- End function
	.section	.AMDGPU.csdata,"",@progbits
; Kernel info:
; codeLenInByte = 3056
; NumSgprs: 68
; NumVgprs: 54
; NumAgprs: 0
; TotalNumVgprs: 54
; ScratchSize: 0
; MemoryBound: 0
; FloatMode: 240
; IeeeMode: 1
; LDSByteSize: 0 bytes/workgroup (compile time only)
; SGPRBlocks: 8
; VGPRBlocks: 6
; NumSGPRsForWavesPerEU: 68
; NumVGPRsForWavesPerEU: 54
; AccumOffset: 56
; Occupancy: 8
; WaveLimiterHint : 1
; COMPUTE_PGM_RSRC2:SCRATCH_EN: 0
; COMPUTE_PGM_RSRC2:USER_SGPR: 6
; COMPUTE_PGM_RSRC2:TRAP_HANDLER: 0
; COMPUTE_PGM_RSRC2:TGID_X_EN: 1
; COMPUTE_PGM_RSRC2:TGID_Y_EN: 0
; COMPUTE_PGM_RSRC2:TGID_Z_EN: 0
; COMPUTE_PGM_RSRC2:TIDIG_COMP_CNT: 0
; COMPUTE_PGM_RSRC3_GFX90A:ACCUM_OFFSET: 13
; COMPUTE_PGM_RSRC3_GFX90A:TG_SPLIT: 0
	.section	.text._ZN2at4cuda12_GLOBAL__N_121kernelPointwiseApply2IZNS_6native9templates4cuda28bernoulli_tensor_cuda_kernelIffEEvRKNS_10TensorBaseES9_NS_15PhiloxCudaStateEEUliRfSB_SB_SB_RKfSD_SD_SD_E_fSC_jLi2ELi2ELi4ELi512ELi2EEEvNS0_6detail10TensorInfoIT0_T2_EENSG_IT1_SI_EESI_T_,"axG",@progbits,_ZN2at4cuda12_GLOBAL__N_121kernelPointwiseApply2IZNS_6native9templates4cuda28bernoulli_tensor_cuda_kernelIffEEvRKNS_10TensorBaseES9_NS_15PhiloxCudaStateEEUliRfSB_SB_SB_RKfSD_SD_SD_E_fSC_jLi2ELi2ELi4ELi512ELi2EEEvNS0_6detail10TensorInfoIT0_T2_EENSG_IT1_SI_EESI_T_,comdat
	.globl	_ZN2at4cuda12_GLOBAL__N_121kernelPointwiseApply2IZNS_6native9templates4cuda28bernoulli_tensor_cuda_kernelIffEEvRKNS_10TensorBaseES9_NS_15PhiloxCudaStateEEUliRfSB_SB_SB_RKfSD_SD_SD_E_fSC_jLi2ELi2ELi4ELi512ELi2EEEvNS0_6detail10TensorInfoIT0_T2_EENSG_IT1_SI_EESI_T_ ; -- Begin function _ZN2at4cuda12_GLOBAL__N_121kernelPointwiseApply2IZNS_6native9templates4cuda28bernoulli_tensor_cuda_kernelIffEEvRKNS_10TensorBaseES9_NS_15PhiloxCudaStateEEUliRfSB_SB_SB_RKfSD_SD_SD_E_fSC_jLi2ELi2ELi4ELi512ELi2EEEvNS0_6detail10TensorInfoIT0_T2_EENSG_IT1_SI_EESI_T_
	.p2align	8
	.type	_ZN2at4cuda12_GLOBAL__N_121kernelPointwiseApply2IZNS_6native9templates4cuda28bernoulli_tensor_cuda_kernelIffEEvRKNS_10TensorBaseES9_NS_15PhiloxCudaStateEEUliRfSB_SB_SB_RKfSD_SD_SD_E_fSC_jLi2ELi2ELi4ELi512ELi2EEEvNS0_6detail10TensorInfoIT0_T2_EENSG_IT1_SI_EESI_T_,@function
_ZN2at4cuda12_GLOBAL__N_121kernelPointwiseApply2IZNS_6native9templates4cuda28bernoulli_tensor_cuda_kernelIffEEvRKNS_10TensorBaseES9_NS_15PhiloxCudaStateEEUliRfSB_SB_SB_RKfSD_SD_SD_E_fSC_jLi2ELi2ELi4ELi512ELi2EEEvNS0_6detail10TensorInfoIT0_T2_EENSG_IT1_SI_EESI_T_: ; @_ZN2at4cuda12_GLOBAL__N_121kernelPointwiseApply2IZNS_6native9templates4cuda28bernoulli_tensor_cuda_kernelIffEEvRKNS_10TensorBaseES9_NS_15PhiloxCudaStateEEUliRfSB_SB_SB_RKfSD_SD_SD_E_fSC_jLi2ELi2ELi4ELi512ELi2EEEvNS0_6detail10TensorInfoIT0_T2_EENSG_IT1_SI_EESI_T_
; %bb.0:
	s_load_dword s2, s[4:5], 0x1e4
	s_load_dword s33, s[4:5], 0x1b0
	s_add_u32 s0, s4, 0x1d8
	s_addc_u32 s1, s5, 0
	s_waitcnt lgkmcnt(0)
	s_and_b32 s18, s2, 0xffff
	s_mul_i32 s6, s6, s18
	v_add_u32_e32 v1, s6, v0
	v_lshlrev_b32_e32 v0, 2, v1
	v_cmp_gt_u32_e32 vcc, s33, v0
	s_and_saveexec_b64 s[2:3], vcc
	s_cbranch_execz .LBB81_59
; %bb.1:
	s_load_dwordx2 s[2:3], s[4:5], 0x0
	s_load_dword s54, s[4:5], 0xc
	s_load_dwordx2 s[6:7], s[4:5], 0x6c
	s_load_dwordx2 s[12:13], s[4:5], 0xd8
	s_load_dword s19, s[0:1], 0x0
	s_load_dword s20, s[4:5], 0x1d0
	;; [unrolled: 1-line block ×3, first 2 shown]
	s_load_dwordx2 s[14:15], s[4:5], 0x144
	s_load_dwordx2 s[16:17], s[4:5], 0x1c8
	s_load_dwordx4 s[8:11], s[4:5], 0x1b8
	s_waitcnt lgkmcnt(0)
	v_cvt_f32_u32_e32 v4, s54
	v_cvt_f32_u32_e32 v7, s55
	s_mov_b32 s56, 0xcd9e8d57
	v_mad_u64_u32 v[2:3], s[0:1], v1, s56, 0
	v_rcp_iflag_f32_e32 v4, v4
	v_mov_b32_e32 v6, v3
	s_bitcmp1_b32 s20, 0
	s_cselect_b64 s[4:5], -1, 0
	v_mul_f32_e32 v3, 0x4f7ffffe, v4
	v_rcp_iflag_f32_e32 v4, v7
	v_cvt_u32_f32_e32 v3, v3
	s_sub_i32 s58, 0, s54
	s_sub_i32 s59, 0, s55
	v_mul_f32_e32 v4, 0x4f7ffffe, v4
	v_cvt_u32_f32_e32 v4, v4
	v_mul_lo_u32 v7, s58, v3
	v_mul_hi_u32 v7, v3, v7
	v_add_u32_e32 v3, v3, v7
	v_mul_lo_u32 v7, s59, v4
	s_mul_i32 s19, s19, s18
	v_mul_hi_u32 v7, v4, v7
	v_mov_b32_e32 v5, 0
	s_lshl_b32 s57, s19, 2
	v_add_u32_e32 v7, v4, v7
	v_sub_u32_e32 v36, s33, v0
	s_mov_b64 s[20:21], 0
	s_mov_b32 s60, 0xd2511f53
	s_mov_b32 s61, 0xf1bbcdc8
                                        ; implicit-def: $sgpr22_sgpr23
                                        ; implicit-def: $sgpr24_sgpr25
                                        ; implicit-def: $sgpr26_sgpr27
                                        ; implicit-def: $sgpr18_sgpr19
                                        ; implicit-def: $sgpr28_sgpr29
                                        ; implicit-def: $sgpr30_sgpr31
                                        ; implicit-def: $sgpr34_sgpr35
                                        ; implicit-def: $sgpr36_sgpr37
	s_branch .LBB81_3
.LBB81_2:                               ;   in Loop: Header=BB81_3 Depth=1
	s_or_b64 exec, exec, s[38:39]
	s_and_b64 s[0:1], exec, s[0:1]
	s_or_b64 s[20:21], s[0:1], s[20:21]
	s_andn2_b64 s[0:1], s[18:19], exec
	s_and_b64 s[18:19], s[36:37], exec
	s_or_b64 s[18:19], s[0:1], s[18:19]
	s_andn2_b64 s[0:1], s[26:27], exec
	s_and_b64 s[26:27], s[34:35], exec
	;; [unrolled: 3-line block ×4, first 2 shown]
	s_or_b64 s[22:23], s[0:1], s[22:23]
	s_andn2_b64 exec, exec, s[20:21]
	s_cbranch_execz .LBB81_55
.LBB81_3:                               ; =>This Inner Loop Header: Depth=1
	v_cmp_lt_i32_e32 vcc, 0, v36
	v_mov_b32_e32 v8, 0
	s_and_saveexec_b64 s[38:39], vcc
	s_cbranch_execz .LBB81_5
; %bb.4:                                ;   in Loop: Header=BB81_3 Depth=1
	v_mul_hi_u32 v4, v3, v0
	v_not_b32_e32 v10, v4
	s_waitcnt vmcnt(0)
	v_mad_u64_u32 v[8:9], s[0:1], s58, v4, v[0:1]
	v_add_u32_e32 v9, 1, v4
	v_cmp_le_u32_e64 s[0:1], s54, v8
	v_mad_u64_u32 v[10:11], s[40:41], s54, v10, v[0:1]
	v_cndmask_b32_e64 v4, v4, v9, s[0:1]
	v_cndmask_b32_e64 v8, v8, v10, s[0:1]
	v_add_u32_e32 v9, 1, v4
	v_cmp_le_u32_e64 s[0:1], s54, v8
	v_cndmask_b32_e64 v10, v4, v9, s[0:1]
	v_mad_u64_u32 v[8:9], s[0:1], s58, v10, v[0:1]
	v_mul_lo_u32 v4, v8, s7
	v_mad_u64_u32 v[8:9], s[0:1], v10, s6, v[4:5]
.LBB81_5:                               ;   in Loop: Header=BB81_3 Depth=1
	s_or_b64 exec, exec, s[38:39]
	v_mov_b32_e32 v4, 0
	s_and_saveexec_b64 s[0:1], vcc
	s_cbranch_execz .LBB81_7
; %bb.6:                                ;   in Loop: Header=BB81_3 Depth=1
	v_mul_hi_u32 v4, v7, v0
	s_waitcnt vmcnt(0)
	v_not_b32_e32 v9, v4
	v_mad_u64_u32 v[10:11], s[38:39], s59, v4, v[0:1]
	v_add_u32_e32 v11, 1, v4
	v_cmp_le_u32_e32 vcc, s55, v10
	v_mad_u64_u32 v[12:13], s[38:39], s55, v9, v[0:1]
	v_cndmask_b32_e32 v4, v4, v11, vcc
	v_cndmask_b32_e32 v9, v10, v12, vcc
	v_add_u32_e32 v10, 1, v4
	v_cmp_le_u32_e32 vcc, s55, v9
	v_cndmask_b32_e32 v9, v4, v10, vcc
	v_mad_u64_u32 v[10:11], s[38:39], s59, v9, v[0:1]
	v_mul_lo_u32 v4, v10, s15
	v_mad_u64_u32 v[10:11], s[38:39], v9, s14, v[4:5]
	v_mov_b32_e32 v4, v10
.LBB81_7:                               ;   in Loop: Header=BB81_3 Depth=1
	s_or_b64 exec, exec, s[0:1]
	v_pk_mov_b32 v[12:13], 0, 0
	s_waitcnt vmcnt(0)
	v_add_u32_e32 v9, 1, v0
	v_cmp_lt_i32_e32 vcc, 1, v36
	v_pk_mov_b32 v[10:11], v[12:13], v[12:13] op_sel:[0,1]
	s_and_saveexec_b64 s[38:39], vcc
	s_cbranch_execz .LBB81_9
; %bb.8:                                ;   in Loop: Header=BB81_3 Depth=1
	v_mul_hi_u32 v10, v9, v3
	v_mul_lo_u32 v11, v10, s54
	v_sub_u32_e32 v11, v9, v11
	v_add_u32_e32 v14, 1, v10
	v_cmp_le_u32_e64 s[0:1], s54, v11
	v_cndmask_b32_e64 v10, v10, v14, s[0:1]
	v_subrev_u32_e32 v14, s54, v11
	v_cndmask_b32_e64 v11, v11, v14, s[0:1]
	v_add_u32_e32 v14, 1, v10
	v_cmp_le_u32_e64 s[0:1], s54, v11
	v_cndmask_b32_e64 v11, v10, v14, s[0:1]
	v_mul_lo_u32 v10, v11, s54
	v_sub_u32_e32 v10, v9, v10
	v_mul_lo_u32 v10, v10, s7
	v_mad_u64_u32 v[10:11], s[0:1], v11, s6, v[10:11]
	v_mov_b32_e32 v11, v5
.LBB81_9:                               ;   in Loop: Header=BB81_3 Depth=1
	s_or_b64 exec, exec, s[38:39]
	s_and_saveexec_b64 s[0:1], vcc
	s_cbranch_execz .LBB81_11
; %bb.10:                               ;   in Loop: Header=BB81_3 Depth=1
	v_mul_hi_u32 v12, v9, v7
	v_mul_lo_u32 v13, v12, s55
	v_sub_u32_e32 v13, v9, v13
	v_add_u32_e32 v14, 1, v12
	v_cmp_le_u32_e32 vcc, s55, v13
	v_cndmask_b32_e32 v12, v12, v14, vcc
	v_subrev_u32_e32 v14, s55, v13
	v_cndmask_b32_e32 v13, v13, v14, vcc
	v_add_u32_e32 v14, 1, v12
	v_cmp_le_u32_e32 vcc, s55, v13
	v_cndmask_b32_e32 v13, v12, v14, vcc
	v_mul_lo_u32 v12, v13, s55
	v_sub_u32_e32 v9, v9, v12
	v_mul_lo_u32 v12, v9, s15
	v_mad_u64_u32 v[12:13], s[38:39], v13, s14, v[12:13]
	v_mov_b32_e32 v13, v5
.LBB81_11:                              ;   in Loop: Header=BB81_3 Depth=1
	s_or_b64 exec, exec, s[0:1]
	v_pk_mov_b32 v[18:19], 0, 0
	v_add_u32_e32 v9, 2, v0
	v_cmp_lt_i32_e32 vcc, 2, v36
	v_pk_mov_b32 v[16:17], v[18:19], v[18:19] op_sel:[0,1]
	s_and_saveexec_b64 s[38:39], vcc
	s_cbranch_execz .LBB81_13
; %bb.12:                               ;   in Loop: Header=BB81_3 Depth=1
	v_mul_hi_u32 v14, v9, v3
	v_mul_lo_u32 v15, v14, s54
	v_sub_u32_e32 v15, v9, v15
	v_add_u32_e32 v16, 1, v14
	v_cmp_le_u32_e64 s[0:1], s54, v15
	v_cndmask_b32_e64 v14, v14, v16, s[0:1]
	v_subrev_u32_e32 v16, s54, v15
	v_cndmask_b32_e64 v15, v15, v16, s[0:1]
	v_add_u32_e32 v16, 1, v14
	v_cmp_le_u32_e64 s[0:1], s54, v15
	v_cndmask_b32_e64 v15, v14, v16, s[0:1]
	v_mul_lo_u32 v14, v15, s54
	v_sub_u32_e32 v14, v9, v14
	v_mul_lo_u32 v14, v14, s7
	v_mad_u64_u32 v[16:17], s[0:1], v15, s6, v[14:15]
	v_mov_b32_e32 v17, v5
.LBB81_13:                              ;   in Loop: Header=BB81_3 Depth=1
	s_or_b64 exec, exec, s[38:39]
	s_and_saveexec_b64 s[0:1], vcc
	s_cbranch_execz .LBB81_15
; %bb.14:                               ;   in Loop: Header=BB81_3 Depth=1
	v_mul_hi_u32 v14, v9, v7
	v_mul_lo_u32 v15, v14, s55
	v_sub_u32_e32 v15, v9, v15
	v_add_u32_e32 v18, 1, v14
	v_cmp_le_u32_e32 vcc, s55, v15
	v_cndmask_b32_e32 v14, v14, v18, vcc
	v_subrev_u32_e32 v18, s55, v15
	v_cndmask_b32_e32 v15, v15, v18, vcc
	v_add_u32_e32 v18, 1, v14
	v_cmp_le_u32_e32 vcc, s55, v15
	v_cndmask_b32_e32 v15, v14, v18, vcc
	v_mul_lo_u32 v14, v15, s55
	v_sub_u32_e32 v9, v9, v14
	v_mul_lo_u32 v14, v9, s15
	v_mad_u64_u32 v[18:19], s[38:39], v15, s14, v[14:15]
	v_mov_b32_e32 v19, v5
.LBB81_15:                              ;   in Loop: Header=BB81_3 Depth=1
	s_or_b64 exec, exec, s[0:1]
	v_pk_mov_b32 v[14:15], 0, 0
	v_add_u32_e32 v9, 3, v0
	v_cmp_lt_i32_e32 vcc, 3, v36
	v_pk_mov_b32 v[20:21], v[14:15], v[14:15] op_sel:[0,1]
	s_and_saveexec_b64 s[38:39], vcc
	s_cbranch_execz .LBB81_17
; %bb.16:                               ;   in Loop: Header=BB81_3 Depth=1
	v_mul_hi_u32 v20, v9, v3
	v_mul_lo_u32 v21, v20, s54
	v_sub_u32_e32 v21, v9, v21
	v_add_u32_e32 v22, 1, v20
	v_cmp_le_u32_e64 s[0:1], s54, v21
	v_cndmask_b32_e64 v20, v20, v22, s[0:1]
	v_subrev_u32_e32 v22, s54, v21
	v_cndmask_b32_e64 v21, v21, v22, s[0:1]
	v_add_u32_e32 v22, 1, v20
	v_cmp_le_u32_e64 s[0:1], s54, v21
	v_cndmask_b32_e64 v21, v20, v22, s[0:1]
	v_mul_lo_u32 v20, v21, s54
	v_sub_u32_e32 v20, v9, v20
	v_mul_lo_u32 v20, v20, s7
	v_mad_u64_u32 v[20:21], s[0:1], v21, s6, v[20:21]
	v_mov_b32_e32 v21, v5
.LBB81_17:                              ;   in Loop: Header=BB81_3 Depth=1
	s_or_b64 exec, exec, s[38:39]
	s_and_saveexec_b64 s[0:1], vcc
	s_cbranch_execz .LBB81_19
; %bb.18:                               ;   in Loop: Header=BB81_3 Depth=1
	v_mul_hi_u32 v14, v9, v7
	v_mul_lo_u32 v15, v14, s55
	v_sub_u32_e32 v15, v9, v15
	v_add_u32_e32 v22, 1, v14
	v_cmp_le_u32_e32 vcc, s55, v15
	v_cndmask_b32_e32 v14, v14, v22, vcc
	v_subrev_u32_e32 v22, s55, v15
	v_cndmask_b32_e32 v15, v15, v22, vcc
	v_add_u32_e32 v22, 1, v14
	v_cmp_le_u32_e32 vcc, s55, v15
	v_cndmask_b32_e32 v15, v14, v22, vcc
	v_mul_lo_u32 v14, v15, s55
	v_sub_u32_e32 v9, v9, v14
	v_mul_lo_u32 v14, v9, s15
	v_mad_u64_u32 v[14:15], s[38:39], v15, s14, v[14:15]
	v_mov_b32_e32 v15, v5
.LBB81_19:                              ;   in Loop: Header=BB81_3 Depth=1
	s_or_b64 exec, exec, s[0:1]
	v_lshlrev_b64 v[14:15], 2, v[14:15]
	v_mov_b32_e32 v9, s13
	v_add_co_u32_e32 v14, vcc, s12, v14
	v_addc_co_u32_e32 v15, vcc, v9, v15, vcc
	global_load_dword v9, v[14:15], off
	s_andn2_b64 vcc, exec, s[4:5]
	v_pk_mov_b32 v[14:15], s[10:11], s[10:11] op_sel:[0,1]
	v_pk_mov_b32 v[22:23], s[8:9], s[8:9] op_sel:[0,1]
	s_cbranch_vccnz .LBB81_21
; %bb.20:                               ;   in Loop: Header=BB81_3 Depth=1
	v_pk_mov_b32 v[14:15], s[10:11], s[10:11] op_sel:[0,1]
	flat_load_dwordx2 v[14:15], v[14:15]
	v_pk_mov_b32 v[22:23], s[8:9], s[8:9] op_sel:[0,1]
	flat_load_dwordx2 v[22:23], v[22:23]
	v_mov_b32_e32 v24, s17
	s_waitcnt vmcnt(0) lgkmcnt(0)
	v_add_co_u32_e32 v14, vcc, s16, v14
	v_addc_co_u32_e32 v15, vcc, v15, v24, vcc
.LBB81_21:                              ;   in Loop: Header=BB81_3 Depth=1
	v_alignbit_b32 v32, v15, v14, 2
	v_lshrrev_b32_e32 v33, 2, v15
	v_xor_b32_e32 v24, v6, v22
	v_and_b32_e32 v37, 3, v14
	v_mad_u64_u32 v[14:15], s[0:1], v32, s60, 0
	v_xor_b32_e32 v24, v24, v33
	v_xor_b32_e32 v15, v15, v23
	v_add_u32_e32 v42, 0xbb67ae85, v23
	v_mad_u64_u32 v[24:25], s[0:1], v24, s60, 0
	v_mad_u64_u32 v[26:27], s[0:1], v15, s56, 0
	v_xor_b32_e32 v25, v42, v25
	v_add_u32_e32 v41, 0x9e3779b9, v22
	v_xor_b32_e32 v15, v2, v27
	v_xor_b32_e32 v25, v25, v14
	v_xor_b32_e32 v15, v15, v41
	v_add_u32_e32 v43, 0x3c6ef372, v22
	v_mad_u64_u32 v[28:29], s[0:1], v25, s56, 0
	v_add_u32_e32 v44, 0x76cf5d0a, v23
	v_mad_u64_u32 v[14:15], s[0:1], v15, s60, 0
	v_xor_b32_e32 v25, v43, v29
	v_xor_b32_e32 v25, v25, v26
	v_xor_b32_e32 v15, v44, v15
	v_xor_b32_e32 v15, v15, v24
	v_add_u32_e32 v46, 0x32370b8f, v23
	v_mad_u64_u32 v[24:25], s[0:1], v25, s60, 0
	v_add_u32_e32 v45, 0xdaa66d2b, v22
	v_mad_u64_u32 v[26:27], s[0:1], v15, s56, 0
	v_xor_b32_e32 v25, v46, v25
	;; [unrolled: 8-line block ×5, first 2 shown]
	v_xor_b32_e32 v25, v25, v26
	v_xor_b32_e32 v15, v52, v15
	;; [unrolled: 1-line block ×3, first 2 shown]
	v_add_u32_e32 v54, 0x1fd5c5a3, v23
	v_mad_u64_u32 v[24:25], s[0:1], v25, s60, 0
	v_xor_b32_e32 v25, v54, v25
	v_xor_b32_e32 v14, v25, v14
	v_add_u32_e32 v53, 0x5384540f, v22
	v_mad_u64_u32 v[30:31], s[0:1], v15, s56, 0
	v_add_co_u32_e32 v39, vcc, s61, v22
	v_mad_u64_u32 v[26:27], s[0:1], v14, s56, 0
	v_xor_b32_e32 v15, v53, v31
	v_xor_b32_e32 v14, v39, v27
	;; [unrolled: 1-line block ×4, first 2 shown]
	v_mad_u64_u32 v[28:29], s[0:1], v15, s60, 0
	v_mad_u64_u32 v[14:15], s[0:1], v14, s60, 0
	v_add_u32_e32 v40, 0x96a522ad, v23
	v_xor_b32_e32 v15, v15, v28
	v_xor_b32_e32 v38, v40, v15
	v_add_co_u32_e32 v15, vcc, 1, v32
	v_cndmask_b32_e64 v28, 0, 1, vcc
	v_addc_co_u32_e32 v34, vcc, 0, v33, vcc
	v_cmp_eq_u32_e32 vcc, 0, v34
	v_cndmask_b32_e32 v28, 0, v28, vcc
	v_add_u32_e32 v32, v28, v1
	v_cmp_eq_u32_e32 vcc, 0, v32
	v_mad_u64_u32 v[30:31], s[0:1], v15, s60, 0
	v_mad_u64_u32 v[32:33], s[0:1], v32, s56, 0
	v_add_u32_e32 v27, 0x8ff34781, v22
	v_cndmask_b32_e32 v28, 0, v28, vcc
	v_xor_b32_e32 v15, v33, v22
	v_xor_b32_e32 v22, v31, v23
	;; [unrolled: 1-line block ×4, first 2 shown]
	v_mad_u64_u32 v[34:35], s[0:1], v28, s56, 0
	v_add_u32_e32 v25, 0xdb3d7428, v23
	v_mad_u64_u32 v[22:23], s[0:1], v15, s60, 0
	v_xor_b32_e32 v15, v41, v35
	v_xor_b32_e32 v15, v15, v32
	v_xor_b32_e32 v23, v42, v23
	v_xor_b32_e32 v23, v23, v30
	v_mad_u64_u32 v[30:31], s[0:1], v15, s60, 0
	v_mad_u64_u32 v[32:33], s[0:1], v23, s56, 0
	v_xor_b32_e32 v23, v44, v31
	v_xor_b32_e32 v15, v43, v33
	v_xor_b32_e32 v28, v23, v22
	v_xor_b32_e32 v15, v15, v34
	v_mad_u64_u32 v[34:35], s[0:1], v28, s56, 0
	;; [unrolled: 6-line block ×7, first 2 shown]
	v_xor_b32_e32 v15, v25, v33
	v_xor_b32_e32 v15, v15, v22
	v_mad_u64_u32 v[34:35], s[0:1], v23, s56, 0
	v_mad_u64_u32 v[22:23], s[0:1], v15, s56, 0
	v_xor_b32_e32 v15, v23, v34
	v_xor_b32_e32 v15, v27, v15
	v_cmp_lt_i32_e32 vcc, 1, v37
                                        ; implicit-def: $vgpr31
	s_and_saveexec_b64 s[0:1], vcc
	s_xor_b64 s[0:1], exec, s[0:1]
	s_cbranch_execz .LBB81_27
; %bb.22:                               ;   in Loop: Header=BB81_3 Depth=1
	v_cmp_lt_i32_e32 vcc, 2, v37
                                        ; implicit-def: $vgpr31
	s_and_saveexec_b64 s[38:39], vcc
	s_xor_b64 s[38:39], exec, s[38:39]
; %bb.23:                               ;   in Loop: Header=BB81_3 Depth=1
	v_xor_b32_e32 v23, v39, v35
	v_xor_b32_e32 v23, v23, v30
	v_mul_hi_u32 v23, v23, s60
	v_xor_b32_e32 v23, v23, v32
	v_xor_b32_e32 v31, v40, v23
                                        ; implicit-def: $vgpr38
; %bb.24:                               ;   in Loop: Header=BB81_3 Depth=1
	s_andn2_saveexec_b64 s[38:39], s[38:39]
; %bb.25:                               ;   in Loop: Header=BB81_3 Depth=1
	v_mov_b32_e32 v31, v22
	v_mov_b32_e32 v22, v15
	;; [unrolled: 1-line block ×4, first 2 shown]
; %bb.26:                               ;   in Loop: Header=BB81_3 Depth=1
	s_or_b64 exec, exec, s[38:39]
                                        ; implicit-def: $vgpr24_vgpr25
                                        ; implicit-def: $vgpr26_vgpr27
                                        ; implicit-def: $vgpr37
                                        ; implicit-def: $vgpr38
                                        ; implicit-def: $vgpr28_vgpr29
                                        ; implicit-def: $vgpr25
                                        ; implicit-def: $vgpr27
.LBB81_27:                              ;   in Loop: Header=BB81_3 Depth=1
	s_andn2_saveexec_b64 s[0:1], s[0:1]
	s_cbranch_execz .LBB81_31
; %bb.28:                               ;   in Loop: Header=BB81_3 Depth=1
	v_xor_b32_e32 v22, v25, v29
	v_xor_b32_e32 v22, v22, v24
	v_mad_u64_u32 v[24:25], s[38:39], v22, s56, 0
	v_xor_b32_e32 v22, v25, v26
	v_xor_b32_e32 v23, v27, v22
	v_cmp_eq_u32_e32 vcc, 1, v37
	v_mov_b32_e32 v31, v14
	v_mov_b32_e32 v22, v38
	;; [unrolled: 1-line block ×3, first 2 shown]
	s_and_saveexec_b64 s[38:39], vcc
; %bb.29:                               ;   in Loop: Header=BB81_3 Depth=1
	v_mov_b32_e32 v31, v15
	v_mov_b32_e32 v22, v14
	;; [unrolled: 1-line block ×4, first 2 shown]
; %bb.30:                               ;   in Loop: Header=BB81_3 Depth=1
	s_or_b64 exec, exec, s[38:39]
	v_mov_b32_e32 v14, v23
	v_mov_b32_e32 v15, v25
.LBB81_31:                              ;   in Loop: Header=BB81_3 Depth=1
	s_or_b64 exec, exec, s[0:1]
	v_min_i32_e32 v23, 4, v36
	v_cmp_lt_i32_e32 vcc, 2, v23
	s_mov_b64 s[38:39], 0
	s_mov_b64 s[52:53], 0
                                        ; implicit-def: $sgpr40_sgpr41
                                        ; implicit-def: $sgpr42_sgpr43
                                        ; implicit-def: $sgpr44_sgpr45
	s_and_saveexec_b64 s[0:1], vcc
	s_xor_b64 s[46:47], exec, s[0:1]
	s_cbranch_execz .LBB81_41
; %bb.32:                               ;   in Loop: Header=BB81_3 Depth=1
	v_cmp_lt_i32_e32 vcc, 3, v23
	s_mov_b64 s[44:45], -1
                                        ; implicit-def: $sgpr40_sgpr41
                                        ; implicit-def: $sgpr48_sgpr49
	s_and_saveexec_b64 s[42:43], vcc
	s_cbranch_execz .LBB81_36
; %bb.33:                               ;   in Loop: Header=BB81_3 Depth=1
	s_waitcnt vmcnt(0)
	v_cmp_le_f32_e32 vcc, 0, v9
	v_cmp_ge_f32_e64 s[0:1], 1.0, v9
	s_and_b64 s[48:49], vcc, s[0:1]
	s_mov_b64 s[40:41], 0
	s_mov_b64 s[0:1], 0
	s_and_saveexec_b64 s[44:45], s[48:49]
	s_cbranch_execz .LBB81_35
; %bb.34:                               ;   in Loop: Header=BB81_3 Depth=1
	v_cvt_f32_u32_e32 v24, v31
	v_mov_b32_e32 v25, 0x2f800000
	v_lshlrev_b64 v[20:21], 2, v[20:21]
	v_add_co_u32_e32 v20, vcc, s2, v20
	v_fmac_f32_e32 v25, 0x2f800000, v24
	v_mov_b32_e32 v24, s3
	v_addc_co_u32_e32 v21, vcc, v24, v21, vcc
	v_cmp_le_f32_e32 vcc, v25, v9
	s_mov_b64 s[0:1], exec
	v_cndmask_b32_e64 v9, 0, 1.0, vcc
	global_store_dword v[20:21], v9, off
.LBB81_35:                              ;   in Loop: Header=BB81_3 Depth=1
	s_or_b64 exec, exec, s[44:45]
	s_mov_b64 s[48:49], -1
	s_orn2_b64 s[44:45], s[0:1], exec
.LBB81_36:                              ;   in Loop: Header=BB81_3 Depth=1
	s_or_b64 exec, exec, s[42:43]
	s_mov_b64 s[0:1], 0
	s_mov_b64 s[50:51], s[40:41]
	s_and_saveexec_b64 s[42:43], s[44:45]
	s_cbranch_execz .LBB81_40
; %bb.37:                               ;   in Loop: Header=BB81_3 Depth=1
	v_lshlrev_b64 v[18:19], 2, v[18:19]
	s_waitcnt vmcnt(0)
	v_mov_b32_e32 v9, s13
	v_add_co_u32_e32 v18, vcc, s12, v18
	v_addc_co_u32_e32 v19, vcc, v9, v19, vcc
	global_load_dword v9, v[18:19], off
	s_waitcnt vmcnt(0)
	v_cmp_le_f32_e32 vcc, 0, v9
	v_cmp_ge_f32_e64 s[0:1], 1.0, v9
	s_and_b64 s[44:45], vcc, s[0:1]
	s_mov_b64 s[0:1], 0
	s_and_saveexec_b64 s[50:51], s[44:45]
	s_xor_b64 s[44:45], exec, s[50:51]
	s_cbranch_execz .LBB81_39
; %bb.38:                               ;   in Loop: Header=BB81_3 Depth=1
	v_cvt_f32_u32_e32 v18, v22
	v_mov_b32_e32 v19, 0x2f800000
	v_lshlrev_b64 v[16:17], 2, v[16:17]
	v_add_co_u32_e32 v16, vcc, s2, v16
	v_fmac_f32_e32 v19, 0x2f800000, v18
	v_mov_b32_e32 v18, s3
	v_addc_co_u32_e32 v17, vcc, v18, v17, vcc
	v_cmp_le_f32_e32 vcc, v19, v9
	v_cndmask_b32_e64 v9, 0, 1.0, vcc
	s_mov_b64 s[0:1], exec
	global_store_dword v[16:17], v9, off
.LBB81_39:                              ;   in Loop: Header=BB81_3 Depth=1
	s_or_b64 exec, exec, s[44:45]
	s_andn2_b64 s[50:51], s[40:41], exec
	s_or_b64 s[40:41], s[40:41], exec
	s_andn2_b64 s[48:49], s[48:49], exec
	s_and_b64 s[0:1], s[0:1], exec
.LBB81_40:                              ;   in Loop: Header=BB81_3 Depth=1
	s_or_b64 exec, exec, s[42:43]
	s_and_b64 s[44:45], s[50:51], exec
	s_and_b64 s[42:43], s[40:41], exec
	;; [unrolled: 1-line block ×4, first 2 shown]
.LBB81_41:                              ;   in Loop: Header=BB81_3 Depth=1
	s_andn2_saveexec_b64 s[0:1], s[46:47]
; %bb.42:                               ;   in Loop: Header=BB81_3 Depth=1
	v_cmp_lt_i32_e32 vcc, 1, v23
	s_andn2_b64 s[46:47], s[52:53], exec
	s_and_b64 s[48:49], vcc, exec
	s_mov_b64 s[38:39], exec
	s_andn2_b64 s[44:45], s[44:45], exec
	s_andn2_b64 s[42:43], s[42:43], exec
	;; [unrolled: 1-line block ×3, first 2 shown]
	s_or_b64 s[52:53], s[46:47], s[48:49]
; %bb.43:                               ;   in Loop: Header=BB81_3 Depth=1
	s_or_b64 exec, exec, s[0:1]
	s_mov_b64 s[46:47], 0
	s_mov_b64 s[0:1], 0
	;; [unrolled: 1-line block ×3, first 2 shown]
	s_and_saveexec_b64 s[50:51], s[52:53]
	s_cbranch_execnz .LBB81_46
; %bb.44:                               ;   in Loop: Header=BB81_3 Depth=1
	s_or_b64 exec, exec, s[50:51]
	s_and_saveexec_b64 s[50:51], s[38:39]
	s_cbranch_execnz .LBB81_49
.LBB81_45:                              ;   in Loop: Header=BB81_3 Depth=1
	s_or_b64 exec, exec, s[50:51]
	s_and_saveexec_b64 s[38:39], s[0:1]
	s_cbranch_execnz .LBB81_50
	s_branch .LBB81_53
.LBB81_46:                              ;   in Loop: Header=BB81_3 Depth=1
	v_lshlrev_b64 v[12:13], 2, v[12:13]
	s_waitcnt vmcnt(0)
	v_mov_b32_e32 v9, s13
	v_add_co_u32_e32 v12, vcc, s12, v12
	v_addc_co_u32_e32 v13, vcc, v9, v13, vcc
	global_load_dword v9, v[12:13], off
	s_waitcnt vmcnt(0)
	v_cmp_le_f32_e32 vcc, 0, v9
	v_cmp_ge_f32_e64 s[0:1], 1.0, v9
	s_and_b64 s[48:49], vcc, s[0:1]
	s_mov_b64 s[0:1], 0
	s_and_saveexec_b64 s[52:53], s[48:49]
	s_xor_b64 s[48:49], exec, s[52:53]
	s_cbranch_execz .LBB81_48
; %bb.47:                               ;   in Loop: Header=BB81_3 Depth=1
	v_cvt_f32_u32_e32 v12, v15
	v_mov_b32_e32 v13, 0x2f800000
	v_lshlrev_b64 v[10:11], 2, v[10:11]
	v_add_co_u32_e32 v10, vcc, s2, v10
	v_fmac_f32_e32 v13, 0x2f800000, v12
	v_mov_b32_e32 v12, s3
	v_addc_co_u32_e32 v11, vcc, v12, v11, vcc
	v_cmp_le_f32_e32 vcc, v13, v9
	v_cndmask_b32_e64 v9, 0, 1.0, vcc
	s_mov_b64 s[0:1], exec
	global_store_dword v[10:11], v9, off
.LBB81_48:                              ;   in Loop: Header=BB81_3 Depth=1
	s_or_b64 exec, exec, s[48:49]
	s_andn2_b64 s[48:49], s[44:45], exec
	s_or_b64 s[44:45], s[44:45], exec
	s_andn2_b64 s[42:43], s[42:43], exec
	s_andn2_b64 s[40:41], s[40:41], exec
	s_and_b64 s[0:1], s[0:1], exec
	s_andn2_b64 s[38:39], s[38:39], exec
	s_or_b64 exec, exec, s[50:51]
	s_and_saveexec_b64 s[50:51], s[38:39]
	s_cbranch_execz .LBB81_45
.LBB81_49:                              ;   in Loop: Header=BB81_3 Depth=1
	v_cmp_eq_u32_e32 vcc, 1, v23
	s_andn2_b64 s[0:1], s[0:1], exec
	s_and_b64 s[38:39], vcc, exec
	s_mov_b64 s[46:47], exec
	s_andn2_b64 s[48:49], s[48:49], exec
	s_andn2_b64 s[44:45], s[44:45], exec
	;; [unrolled: 1-line block ×4, first 2 shown]
	s_or_b64 s[0:1], s[0:1], s[38:39]
	s_or_b64 exec, exec, s[50:51]
	s_and_saveexec_b64 s[38:39], s[0:1]
	s_cbranch_execz .LBB81_53
.LBB81_50:                              ;   in Loop: Header=BB81_3 Depth=1
	v_lshlrev_b64 v[10:11], 2, v[4:5]
	v_mov_b32_e32 v4, s13
	v_add_co_u32_e32 v10, vcc, s12, v10
	v_addc_co_u32_e32 v11, vcc, v4, v11, vcc
	global_load_dword v4, v[10:11], off
	s_waitcnt vmcnt(0)
	v_cmp_le_f32_e32 vcc, 0, v4
	v_cmp_ge_f32_e64 s[0:1], 1.0, v4
	s_and_b64 s[52:53], vcc, s[0:1]
	s_mov_b64 s[0:1], 0
	s_and_saveexec_b64 s[50:51], s[52:53]
	s_cbranch_execz .LBB81_52
; %bb.51:                               ;   in Loop: Header=BB81_3 Depth=1
	v_cvt_f32_u32_e32 v10, v14
	v_mov_b32_e32 v9, v5
	v_mov_b32_e32 v11, 0x2f800000
	v_lshlrev_b64 v[8:9], 2, v[8:9]
	v_fmac_f32_e32 v11, 0x2f800000, v10
	v_mov_b32_e32 v10, s3
	v_add_co_u32_e32 v8, vcc, s2, v8
	v_addc_co_u32_e32 v9, vcc, v10, v9, vcc
	v_cmp_le_f32_e32 vcc, v11, v4
	s_mov_b64 s[0:1], exec
	v_cndmask_b32_e64 v4, 0, 1.0, vcc
	global_store_dword v[8:9], v4, off
.LBB81_52:                              ;   in Loop: Header=BB81_3 Depth=1
	s_or_b64 exec, exec, s[50:51]
	s_andn2_b64 s[46:47], s[46:47], exec
	s_and_b64 s[0:1], s[0:1], exec
	s_or_b64 s[48:49], s[48:49], exec
	s_andn2_b64 s[44:45], s[44:45], exec
	s_andn2_b64 s[42:43], s[42:43], exec
	;; [unrolled: 1-line block ×3, first 2 shown]
	s_or_b64 s[46:47], s[46:47], s[0:1]
.LBB81_53:                              ;   in Loop: Header=BB81_3 Depth=1
	s_or_b64 exec, exec, s[38:39]
	s_andn2_b64 s[36:37], s[36:37], exec
	s_and_b64 s[38:39], s[48:49], exec
	s_or_b64 s[36:37], s[36:37], s[38:39]
	s_andn2_b64 s[34:35], s[34:35], exec
	s_and_b64 s[38:39], s[44:45], exec
	s_or_b64 s[34:35], s[34:35], s[38:39]
	;; [unrolled: 3-line block ×3, first 2 shown]
	s_andn2_b64 s[28:29], s[28:29], exec
	s_and_b64 s[38:39], s[40:41], exec
	s_mov_b64 s[0:1], -1
	s_or_b64 s[28:29], s[28:29], s[38:39]
	s_and_saveexec_b64 s[38:39], s[46:47]
	s_cbranch_execz .LBB81_2
; %bb.54:                               ;   in Loop: Header=BB81_3 Depth=1
	v_add_u32_e32 v0, s57, v0
	v_cmp_le_u32_e32 vcc, s33, v0
	v_subrev_u32_e32 v36, s57, v36
	s_andn2_b64 s[36:37], s[36:37], exec
	s_andn2_b64 s[34:35], s[34:35], exec
	;; [unrolled: 1-line block ×4, first 2 shown]
	s_orn2_b64 s[0:1], vcc, exec
	s_branch .LBB81_2
.LBB81_55:
	s_or_b64 exec, exec, s[20:21]
	s_xor_b64 s[6:7], s[26:27], -1
	s_xor_b64 s[8:9], s[24:25], -1
	;; [unrolled: 1-line block ×3, first 2 shown]
	s_mov_b64 s[2:3], 0
	s_and_saveexec_b64 s[4:5], s[0:1]
	s_xor_b64 s[0:1], exec, s[4:5]
	s_cbranch_execnz .LBB81_60
; %bb.56:
	s_andn2_saveexec_b64 s[0:1], s[0:1]
	s_cbranch_execnz .LBB81_68
.LBB81_57:
	s_or_b64 exec, exec, s[0:1]
	s_and_b64 exec, exec, s[2:3]
.LBB81_58:
	; divergent unreachable
.LBB81_59:
	s_endpgm
.LBB81_60:
	s_mov_b64 s[4:5], 0
	s_and_saveexec_b64 s[2:3], s[8:9]
	s_xor_b64 s[2:3], exec, s[2:3]
	s_cbranch_execz .LBB81_66
; %bb.61:
	s_and_saveexec_b64 s[8:9], s[6:7]
	s_xor_b64 s[6:7], exec, s[8:9]
	s_cbranch_execz .LBB81_64
; %bb.62:
	s_and_saveexec_b64 s[8:9], s[18:19]
	s_xor_b64 s[8:9], exec, s[8:9]
	s_cbranch_execnz .LBB81_71
.LBB81_63:
	s_or_b64 exec, exec, s[8:9]
	s_and_b64 s[4:5], s[4:5], exec
.LBB81_64:
	s_andn2_saveexec_b64 s[6:7], s[6:7]
	s_cbranch_execnz .LBB81_70
.LBB81_65:
	s_or_b64 exec, exec, s[6:7]
	s_and_b64 s[4:5], s[4:5], exec
.LBB81_66:
	s_andn2_saveexec_b64 s[2:3], s[2:3]
	s_cbranch_execnz .LBB81_69
.LBB81_67:
	s_or_b64 exec, exec, s[2:3]
	s_and_b64 s[2:3], s[4:5], exec
	s_andn2_saveexec_b64 s[0:1], s[0:1]
	s_cbranch_execz .LBB81_57
.LBB81_68:
	s_or_b64 s[2:3], s[2:3], exec
	s_trap 2
	s_or_b64 exec, exec, s[0:1]
	s_and_b64 exec, exec, s[2:3]
	s_cbranch_execnz .LBB81_58
	s_branch .LBB81_59
.LBB81_69:
	s_or_b64 s[4:5], s[4:5], exec
	s_trap 2
	s_branch .LBB81_67
.LBB81_70:
	s_trap 2
	s_or_b64 s[4:5], s[4:5], exec
	s_branch .LBB81_65
.LBB81_71:
	s_mov_b64 s[4:5], exec
	s_trap 2
	s_branch .LBB81_63
	.section	.rodata,"a",@progbits
	.p2align	6, 0x0
	.amdhsa_kernel _ZN2at4cuda12_GLOBAL__N_121kernelPointwiseApply2IZNS_6native9templates4cuda28bernoulli_tensor_cuda_kernelIffEEvRKNS_10TensorBaseES9_NS_15PhiloxCudaStateEEUliRfSB_SB_SB_RKfSD_SD_SD_E_fSC_jLi2ELi2ELi4ELi512ELi2EEEvNS0_6detail10TensorInfoIT0_T2_EENSG_IT1_SI_EESI_T_
		.amdhsa_group_segment_fixed_size 0
		.amdhsa_private_segment_fixed_size 0
		.amdhsa_kernarg_size 728
		.amdhsa_user_sgpr_count 6
		.amdhsa_user_sgpr_private_segment_buffer 1
		.amdhsa_user_sgpr_dispatch_ptr 0
		.amdhsa_user_sgpr_queue_ptr 0
		.amdhsa_user_sgpr_kernarg_segment_ptr 1
		.amdhsa_user_sgpr_dispatch_id 0
		.amdhsa_user_sgpr_flat_scratch_init 0
		.amdhsa_user_sgpr_kernarg_preload_length 0
		.amdhsa_user_sgpr_kernarg_preload_offset 0
		.amdhsa_user_sgpr_private_segment_size 0
		.amdhsa_uses_dynamic_stack 0
		.amdhsa_system_sgpr_private_segment_wavefront_offset 0
		.amdhsa_system_sgpr_workgroup_id_x 1
		.amdhsa_system_sgpr_workgroup_id_y 0
		.amdhsa_system_sgpr_workgroup_id_z 0
		.amdhsa_system_sgpr_workgroup_info 0
		.amdhsa_system_vgpr_workitem_id 0
		.amdhsa_next_free_vgpr 55
		.amdhsa_next_free_sgpr 62
		.amdhsa_accum_offset 56
		.amdhsa_reserve_vcc 1
		.amdhsa_reserve_flat_scratch 0
		.amdhsa_float_round_mode_32 0
		.amdhsa_float_round_mode_16_64 0
		.amdhsa_float_denorm_mode_32 3
		.amdhsa_float_denorm_mode_16_64 3
		.amdhsa_dx10_clamp 1
		.amdhsa_ieee_mode 1
		.amdhsa_fp16_overflow 0
		.amdhsa_tg_split 0
		.amdhsa_exception_fp_ieee_invalid_op 0
		.amdhsa_exception_fp_denorm_src 0
		.amdhsa_exception_fp_ieee_div_zero 0
		.amdhsa_exception_fp_ieee_overflow 0
		.amdhsa_exception_fp_ieee_underflow 0
		.amdhsa_exception_fp_ieee_inexact 0
		.amdhsa_exception_int_div_zero 0
	.end_amdhsa_kernel
	.section	.text._ZN2at4cuda12_GLOBAL__N_121kernelPointwiseApply2IZNS_6native9templates4cuda28bernoulli_tensor_cuda_kernelIffEEvRKNS_10TensorBaseES9_NS_15PhiloxCudaStateEEUliRfSB_SB_SB_RKfSD_SD_SD_E_fSC_jLi2ELi2ELi4ELi512ELi2EEEvNS0_6detail10TensorInfoIT0_T2_EENSG_IT1_SI_EESI_T_,"axG",@progbits,_ZN2at4cuda12_GLOBAL__N_121kernelPointwiseApply2IZNS_6native9templates4cuda28bernoulli_tensor_cuda_kernelIffEEvRKNS_10TensorBaseES9_NS_15PhiloxCudaStateEEUliRfSB_SB_SB_RKfSD_SD_SD_E_fSC_jLi2ELi2ELi4ELi512ELi2EEEvNS0_6detail10TensorInfoIT0_T2_EENSG_IT1_SI_EESI_T_,comdat
.Lfunc_end81:
	.size	_ZN2at4cuda12_GLOBAL__N_121kernelPointwiseApply2IZNS_6native9templates4cuda28bernoulli_tensor_cuda_kernelIffEEvRKNS_10TensorBaseES9_NS_15PhiloxCudaStateEEUliRfSB_SB_SB_RKfSD_SD_SD_E_fSC_jLi2ELi2ELi4ELi512ELi2EEEvNS0_6detail10TensorInfoIT0_T2_EENSG_IT1_SI_EESI_T_, .Lfunc_end81-_ZN2at4cuda12_GLOBAL__N_121kernelPointwiseApply2IZNS_6native9templates4cuda28bernoulli_tensor_cuda_kernelIffEEvRKNS_10TensorBaseES9_NS_15PhiloxCudaStateEEUliRfSB_SB_SB_RKfSD_SD_SD_E_fSC_jLi2ELi2ELi4ELi512ELi2EEEvNS0_6detail10TensorInfoIT0_T2_EENSG_IT1_SI_EESI_T_
                                        ; -- End function
	.section	.AMDGPU.csdata,"",@progbits
; Kernel info:
; codeLenInByte = 3460
; NumSgprs: 66
; NumVgprs: 55
; NumAgprs: 0
; TotalNumVgprs: 55
; ScratchSize: 0
; MemoryBound: 0
; FloatMode: 240
; IeeeMode: 1
; LDSByteSize: 0 bytes/workgroup (compile time only)
; SGPRBlocks: 8
; VGPRBlocks: 6
; NumSGPRsForWavesPerEU: 66
; NumVGPRsForWavesPerEU: 55
; AccumOffset: 56
; Occupancy: 8
; WaveLimiterHint : 1
; COMPUTE_PGM_RSRC2:SCRATCH_EN: 0
; COMPUTE_PGM_RSRC2:USER_SGPR: 6
; COMPUTE_PGM_RSRC2:TRAP_HANDLER: 0
; COMPUTE_PGM_RSRC2:TGID_X_EN: 1
; COMPUTE_PGM_RSRC2:TGID_Y_EN: 0
; COMPUTE_PGM_RSRC2:TGID_Z_EN: 0
; COMPUTE_PGM_RSRC2:TIDIG_COMP_CNT: 0
; COMPUTE_PGM_RSRC3_GFX90A:ACCUM_OFFSET: 13
; COMPUTE_PGM_RSRC3_GFX90A:TG_SPLIT: 0
	.section	.text._ZN2at4cuda12_GLOBAL__N_121kernelPointwiseApply2IZNS_6native9templates4cuda28bernoulli_tensor_cuda_kernelIffEEvRKNS_10TensorBaseES9_NS_15PhiloxCudaStateEEUliRfSB_SB_SB_RKfSD_SD_SD_E_fSC_jLi2ELin1ELi4ELi512ELi2EEEvNS0_6detail10TensorInfoIT0_T2_EENSG_IT1_SI_EESI_T_,"axG",@progbits,_ZN2at4cuda12_GLOBAL__N_121kernelPointwiseApply2IZNS_6native9templates4cuda28bernoulli_tensor_cuda_kernelIffEEvRKNS_10TensorBaseES9_NS_15PhiloxCudaStateEEUliRfSB_SB_SB_RKfSD_SD_SD_E_fSC_jLi2ELin1ELi4ELi512ELi2EEEvNS0_6detail10TensorInfoIT0_T2_EENSG_IT1_SI_EESI_T_,comdat
	.globl	_ZN2at4cuda12_GLOBAL__N_121kernelPointwiseApply2IZNS_6native9templates4cuda28bernoulli_tensor_cuda_kernelIffEEvRKNS_10TensorBaseES9_NS_15PhiloxCudaStateEEUliRfSB_SB_SB_RKfSD_SD_SD_E_fSC_jLi2ELin1ELi4ELi512ELi2EEEvNS0_6detail10TensorInfoIT0_T2_EENSG_IT1_SI_EESI_T_ ; -- Begin function _ZN2at4cuda12_GLOBAL__N_121kernelPointwiseApply2IZNS_6native9templates4cuda28bernoulli_tensor_cuda_kernelIffEEvRKNS_10TensorBaseES9_NS_15PhiloxCudaStateEEUliRfSB_SB_SB_RKfSD_SD_SD_E_fSC_jLi2ELin1ELi4ELi512ELi2EEEvNS0_6detail10TensorInfoIT0_T2_EENSG_IT1_SI_EESI_T_
	.p2align	8
	.type	_ZN2at4cuda12_GLOBAL__N_121kernelPointwiseApply2IZNS_6native9templates4cuda28bernoulli_tensor_cuda_kernelIffEEvRKNS_10TensorBaseES9_NS_15PhiloxCudaStateEEUliRfSB_SB_SB_RKfSD_SD_SD_E_fSC_jLi2ELin1ELi4ELi512ELi2EEEvNS0_6detail10TensorInfoIT0_T2_EENSG_IT1_SI_EESI_T_,@function
_ZN2at4cuda12_GLOBAL__N_121kernelPointwiseApply2IZNS_6native9templates4cuda28bernoulli_tensor_cuda_kernelIffEEvRKNS_10TensorBaseES9_NS_15PhiloxCudaStateEEUliRfSB_SB_SB_RKfSD_SD_SD_E_fSC_jLi2ELin1ELi4ELi512ELi2EEEvNS0_6detail10TensorInfoIT0_T2_EENSG_IT1_SI_EESI_T_: ; @_ZN2at4cuda12_GLOBAL__N_121kernelPointwiseApply2IZNS_6native9templates4cuda28bernoulli_tensor_cuda_kernelIffEEvRKNS_10TensorBaseES9_NS_15PhiloxCudaStateEEUliRfSB_SB_SB_RKfSD_SD_SD_E_fSC_jLi2ELin1ELi4ELi512ELi2EEEvNS0_6detail10TensorInfoIT0_T2_EENSG_IT1_SI_EESI_T_
; %bb.0:
	s_load_dword s2, s[4:5], 0x1e4
	s_load_dword s33, s[4:5], 0x1b0
	s_add_u32 s0, s4, 0x1d8
	s_addc_u32 s1, s5, 0
	s_waitcnt lgkmcnt(0)
	s_and_b32 s2, s2, 0xffff
	s_mul_i32 s6, s6, s2
	v_add_u32_e32 v5, s6, v0
	v_lshlrev_b32_e32 v34, 2, v5
	v_cmp_gt_u32_e32 vcc, s33, v34
	s_and_saveexec_b64 s[6:7], vcc
	s_cbranch_execz .LBB82_73
; %bb.1:
	s_load_dword s3, s[0:1], 0x0
	s_load_dwordx2 s[6:7], s[4:5], 0x1c8
	s_load_dwordx4 s[8:11], s[4:5], 0x1b8
	s_load_dword s20, s[4:5], 0x1a8
	s_load_dwordx2 s[12:13], s[4:5], 0x0
	s_load_dword s54, s[4:5], 0xc
	s_waitcnt lgkmcnt(0)
	s_mul_i32 s21, s3, s2
	s_load_dword s2, s[4:5], 0x1d0
	s_load_dword s55, s[4:5], 0x144
	s_add_u32 s18, s4, 0xd8
	s_addc_u32 s19, s5, 0
	v_cvt_f32_u32_e32 v0, s54
	s_cmp_gt_i32 s20, 1
	s_mov_b32 s56, 0xcd9e8d57
	s_cselect_b64 s[0:1], -1, 0
	v_rcp_iflag_f32_e32 v2, v0
	s_waitcnt lgkmcnt(0)
	s_bitcmp1_b32 s2, 0
	v_mad_u64_u32 v[0:1], s[2:3], v5, s56, 0
	v_mul_f32_e32 v2, 0x4f7ffffe, v2
	v_cvt_u32_f32_e32 v2, v2
	s_load_dwordx2 s[14:15], s[4:5], 0x6c
	s_load_dwordx2 s[16:17], s[4:5], 0xd8
	s_cselect_b64 s[4:5], -1, 0
	s_sub_i32 s2, 0, s54
	s_mov_b32 s3, 0
	v_mov_b32_e32 v4, v1
	v_mul_lo_u32 v1, s2, v2
	s_add_i32 s2, s20, -1
	s_lshl_b32 s57, s21, 2
	s_add_i32 s58, s20, 1
	s_lshl_b64 s[2:3], s[2:3], 2
	s_add_u32 s2, s2, s18
	s_addc_u32 s3, s3, s19
	v_mul_hi_u32 v1, v2, v1
	s_add_u32 s20, s2, 8
	v_mov_b32_e32 v3, 0
	v_add_u32_e32 v1, v2, v1
	s_addc_u32 s21, s3, 0
	s_mov_b64 s[22:23], 0
	v_cndmask_b32_e64 v35, 0, 1, s[0:1]
	s_mov_b32 s59, 0xd2511f53
	s_mov_b32 s60, 0xf1bbcdc8
                                        ; implicit-def: $sgpr24_sgpr25
                                        ; implicit-def: $sgpr26_sgpr27
                                        ; implicit-def: $sgpr28_sgpr29
                                        ; implicit-def: $sgpr18_sgpr19
                                        ; implicit-def: $sgpr30_sgpr31
                                        ; implicit-def: $sgpr34_sgpr35
                                        ; implicit-def: $sgpr36_sgpr37
                                        ; implicit-def: $sgpr38_sgpr39
	s_branch .LBB82_3
.LBB82_2:                               ;   in Loop: Header=BB82_3 Depth=1
	s_or_b64 exec, exec, s[2:3]
	s_and_b64 s[0:1], exec, s[0:1]
	s_or_b64 s[22:23], s[0:1], s[22:23]
	s_andn2_b64 s[0:1], s[18:19], exec
	s_and_b64 s[2:3], s[38:39], exec
	s_or_b64 s[18:19], s[0:1], s[2:3]
	s_andn2_b64 s[0:1], s[28:29], exec
	s_and_b64 s[2:3], s[36:37], exec
	;; [unrolled: 3-line block ×4, first 2 shown]
	s_or_b64 s[24:25], s[0:1], s[2:3]
	s_andn2_b64 exec, exec, s[22:23]
	s_cbranch_execz .LBB82_69
.LBB82_3:                               ; =>This Loop Header: Depth=1
                                        ;     Child Loop BB82_8 Depth 2
                                        ;     Child Loop BB82_15 Depth 2
	;; [unrolled: 1-line block ×4, first 2 shown]
	v_sub_u32_e32 v36, s33, v34
	v_cmp_lt_i32_e32 vcc, 0, v36
	v_mov_b32_e32 v6, 0
	s_and_saveexec_b64 s[2:3], vcc
	s_cbranch_execz .LBB82_5
; %bb.4:                                ;   in Loop: Header=BB82_3 Depth=1
	v_mul_hi_u32 v2, v34, v1
	v_mul_lo_u32 v6, v2, s54
	v_sub_u32_e32 v6, v34, v6
	v_add_u32_e32 v7, 1, v2
	v_cmp_le_u32_e64 s[0:1], s54, v6
	v_cndmask_b32_e64 v2, v2, v7, s[0:1]
	v_subrev_u32_e32 v7, s54, v6
	v_cndmask_b32_e64 v6, v6, v7, s[0:1]
	v_add_u32_e32 v7, 1, v2
	v_cmp_le_u32_e64 s[0:1], s54, v6
	v_cndmask_b32_e64 v6, v2, v7, s[0:1]
	v_mul_lo_u32 v2, v6, s54
	v_sub_u32_e32 v2, v34, v2
	s_waitcnt lgkmcnt(0)
	v_mul_lo_u32 v2, v2, s15
	v_mad_u64_u32 v[6:7], s[0:1], v6, s14, v[2:3]
.LBB82_5:                               ;   in Loop: Header=BB82_3 Depth=1
	s_or_b64 exec, exec, s[2:3]
	v_mov_b32_e32 v8, 0
	v_cmp_ne_u32_e64 s[0:1], 1, v35
	s_and_saveexec_b64 s[2:3], vcc
	s_cbranch_execz .LBB82_10
; %bb.6:                                ;   in Loop: Header=BB82_3 Depth=1
	s_and_b64 vcc, exec, s[0:1]
	v_mov_b32_e32 v8, 0
	v_mov_b32_e32 v2, v34
	s_cbranch_vccnz .LBB82_9
; %bb.7:                                ;   in Loop: Header=BB82_3 Depth=1
	v_mov_b32_e32 v8, 0
	s_mov_b64 s[40:41], s[20:21]
	s_mov_b32 s42, s58
	v_mov_b32_e32 v2, v34
.LBB82_8:                               ;   Parent Loop BB82_3 Depth=1
                                        ; =>  This Inner Loop Header: Depth=2
	s_load_dword s43, s[40:41], 0x0
	s_load_dword s44, s[40:41], 0x64
	v_mov_b32_e32 v7, v2
	s_add_i32 s42, s42, -1
	s_waitcnt lgkmcnt(0)
	v_cvt_f32_u32_e32 v2, s43
	s_sub_i32 s45, 0, s43
	s_add_u32 s40, s40, -4
	s_addc_u32 s41, s41, -1
	v_rcp_iflag_f32_e32 v2, v2
	s_cmp_gt_u32 s42, 2
	v_mul_f32_e32 v2, 0x4f7ffffe, v2
	v_cvt_u32_f32_e32 v2, v2
	s_waitcnt vmcnt(0)
	v_mul_lo_u32 v9, s45, v2
	v_mul_hi_u32 v9, v2, v9
	v_add_u32_e32 v2, v2, v9
	v_mul_hi_u32 v2, v7, v2
	v_mul_lo_u32 v9, v2, s43
	v_sub_u32_e32 v9, v7, v9
	v_add_u32_e32 v10, 1, v2
	v_cmp_le_u32_e32 vcc, s43, v9
	v_cndmask_b32_e32 v2, v2, v10, vcc
	v_subrev_u32_e32 v10, s43, v9
	v_cndmask_b32_e32 v9, v9, v10, vcc
	v_add_u32_e32 v10, 1, v2
	v_cmp_le_u32_e32 vcc, s43, v9
	v_cndmask_b32_e32 v2, v2, v10, vcc
	v_mul_lo_u32 v9, v2, s43
	v_sub_u32_e32 v7, v7, v9
	v_mad_u64_u32 v[8:9], s[44:45], s44, v7, v[8:9]
	s_cbranch_scc1 .LBB82_8
.LBB82_9:                               ;   in Loop: Header=BB82_3 Depth=1
	s_waitcnt vmcnt(0)
	v_mad_u64_u32 v[8:9], s[40:41], s55, v2, v[8:9]
.LBB82_10:                              ;   in Loop: Header=BB82_3 Depth=1
	s_or_b64 exec, exec, s[2:3]
	v_or_b32_e32 v7, 1, v34
	v_cmp_lt_i32_e32 vcc, 1, v36
	v_mov_b32_e32 v2, 0
	v_mov_b32_e32 v10, 0
	s_and_saveexec_b64 s[40:41], vcc
	s_cbranch_execz .LBB82_12
; %bb.11:                               ;   in Loop: Header=BB82_3 Depth=1
	s_waitcnt vmcnt(0)
	v_mul_hi_u32 v9, v7, v1
	v_mul_lo_u32 v10, v9, s54
	v_sub_u32_e32 v10, v7, v10
	v_add_u32_e32 v11, 1, v9
	v_cmp_le_u32_e64 s[2:3], s54, v10
	v_cndmask_b32_e64 v9, v9, v11, s[2:3]
	v_subrev_u32_e32 v11, s54, v10
	v_cndmask_b32_e64 v10, v10, v11, s[2:3]
	v_add_u32_e32 v11, 1, v9
	v_cmp_le_u32_e64 s[2:3], s54, v10
	v_cndmask_b32_e64 v9, v9, v11, s[2:3]
	v_mul_lo_u32 v10, v9, s54
	v_sub_u32_e32 v10, v7, v10
	s_waitcnt lgkmcnt(0)
	v_mul_lo_u32 v10, v10, s15
	v_mad_u64_u32 v[10:11], s[2:3], v9, s14, v[10:11]
.LBB82_12:                              ;   in Loop: Header=BB82_3 Depth=1
	s_or_b64 exec, exec, s[40:41]
	s_and_saveexec_b64 s[2:3], vcc
	s_cbranch_execz .LBB82_17
; %bb.13:                               ;   in Loop: Header=BB82_3 Depth=1
	s_and_b64 vcc, exec, s[0:1]
	v_mov_b32_e32 v12, 0
	s_cbranch_vccnz .LBB82_16
; %bb.14:                               ;   in Loop: Header=BB82_3 Depth=1
	v_mov_b32_e32 v12, 0
	s_mov_b64 s[40:41], s[20:21]
	s_mov_b32 s42, s58
.LBB82_15:                              ;   Parent Loop BB82_3 Depth=1
                                        ; =>  This Inner Loop Header: Depth=2
	s_load_dword s43, s[40:41], 0x0
	s_load_dword s44, s[40:41], 0x64
	v_mov_b32_e32 v2, v7
	s_add_i32 s42, s42, -1
	s_waitcnt lgkmcnt(0)
	v_cvt_f32_u32_e32 v7, s43
	s_sub_i32 s45, 0, s43
	s_add_u32 s40, s40, -4
	s_addc_u32 s41, s41, -1
	v_rcp_iflag_f32_e32 v7, v7
	s_cmp_gt_u32 s42, 2
	v_mul_f32_e32 v7, 0x4f7ffffe, v7
	v_cvt_u32_f32_e32 v7, v7
	s_waitcnt vmcnt(0)
	v_mul_lo_u32 v9, s45, v7
	v_mul_hi_u32 v9, v7, v9
	v_add_u32_e32 v7, v7, v9
	v_mul_hi_u32 v7, v2, v7
	v_mul_lo_u32 v9, v7, s43
	v_sub_u32_e32 v9, v2, v9
	v_add_u32_e32 v11, 1, v7
	v_cmp_le_u32_e32 vcc, s43, v9
	v_cndmask_b32_e32 v7, v7, v11, vcc
	v_subrev_u32_e32 v11, s43, v9
	v_cndmask_b32_e32 v9, v9, v11, vcc
	v_add_u32_e32 v11, 1, v7
	v_cmp_le_u32_e32 vcc, s43, v9
	v_cndmask_b32_e32 v7, v7, v11, vcc
	v_mul_lo_u32 v9, v7, s43
	v_sub_u32_e32 v2, v2, v9
	v_mad_u64_u32 v[12:13], s[44:45], s44, v2, v[12:13]
	s_cbranch_scc1 .LBB82_15
.LBB82_16:                              ;   in Loop: Header=BB82_3 Depth=1
	v_mad_u64_u32 v[12:13], s[40:41], s55, v7, v[12:13]
	v_mov_b32_e32 v2, v12
.LBB82_17:                              ;   in Loop: Header=BB82_3 Depth=1
	s_or_b64 exec, exec, s[2:3]
	v_or_b32_e32 v7, 2, v34
	v_cmp_lt_i32_e32 vcc, 2, v36
	v_mov_b32_e32 v12, 0
	s_and_saveexec_b64 s[40:41], vcc
	s_cbranch_execz .LBB82_19
; %bb.18:                               ;   in Loop: Header=BB82_3 Depth=1
	s_waitcnt vmcnt(0)
	v_mul_hi_u32 v9, v7, v1
	v_mul_lo_u32 v11, v9, s54
	v_sub_u32_e32 v11, v7, v11
	v_add_u32_e32 v12, 1, v9
	v_cmp_le_u32_e64 s[2:3], s54, v11
	v_cndmask_b32_e64 v9, v9, v12, s[2:3]
	v_subrev_u32_e32 v12, s54, v11
	v_cndmask_b32_e64 v11, v11, v12, s[2:3]
	v_add_u32_e32 v12, 1, v9
	v_cmp_le_u32_e64 s[2:3], s54, v11
	v_cndmask_b32_e64 v9, v9, v12, s[2:3]
	v_mul_lo_u32 v11, v9, s54
	v_sub_u32_e32 v11, v7, v11
	s_waitcnt lgkmcnt(0)
	v_mul_lo_u32 v12, v11, s15
	v_mad_u64_u32 v[12:13], s[2:3], v9, s14, v[12:13]
.LBB82_19:                              ;   in Loop: Header=BB82_3 Depth=1
	s_or_b64 exec, exec, s[40:41]
	v_pk_mov_b32 v[14:15], 0, 0
	s_and_saveexec_b64 s[2:3], vcc
	s_cbranch_execz .LBB82_24
; %bb.20:                               ;   in Loop: Header=BB82_3 Depth=1
	s_and_b64 vcc, exec, s[0:1]
	v_mov_b32_e32 v14, 0
	s_cbranch_vccnz .LBB82_23
; %bb.21:                               ;   in Loop: Header=BB82_3 Depth=1
	v_mov_b32_e32 v14, 0
	s_mov_b64 s[40:41], s[20:21]
	s_mov_b32 s42, s58
.LBB82_22:                              ;   Parent Loop BB82_3 Depth=1
                                        ; =>  This Inner Loop Header: Depth=2
	s_load_dword s43, s[40:41], 0x0
	s_load_dword s44, s[40:41], 0x64
	s_waitcnt vmcnt(0)
	v_mov_b32_e32 v9, v7
	s_add_i32 s42, s42, -1
	s_waitcnt lgkmcnt(0)
	v_cvt_f32_u32_e32 v7, s43
	s_sub_i32 s45, 0, s43
	s_add_u32 s40, s40, -4
	s_addc_u32 s41, s41, -1
	v_rcp_iflag_f32_e32 v7, v7
	s_cmp_gt_u32 s42, 2
	v_mul_f32_e32 v7, 0x4f7ffffe, v7
	v_cvt_u32_f32_e32 v7, v7
	v_mul_lo_u32 v11, s45, v7
	v_mul_hi_u32 v11, v7, v11
	v_add_u32_e32 v7, v7, v11
	v_mul_hi_u32 v7, v9, v7
	v_mul_lo_u32 v11, v7, s43
	v_sub_u32_e32 v11, v9, v11
	v_add_u32_e32 v13, 1, v7
	v_cmp_le_u32_e32 vcc, s43, v11
	v_cndmask_b32_e32 v7, v7, v13, vcc
	v_subrev_u32_e32 v13, s43, v11
	v_cndmask_b32_e32 v11, v11, v13, vcc
	v_add_u32_e32 v13, 1, v7
	v_cmp_le_u32_e32 vcc, s43, v11
	v_cndmask_b32_e32 v7, v7, v13, vcc
	v_mul_lo_u32 v11, v7, s43
	v_sub_u32_e32 v9, v9, v11
	v_mad_u64_u32 v[14:15], s[44:45], s44, v9, v[14:15]
	s_cbranch_scc1 .LBB82_22
.LBB82_23:                              ;   in Loop: Header=BB82_3 Depth=1
	v_mad_u64_u32 v[14:15], s[40:41], s55, v7, v[14:15]
	v_mov_b32_e32 v15, v3
.LBB82_24:                              ;   in Loop: Header=BB82_3 Depth=1
	s_or_b64 exec, exec, s[2:3]
	v_pk_mov_b32 v[16:17], 0, 0
	v_or_b32_e32 v7, 3, v34
	v_cmp_lt_i32_e32 vcc, 3, v36
	v_pk_mov_b32 v[18:19], v[16:17], v[16:17] op_sel:[0,1]
	s_and_saveexec_b64 s[40:41], vcc
	s_cbranch_execz .LBB82_26
; %bb.25:                               ;   in Loop: Header=BB82_3 Depth=1
	s_waitcnt vmcnt(0)
	v_mul_hi_u32 v9, v7, v1
	v_mul_lo_u32 v11, v9, s54
	v_sub_u32_e32 v11, v7, v11
	v_add_u32_e32 v13, 1, v9
	v_cmp_le_u32_e64 s[2:3], s54, v11
	v_cndmask_b32_e64 v9, v9, v13, s[2:3]
	v_subrev_u32_e32 v13, s54, v11
	v_cndmask_b32_e64 v11, v11, v13, s[2:3]
	v_add_u32_e32 v13, 1, v9
	v_cmp_le_u32_e64 s[2:3], s54, v11
	v_cndmask_b32_e64 v9, v9, v13, s[2:3]
	v_mul_lo_u32 v11, v9, s54
	v_sub_u32_e32 v11, v7, v11
	s_waitcnt lgkmcnt(0)
	v_mul_lo_u32 v18, v11, s15
	v_mad_u64_u32 v[18:19], s[2:3], v9, s14, v[18:19]
	v_mov_b32_e32 v19, v3
.LBB82_26:                              ;   in Loop: Header=BB82_3 Depth=1
	s_or_b64 exec, exec, s[40:41]
	s_and_saveexec_b64 s[2:3], vcc
	s_cbranch_execz .LBB82_31
; %bb.27:                               ;   in Loop: Header=BB82_3 Depth=1
	s_and_b64 vcc, exec, s[0:1]
	v_mov_b32_e32 v16, 0
	s_cbranch_vccnz .LBB82_30
; %bb.28:                               ;   in Loop: Header=BB82_3 Depth=1
	v_mov_b32_e32 v16, 0
	s_mov_b64 s[0:1], s[20:21]
	s_mov_b32 s40, s58
.LBB82_29:                              ;   Parent Loop BB82_3 Depth=1
                                        ; =>  This Inner Loop Header: Depth=2
	s_load_dword s41, s[0:1], 0x0
	s_load_dword s42, s[0:1], 0x64
	s_waitcnt vmcnt(0)
	v_mov_b32_e32 v9, v7
	s_add_i32 s40, s40, -1
	s_waitcnt lgkmcnt(0)
	v_cvt_f32_u32_e32 v7, s41
	s_sub_i32 s43, 0, s41
	s_add_u32 s0, s0, -4
	s_addc_u32 s1, s1, -1
	v_rcp_iflag_f32_e32 v7, v7
	s_cmp_gt_u32 s40, 2
	v_mul_f32_e32 v7, 0x4f7ffffe, v7
	v_cvt_u32_f32_e32 v7, v7
	v_mul_lo_u32 v11, s43, v7
	v_mul_hi_u32 v11, v7, v11
	v_add_u32_e32 v7, v7, v11
	v_mul_hi_u32 v7, v9, v7
	v_mul_lo_u32 v11, v7, s41
	v_sub_u32_e32 v11, v9, v11
	v_add_u32_e32 v13, 1, v7
	v_cmp_le_u32_e32 vcc, s41, v11
	v_cndmask_b32_e32 v7, v7, v13, vcc
	v_subrev_u32_e32 v13, s41, v11
	v_cndmask_b32_e32 v11, v11, v13, vcc
	v_add_u32_e32 v13, 1, v7
	v_cmp_le_u32_e32 vcc, s41, v11
	v_cndmask_b32_e32 v7, v7, v13, vcc
	v_mul_lo_u32 v11, v7, s41
	v_sub_u32_e32 v9, v9, v11
	v_mad_u64_u32 v[16:17], s[42:43], s42, v9, v[16:17]
	s_cbranch_scc1 .LBB82_29
.LBB82_30:                              ;   in Loop: Header=BB82_3 Depth=1
	v_mad_u64_u32 v[16:17], s[0:1], s55, v7, v[16:17]
	v_mov_b32_e32 v17, v3
.LBB82_31:                              ;   in Loop: Header=BB82_3 Depth=1
	s_or_b64 exec, exec, s[2:3]
	v_lshlrev_b64 v[16:17], 2, v[16:17]
	s_waitcnt lgkmcnt(0)
	v_mov_b32_e32 v7, s17
	v_add_co_u32_e32 v16, vcc, s16, v16
	v_addc_co_u32_e32 v17, vcc, v7, v17, vcc
	global_load_dword v9, v[16:17], off
	s_andn2_b64 vcc, exec, s[4:5]
	v_pk_mov_b32 v[16:17], s[10:11], s[10:11] op_sel:[0,1]
	v_pk_mov_b32 v[20:21], s[8:9], s[8:9] op_sel:[0,1]
	s_cbranch_vccnz .LBB82_33
; %bb.32:                               ;   in Loop: Header=BB82_3 Depth=1
	v_pk_mov_b32 v[16:17], s[10:11], s[10:11] op_sel:[0,1]
	flat_load_dwordx2 v[16:17], v[16:17]
	v_pk_mov_b32 v[20:21], s[8:9], s[8:9] op_sel:[0,1]
	flat_load_dwordx2 v[20:21], v[20:21]
	v_mov_b32_e32 v7, s7
	s_waitcnt vmcnt(0) lgkmcnt(0)
	v_add_co_u32_e32 v16, vcc, s6, v16
	v_addc_co_u32_e32 v17, vcc, v17, v7, vcc
.LBB82_33:                              ;   in Loop: Header=BB82_3 Depth=1
	v_alignbit_b32 v7, v17, v16, 2
	v_lshrrev_b32_e32 v13, 2, v17
	v_xor_b32_e32 v22, v4, v20
	v_and_b32_e32 v11, 3, v16
	v_mad_u64_u32 v[16:17], s[0:1], v7, s59, 0
	v_xor_b32_e32 v22, v22, v13
	v_xor_b32_e32 v17, v17, v21
	v_add_u32_e32 v40, 0xbb67ae85, v21
	v_mad_u64_u32 v[22:23], s[0:1], v22, s59, 0
	v_mad_u64_u32 v[24:25], s[0:1], v17, s56, 0
	v_xor_b32_e32 v23, v40, v23
	v_add_u32_e32 v39, 0x9e3779b9, v20
	v_xor_b32_e32 v17, v0, v25
	v_xor_b32_e32 v23, v23, v16
	v_xor_b32_e32 v17, v17, v39
	v_add_u32_e32 v41, 0x3c6ef372, v20
	v_mad_u64_u32 v[26:27], s[0:1], v23, s56, 0
	v_add_u32_e32 v42, 0x76cf5d0a, v21
	v_mad_u64_u32 v[16:17], s[0:1], v17, s59, 0
	v_xor_b32_e32 v23, v41, v27
	v_xor_b32_e32 v23, v23, v24
	v_xor_b32_e32 v17, v42, v17
	v_xor_b32_e32 v17, v17, v22
	v_add_u32_e32 v44, 0x32370b8f, v21
	v_mad_u64_u32 v[22:23], s[0:1], v23, s59, 0
	v_add_u32_e32 v43, 0xdaa66d2b, v20
	v_mad_u64_u32 v[24:25], s[0:1], v17, s56, 0
	v_xor_b32_e32 v23, v44, v23
	;; [unrolled: 8-line block ×5, first 2 shown]
	v_xor_b32_e32 v23, v23, v24
	v_xor_b32_e32 v17, v50, v17
	;; [unrolled: 1-line block ×3, first 2 shown]
	v_add_u32_e32 v52, 0x1fd5c5a3, v21
	v_mad_u64_u32 v[22:23], s[0:1], v23, s59, 0
	v_xor_b32_e32 v23, v52, v23
	v_xor_b32_e32 v16, v23, v16
	v_add_u32_e32 v51, 0x5384540f, v20
	v_mad_u64_u32 v[28:29], s[0:1], v17, s56, 0
	v_add_co_u32_e32 v37, vcc, s60, v20
	v_mad_u64_u32 v[24:25], s[0:1], v16, s56, 0
	v_xor_b32_e32 v17, v51, v29
	v_xor_b32_e32 v16, v37, v25
	;; [unrolled: 1-line block ×4, first 2 shown]
	v_mad_u64_u32 v[26:27], s[0:1], v17, s59, 0
	v_mad_u64_u32 v[16:17], s[0:1], v16, s59, 0
	v_add_co_u32_e32 v7, vcc, 1, v7
	v_xor_b32_e32 v17, v17, v26
	v_cndmask_b32_e64 v26, 0, 1, vcc
	v_addc_co_u32_e32 v13, vcc, 0, v13, vcc
	v_cmp_eq_u32_e32 vcc, 0, v13
	v_cndmask_b32_e32 v26, 0, v26, vcc
	v_add_u32_e32 v30, v26, v5
	v_cmp_eq_u32_e32 vcc, 0, v30
	v_mad_u64_u32 v[30:31], s[0:1], v30, s56, 0
	v_mad_u64_u32 v[28:29], s[0:1], v7, s59, 0
	v_xor_b32_e32 v7, v31, v20
	v_cndmask_b32_e32 v26, 0, v26, vcc
	v_xor_b32_e32 v7, v13, v7
	v_xor_b32_e32 v13, v29, v21
	;; [unrolled: 1-line block ×3, first 2 shown]
	v_mad_u64_u32 v[32:33], s[0:1], v13, s56, 0
	v_add_u32_e32 v23, 0xdb3d7428, v21
	v_add_u32_e32 v25, 0x8ff34781, v20
	;; [unrolled: 1-line block ×3, first 2 shown]
	v_mad_u64_u32 v[20:21], s[0:1], v7, s59, 0
	v_xor_b32_e32 v7, v39, v33
	v_xor_b32_e32 v7, v7, v30
	v_xor_b32_e32 v13, v40, v21
	v_xor_b32_e32 v13, v13, v28
	v_mad_u64_u32 v[28:29], s[0:1], v7, s59, 0
	v_mad_u64_u32 v[30:31], s[0:1], v13, s56, 0
	v_xor_b32_e32 v13, v42, v29
	v_xor_b32_e32 v7, v41, v31
	v_xor_b32_e32 v13, v13, v20
	v_xor_b32_e32 v7, v7, v32
	v_mad_u64_u32 v[32:33], s[0:1], v13, s56, 0
	;; [unrolled: 6-line block ×7, first 2 shown]
	v_xor_b32_e32 v7, v23, v31
	v_xor_b32_e32 v7, v7, v20
	v_mad_u64_u32 v[32:33], s[0:1], v13, s56, 0
	v_mad_u64_u32 v[20:21], s[0:1], v7, s56, 0
	v_xor_b32_e32 v7, v21, v32
	v_xor_b32_e32 v17, v38, v17
	;; [unrolled: 1-line block ×3, first 2 shown]
	v_cmp_lt_i32_e32 vcc, 1, v11
                                        ; implicit-def: $vgpr13
	s_and_saveexec_b64 s[0:1], vcc
	s_xor_b64 s[0:1], exec, s[0:1]
	s_cbranch_execz .LBB82_39
; %bb.34:                               ;   in Loop: Header=BB82_3 Depth=1
	v_cmp_lt_i32_e32 vcc, 2, v11
                                        ; implicit-def: $vgpr13
	s_and_saveexec_b64 s[2:3], vcc
	s_xor_b64 s[2:3], exec, s[2:3]
; %bb.35:                               ;   in Loop: Header=BB82_3 Depth=1
	v_xor_b32_e32 v11, v37, v33
	v_xor_b32_e32 v11, v11, v28
	v_mul_hi_u32 v11, v11, s59
	v_xor_b32_e32 v11, v11, v30
	v_xor_b32_e32 v13, v38, v11
                                        ; implicit-def: $vgpr17
; %bb.36:                               ;   in Loop: Header=BB82_3 Depth=1
	s_andn2_saveexec_b64 s[2:3], s[2:3]
; %bb.37:                               ;   in Loop: Header=BB82_3 Depth=1
	v_mov_b32_e32 v13, v20
	v_mov_b32_e32 v20, v7
	;; [unrolled: 1-line block ×4, first 2 shown]
; %bb.38:                               ;   in Loop: Header=BB82_3 Depth=1
	s_or_b64 exec, exec, s[2:3]
                                        ; implicit-def: $vgpr22_vgpr23
                                        ; implicit-def: $vgpr24_vgpr25
                                        ; implicit-def: $vgpr11
                                        ; implicit-def: $vgpr17
                                        ; implicit-def: $vgpr26_vgpr27
                                        ; implicit-def: $vgpr23
                                        ; implicit-def: $vgpr25
.LBB82_39:                              ;   in Loop: Header=BB82_3 Depth=1
	s_andn2_saveexec_b64 s[0:1], s[0:1]
	s_cbranch_execz .LBB82_43
; %bb.40:                               ;   in Loop: Header=BB82_3 Depth=1
	v_xor_b32_e32 v13, v23, v27
	v_xor_b32_e32 v13, v13, v22
	v_mad_u64_u32 v[22:23], s[2:3], v13, s56, 0
	v_xor_b32_e32 v13, v23, v24
	v_xor_b32_e32 v21, v25, v13
	v_cmp_eq_u32_e32 vcc, 1, v11
	v_mov_b32_e32 v13, v16
	v_mov_b32_e32 v20, v17
	v_mov_b32_e32 v11, v22
	s_and_saveexec_b64 s[2:3], vcc
; %bb.41:                               ;   in Loop: Header=BB82_3 Depth=1
	v_mov_b32_e32 v13, v7
	v_mov_b32_e32 v20, v16
	;; [unrolled: 1-line block ×4, first 2 shown]
; %bb.42:                               ;   in Loop: Header=BB82_3 Depth=1
	s_or_b64 exec, exec, s[2:3]
	v_mov_b32_e32 v16, v21
	v_mov_b32_e32 v7, v11
.LBB82_43:                              ;   in Loop: Header=BB82_3 Depth=1
	s_or_b64 exec, exec, s[0:1]
	v_min_i32_e32 v17, 4, v36
	v_cmp_lt_i32_e32 vcc, 2, v17
	s_mov_b64 s[2:3], 0
	s_mov_b64 s[52:53], 0
	;; [unrolled: 1-line block ×3, first 2 shown]
                                        ; implicit-def: $sgpr42_sgpr43
                                        ; implicit-def: $sgpr44_sgpr45
                                        ; implicit-def: $sgpr46_sgpr47
	s_and_saveexec_b64 s[0:1], vcc
	s_xor_b64 s[48:49], exec, s[0:1]
	s_cbranch_execz .LBB82_55
; %bb.44:                               ;   in Loop: Header=BB82_3 Depth=1
	v_cmp_lt_i32_e32 vcc, 3, v17
	s_mov_b64 s[0:1], -1
	s_mov_b64 s[50:51], 0
                                        ; implicit-def: $sgpr40_sgpr41
                                        ; implicit-def: $sgpr42_sgpr43
	s_and_saveexec_b64 s[44:45], vcc
	s_cbranch_execz .LBB82_50
; %bb.45:                               ;   in Loop: Header=BB82_3 Depth=1
	v_cmp_eq_u32_e32 vcc, 4, v17
	s_mov_b64 s[0:1], 0
	s_mov_b64 s[52:53], -1
                                        ; implicit-def: $sgpr40_sgpr41
                                        ; implicit-def: $sgpr42_sgpr43
	s_and_saveexec_b64 s[46:47], vcc
	s_cbranch_execz .LBB82_49
; %bb.46:                               ;   in Loop: Header=BB82_3 Depth=1
	s_waitcnt vmcnt(0)
	v_cmp_le_f32_e32 vcc, 0, v9
	v_cmp_ge_f32_e64 s[0:1], 1.0, v9
	s_and_b64 s[52:53], vcc, s[0:1]
	s_mov_b64 s[40:41], 0
	s_mov_b64 s[0:1], 0
	s_and_saveexec_b64 s[42:43], s[52:53]
	s_cbranch_execz .LBB82_48
; %bb.47:                               ;   in Loop: Header=BB82_3 Depth=1
	v_cvt_f32_u32_e32 v11, v13
	v_mov_b32_e32 v13, 0x2f800000
	v_lshlrev_b64 v[18:19], 2, v[18:19]
	v_add_co_u32_e32 v18, vcc, s12, v18
	v_fmac_f32_e32 v13, 0x2f800000, v11
	v_mov_b32_e32 v11, s13
	v_addc_co_u32_e32 v19, vcc, v11, v19, vcc
	v_cmp_le_f32_e32 vcc, v13, v9
	s_mov_b64 s[0:1], exec
	v_cndmask_b32_e64 v9, 0, 1.0, vcc
	global_store_dword v[18:19], v9, off
.LBB82_48:                              ;   in Loop: Header=BB82_3 Depth=1
	s_or_b64 exec, exec, s[42:43]
	s_mov_b64 s[42:43], -1
	s_xor_b64 s[52:53], exec, -1
	s_and_b64 s[0:1], s[0:1], exec
.LBB82_49:                              ;   in Loop: Header=BB82_3 Depth=1
	s_or_b64 exec, exec, s[46:47]
	s_and_b64 s[52:53], s[52:53], exec
	s_orn2_b64 s[0:1], s[0:1], exec
.LBB82_50:                              ;   in Loop: Header=BB82_3 Depth=1
	s_or_b64 exec, exec, s[44:45]
	s_mov_b64 s[46:47], s[40:41]
	s_and_saveexec_b64 s[44:45], s[0:1]
	s_cbranch_execz .LBB82_54
; %bb.51:                               ;   in Loop: Header=BB82_3 Depth=1
	v_lshlrev_b64 v[14:15], 2, v[14:15]
	s_waitcnt vmcnt(0)
	v_mov_b32_e32 v9, s17
	v_add_co_u32_e32 v14, vcc, s16, v14
	v_addc_co_u32_e32 v15, vcc, v9, v15, vcc
	global_load_dword v9, v[14:15], off
	s_waitcnt vmcnt(0)
	v_cmp_le_f32_e32 vcc, 0, v9
	v_cmp_ge_f32_e64 s[0:1], 1.0, v9
	s_and_b64 s[46:47], vcc, s[0:1]
	s_mov_b64 s[0:1], 0
	s_and_saveexec_b64 s[50:51], s[46:47]
	s_xor_b64 s[46:47], exec, s[50:51]
	s_cbranch_execz .LBB82_53
; %bb.52:                               ;   in Loop: Header=BB82_3 Depth=1
	v_cvt_f32_u32_e32 v11, v20
	v_mov_b32_e32 v13, v3
	v_mov_b32_e32 v14, 0x2f800000
	v_lshlrev_b64 v[12:13], 2, v[12:13]
	v_fmac_f32_e32 v14, 0x2f800000, v11
	v_mov_b32_e32 v11, s13
	v_add_co_u32_e32 v12, vcc, s12, v12
	v_addc_co_u32_e32 v13, vcc, v11, v13, vcc
	v_cmp_le_f32_e32 vcc, v14, v9
	v_cndmask_b32_e64 v9, 0, 1.0, vcc
	s_mov_b64 s[0:1], exec
	global_store_dword v[12:13], v9, off
.LBB82_53:                              ;   in Loop: Header=BB82_3 Depth=1
	s_or_b64 exec, exec, s[46:47]
	s_andn2_b64 s[46:47], s[40:41], exec
	s_or_b64 s[40:41], s[40:41], exec
	s_andn2_b64 s[42:43], s[42:43], exec
	s_and_b64 s[50:51], s[0:1], exec
.LBB82_54:                              ;   in Loop: Header=BB82_3 Depth=1
	s_or_b64 exec, exec, s[44:45]
	s_and_b64 s[46:47], s[46:47], exec
	s_and_b64 s[44:45], s[40:41], exec
	;; [unrolled: 1-line block ×5, first 2 shown]
.LBB82_55:                              ;   in Loop: Header=BB82_3 Depth=1
	s_andn2_saveexec_b64 s[0:1], s[48:49]
; %bb.56:                               ;   in Loop: Header=BB82_3 Depth=1
	v_cmp_lt_i32_e32 vcc, 1, v17
	s_andn2_b64 s[48:49], s[52:53], exec
	s_and_b64 s[50:51], vcc, exec
	s_mov_b64 s[2:3], exec
	s_andn2_b64 s[46:47], s[46:47], exec
	s_andn2_b64 s[44:45], s[44:45], exec
	;; [unrolled: 1-line block ×3, first 2 shown]
	s_or_b64 s[52:53], s[48:49], s[50:51]
; %bb.57:                               ;   in Loop: Header=BB82_3 Depth=1
	s_or_b64 exec, exec, s[0:1]
	s_mov_b64 s[0:1], 0
	s_mov_b64 s[48:49], s[46:47]
	s_and_saveexec_b64 s[50:51], s[52:53]
	s_cbranch_execnz .LBB82_60
; %bb.58:                               ;   in Loop: Header=BB82_3 Depth=1
	s_or_b64 exec, exec, s[50:51]
	s_and_saveexec_b64 s[50:51], s[2:3]
	s_cbranch_execnz .LBB82_63
.LBB82_59:                              ;   in Loop: Header=BB82_3 Depth=1
	s_or_b64 exec, exec, s[50:51]
	s_and_saveexec_b64 s[2:3], s[0:1]
	s_cbranch_execnz .LBB82_64
	s_branch .LBB82_67
.LBB82_60:                              ;   in Loop: Header=BB82_3 Depth=1
	v_lshlrev_b64 v[12:13], 2, v[2:3]
	v_mov_b32_e32 v2, s17
	v_add_co_u32_e32 v12, vcc, s16, v12
	v_addc_co_u32_e32 v13, vcc, v2, v13, vcc
	global_load_dword v2, v[12:13], off
	s_waitcnt vmcnt(0)
	v_cmp_le_f32_e32 vcc, 0, v2
	v_cmp_ge_f32_e64 s[0:1], 1.0, v2
	s_and_b64 s[48:49], vcc, s[0:1]
	s_mov_b64 s[0:1], 0
	s_and_saveexec_b64 s[52:53], s[48:49]
	s_xor_b64 s[48:49], exec, s[52:53]
	s_cbranch_execz .LBB82_62
; %bb.61:                               ;   in Loop: Header=BB82_3 Depth=1
	v_cvt_f32_u32_e32 v7, v7
	v_mov_b32_e32 v11, v3
	v_mov_b32_e32 v9, 0x2f800000
	v_lshlrev_b64 v[10:11], 2, v[10:11]
	v_fmac_f32_e32 v9, 0x2f800000, v7
	v_mov_b32_e32 v7, s13
	v_add_co_u32_e32 v10, vcc, s12, v10
	v_addc_co_u32_e32 v11, vcc, v7, v11, vcc
	v_cmp_le_f32_e32 vcc, v9, v2
	v_cndmask_b32_e64 v2, 0, 1.0, vcc
	s_mov_b64 s[0:1], exec
	global_store_dword v[10:11], v2, off
.LBB82_62:                              ;   in Loop: Header=BB82_3 Depth=1
	s_or_b64 exec, exec, s[48:49]
	s_andn2_b64 s[48:49], s[46:47], exec
	s_or_b64 s[46:47], s[46:47], exec
	s_andn2_b64 s[44:45], s[44:45], exec
	s_andn2_b64 s[42:43], s[42:43], exec
	s_and_b64 s[0:1], s[0:1], exec
	s_andn2_b64 s[2:3], s[2:3], exec
	s_or_b64 exec, exec, s[50:51]
	s_and_saveexec_b64 s[50:51], s[2:3]
	s_cbranch_execz .LBB82_59
.LBB82_63:                              ;   in Loop: Header=BB82_3 Depth=1
	v_cmp_eq_u32_e32 vcc, 1, v17
	s_andn2_b64 s[0:1], s[0:1], exec
	s_and_b64 s[2:3], vcc, exec
	s_andn2_b64 s[48:49], s[48:49], exec
	s_andn2_b64 s[46:47], s[46:47], exec
	;; [unrolled: 1-line block ×4, first 2 shown]
	s_or_b64 s[40:41], s[40:41], exec
	s_or_b64 s[0:1], s[0:1], s[2:3]
	s_or_b64 exec, exec, s[50:51]
	s_and_saveexec_b64 s[2:3], s[0:1]
	s_cbranch_execz .LBB82_67
.LBB82_64:                              ;   in Loop: Header=BB82_3 Depth=1
	s_waitcnt vmcnt(0)
	v_mov_b32_e32 v9, v3
	v_lshlrev_b64 v[8:9], 2, v[8:9]
	v_mov_b32_e32 v2, s17
	v_add_co_u32_e32 v8, vcc, s16, v8
	v_addc_co_u32_e32 v9, vcc, v2, v9, vcc
	global_load_dword v2, v[8:9], off
	s_waitcnt vmcnt(0)
	v_cmp_le_f32_e32 vcc, 0, v2
	v_cmp_ge_f32_e64 s[0:1], 1.0, v2
	s_and_b64 s[52:53], vcc, s[0:1]
	s_mov_b64 s[0:1], 0
	s_and_saveexec_b64 s[50:51], s[52:53]
	s_cbranch_execz .LBB82_66
; %bb.65:                               ;   in Loop: Header=BB82_3 Depth=1
	v_cvt_f32_u32_e32 v8, v16
	v_mov_b32_e32 v7, v3
	v_mov_b32_e32 v9, 0x2f800000
	v_lshlrev_b64 v[6:7], 2, v[6:7]
	v_fmac_f32_e32 v9, 0x2f800000, v8
	v_mov_b32_e32 v8, s13
	v_add_co_u32_e32 v6, vcc, s12, v6
	v_addc_co_u32_e32 v7, vcc, v8, v7, vcc
	v_cmp_le_f32_e32 vcc, v9, v2
	s_mov_b64 s[0:1], exec
	v_cndmask_b32_e64 v2, 0, 1.0, vcc
	global_store_dword v[6:7], v2, off
.LBB82_66:                              ;   in Loop: Header=BB82_3 Depth=1
	s_or_b64 exec, exec, s[50:51]
	s_andn2_b64 s[40:41], s[40:41], exec
	s_and_b64 s[0:1], s[0:1], exec
	s_or_b64 s[48:49], s[48:49], exec
	s_andn2_b64 s[46:47], s[46:47], exec
	s_andn2_b64 s[44:45], s[44:45], exec
	;; [unrolled: 1-line block ×3, first 2 shown]
	s_or_b64 s[40:41], s[40:41], s[0:1]
.LBB82_67:                              ;   in Loop: Header=BB82_3 Depth=1
	s_or_b64 exec, exec, s[2:3]
	s_andn2_b64 s[2:3], s[38:39], exec
	s_and_b64 s[38:39], s[48:49], exec
	s_or_b64 s[38:39], s[2:3], s[38:39]
	s_andn2_b64 s[2:3], s[36:37], exec
	s_and_b64 s[36:37], s[46:47], exec
	s_or_b64 s[36:37], s[2:3], s[36:37]
	;; [unrolled: 3-line block ×3, first 2 shown]
	s_andn2_b64 s[2:3], s[30:31], exec
	s_and_b64 s[30:31], s[42:43], exec
	s_mov_b64 s[0:1], -1
	s_or_b64 s[30:31], s[2:3], s[30:31]
	s_and_saveexec_b64 s[2:3], s[40:41]
	s_cbranch_execz .LBB82_2
; %bb.68:                               ;   in Loop: Header=BB82_3 Depth=1
	v_add_u32_e32 v34, s57, v34
	v_cmp_le_u32_e32 vcc, s33, v34
	s_andn2_b64 s[38:39], s[38:39], exec
	s_andn2_b64 s[36:37], s[36:37], exec
	;; [unrolled: 1-line block ×4, first 2 shown]
	s_orn2_b64 s[0:1], vcc, exec
	s_branch .LBB82_2
.LBB82_69:
	s_or_b64 exec, exec, s[22:23]
	s_xor_b64 s[6:7], s[28:29], -1
	s_xor_b64 s[8:9], s[26:27], -1
	;; [unrolled: 1-line block ×3, first 2 shown]
	s_mov_b64 s[2:3], 0
	s_and_saveexec_b64 s[4:5], s[0:1]
	s_xor_b64 s[0:1], exec, s[4:5]
	s_cbranch_execnz .LBB82_74
; %bb.70:
	s_andn2_saveexec_b64 s[0:1], s[0:1]
	s_cbranch_execnz .LBB82_82
.LBB82_71:
	s_or_b64 exec, exec, s[0:1]
	s_and_b64 exec, exec, s[2:3]
.LBB82_72:
	; divergent unreachable
.LBB82_73:
	s_endpgm
.LBB82_74:
	s_mov_b64 s[4:5], 0
	s_and_saveexec_b64 s[2:3], s[8:9]
	s_xor_b64 s[2:3], exec, s[2:3]
	s_cbranch_execz .LBB82_80
; %bb.75:
	s_and_saveexec_b64 s[8:9], s[6:7]
	s_xor_b64 s[6:7], exec, s[8:9]
	s_cbranch_execz .LBB82_78
; %bb.76:
	s_and_saveexec_b64 s[8:9], s[18:19]
	s_xor_b64 s[8:9], exec, s[8:9]
	s_cbranch_execnz .LBB82_85
.LBB82_77:
	s_or_b64 exec, exec, s[8:9]
	s_and_b64 s[4:5], s[4:5], exec
.LBB82_78:
	s_andn2_saveexec_b64 s[6:7], s[6:7]
	s_cbranch_execnz .LBB82_84
.LBB82_79:
	s_or_b64 exec, exec, s[6:7]
	s_and_b64 s[4:5], s[4:5], exec
.LBB82_80:
	s_andn2_saveexec_b64 s[2:3], s[2:3]
	s_cbranch_execnz .LBB82_83
.LBB82_81:
	s_or_b64 exec, exec, s[2:3]
	s_and_b64 s[2:3], s[4:5], exec
	s_andn2_saveexec_b64 s[0:1], s[0:1]
	s_cbranch_execz .LBB82_71
.LBB82_82:
	s_or_b64 s[2:3], s[2:3], exec
	s_trap 2
	s_or_b64 exec, exec, s[0:1]
	s_and_b64 exec, exec, s[2:3]
	s_cbranch_execnz .LBB82_72
	s_branch .LBB82_73
.LBB82_83:
	s_or_b64 s[4:5], s[4:5], exec
	s_trap 2
	s_branch .LBB82_81
.LBB82_84:
	s_trap 2
	s_or_b64 s[4:5], s[4:5], exec
	s_branch .LBB82_79
.LBB82_85:
	s_mov_b64 s[4:5], exec
	s_trap 2
	s_branch .LBB82_77
	.section	.rodata,"a",@progbits
	.p2align	6, 0x0
	.amdhsa_kernel _ZN2at4cuda12_GLOBAL__N_121kernelPointwiseApply2IZNS_6native9templates4cuda28bernoulli_tensor_cuda_kernelIffEEvRKNS_10TensorBaseES9_NS_15PhiloxCudaStateEEUliRfSB_SB_SB_RKfSD_SD_SD_E_fSC_jLi2ELin1ELi4ELi512ELi2EEEvNS0_6detail10TensorInfoIT0_T2_EENSG_IT1_SI_EESI_T_
		.amdhsa_group_segment_fixed_size 0
		.amdhsa_private_segment_fixed_size 0
		.amdhsa_kernarg_size 728
		.amdhsa_user_sgpr_count 6
		.amdhsa_user_sgpr_private_segment_buffer 1
		.amdhsa_user_sgpr_dispatch_ptr 0
		.amdhsa_user_sgpr_queue_ptr 0
		.amdhsa_user_sgpr_kernarg_segment_ptr 1
		.amdhsa_user_sgpr_dispatch_id 0
		.amdhsa_user_sgpr_flat_scratch_init 0
		.amdhsa_user_sgpr_kernarg_preload_length 0
		.amdhsa_user_sgpr_kernarg_preload_offset 0
		.amdhsa_user_sgpr_private_segment_size 0
		.amdhsa_uses_dynamic_stack 0
		.amdhsa_system_sgpr_private_segment_wavefront_offset 0
		.amdhsa_system_sgpr_workgroup_id_x 1
		.amdhsa_system_sgpr_workgroup_id_y 0
		.amdhsa_system_sgpr_workgroup_id_z 0
		.amdhsa_system_sgpr_workgroup_info 0
		.amdhsa_system_vgpr_workitem_id 0
		.amdhsa_next_free_vgpr 53
		.amdhsa_next_free_sgpr 61
		.amdhsa_accum_offset 56
		.amdhsa_reserve_vcc 1
		.amdhsa_reserve_flat_scratch 0
		.amdhsa_float_round_mode_32 0
		.amdhsa_float_round_mode_16_64 0
		.amdhsa_float_denorm_mode_32 3
		.amdhsa_float_denorm_mode_16_64 3
		.amdhsa_dx10_clamp 1
		.amdhsa_ieee_mode 1
		.amdhsa_fp16_overflow 0
		.amdhsa_tg_split 0
		.amdhsa_exception_fp_ieee_invalid_op 0
		.amdhsa_exception_fp_denorm_src 0
		.amdhsa_exception_fp_ieee_div_zero 0
		.amdhsa_exception_fp_ieee_overflow 0
		.amdhsa_exception_fp_ieee_underflow 0
		.amdhsa_exception_fp_ieee_inexact 0
		.amdhsa_exception_int_div_zero 0
	.end_amdhsa_kernel
	.section	.text._ZN2at4cuda12_GLOBAL__N_121kernelPointwiseApply2IZNS_6native9templates4cuda28bernoulli_tensor_cuda_kernelIffEEvRKNS_10TensorBaseES9_NS_15PhiloxCudaStateEEUliRfSB_SB_SB_RKfSD_SD_SD_E_fSC_jLi2ELin1ELi4ELi512ELi2EEEvNS0_6detail10TensorInfoIT0_T2_EENSG_IT1_SI_EESI_T_,"axG",@progbits,_ZN2at4cuda12_GLOBAL__N_121kernelPointwiseApply2IZNS_6native9templates4cuda28bernoulli_tensor_cuda_kernelIffEEvRKNS_10TensorBaseES9_NS_15PhiloxCudaStateEEUliRfSB_SB_SB_RKfSD_SD_SD_E_fSC_jLi2ELin1ELi4ELi512ELi2EEEvNS0_6detail10TensorInfoIT0_T2_EENSG_IT1_SI_EESI_T_,comdat
.Lfunc_end82:
	.size	_ZN2at4cuda12_GLOBAL__N_121kernelPointwiseApply2IZNS_6native9templates4cuda28bernoulli_tensor_cuda_kernelIffEEvRKNS_10TensorBaseES9_NS_15PhiloxCudaStateEEUliRfSB_SB_SB_RKfSD_SD_SD_E_fSC_jLi2ELin1ELi4ELi512ELi2EEEvNS0_6detail10TensorInfoIT0_T2_EENSG_IT1_SI_EESI_T_, .Lfunc_end82-_ZN2at4cuda12_GLOBAL__N_121kernelPointwiseApply2IZNS_6native9templates4cuda28bernoulli_tensor_cuda_kernelIffEEvRKNS_10TensorBaseES9_NS_15PhiloxCudaStateEEUliRfSB_SB_SB_RKfSD_SD_SD_E_fSC_jLi2ELin1ELi4ELi512ELi2EEEvNS0_6detail10TensorInfoIT0_T2_EENSG_IT1_SI_EESI_T_
                                        ; -- End function
	.section	.AMDGPU.csdata,"",@progbits
; Kernel info:
; codeLenInByte = 4008
; NumSgprs: 65
; NumVgprs: 53
; NumAgprs: 0
; TotalNumVgprs: 53
; ScratchSize: 0
; MemoryBound: 0
; FloatMode: 240
; IeeeMode: 1
; LDSByteSize: 0 bytes/workgroup (compile time only)
; SGPRBlocks: 8
; VGPRBlocks: 6
; NumSGPRsForWavesPerEU: 65
; NumVGPRsForWavesPerEU: 53
; AccumOffset: 56
; Occupancy: 8
; WaveLimiterHint : 1
; COMPUTE_PGM_RSRC2:SCRATCH_EN: 0
; COMPUTE_PGM_RSRC2:USER_SGPR: 6
; COMPUTE_PGM_RSRC2:TRAP_HANDLER: 0
; COMPUTE_PGM_RSRC2:TGID_X_EN: 1
; COMPUTE_PGM_RSRC2:TGID_Y_EN: 0
; COMPUTE_PGM_RSRC2:TGID_Z_EN: 0
; COMPUTE_PGM_RSRC2:TIDIG_COMP_CNT: 0
; COMPUTE_PGM_RSRC3_GFX90A:ACCUM_OFFSET: 13
; COMPUTE_PGM_RSRC3_GFX90A:TG_SPLIT: 0
	.section	.text._ZN2at4cuda12_GLOBAL__N_121kernelPointwiseApply2IZNS_6native9templates4cuda28bernoulli_tensor_cuda_kernelIffEEvRKNS_10TensorBaseES9_NS_15PhiloxCudaStateEEUliRfSB_SB_SB_RKfSD_SD_SD_E_fSC_jLin1ELi1ELi4ELi512ELi2EEEvNS0_6detail10TensorInfoIT0_T2_EENSG_IT1_SI_EESI_T_,"axG",@progbits,_ZN2at4cuda12_GLOBAL__N_121kernelPointwiseApply2IZNS_6native9templates4cuda28bernoulli_tensor_cuda_kernelIffEEvRKNS_10TensorBaseES9_NS_15PhiloxCudaStateEEUliRfSB_SB_SB_RKfSD_SD_SD_E_fSC_jLin1ELi1ELi4ELi512ELi2EEEvNS0_6detail10TensorInfoIT0_T2_EENSG_IT1_SI_EESI_T_,comdat
	.globl	_ZN2at4cuda12_GLOBAL__N_121kernelPointwiseApply2IZNS_6native9templates4cuda28bernoulli_tensor_cuda_kernelIffEEvRKNS_10TensorBaseES9_NS_15PhiloxCudaStateEEUliRfSB_SB_SB_RKfSD_SD_SD_E_fSC_jLin1ELi1ELi4ELi512ELi2EEEvNS0_6detail10TensorInfoIT0_T2_EENSG_IT1_SI_EESI_T_ ; -- Begin function _ZN2at4cuda12_GLOBAL__N_121kernelPointwiseApply2IZNS_6native9templates4cuda28bernoulli_tensor_cuda_kernelIffEEvRKNS_10TensorBaseES9_NS_15PhiloxCudaStateEEUliRfSB_SB_SB_RKfSD_SD_SD_E_fSC_jLin1ELi1ELi4ELi512ELi2EEEvNS0_6detail10TensorInfoIT0_T2_EENSG_IT1_SI_EESI_T_
	.p2align	8
	.type	_ZN2at4cuda12_GLOBAL__N_121kernelPointwiseApply2IZNS_6native9templates4cuda28bernoulli_tensor_cuda_kernelIffEEvRKNS_10TensorBaseES9_NS_15PhiloxCudaStateEEUliRfSB_SB_SB_RKfSD_SD_SD_E_fSC_jLin1ELi1ELi4ELi512ELi2EEEvNS0_6detail10TensorInfoIT0_T2_EENSG_IT1_SI_EESI_T_,@function
_ZN2at4cuda12_GLOBAL__N_121kernelPointwiseApply2IZNS_6native9templates4cuda28bernoulli_tensor_cuda_kernelIffEEvRKNS_10TensorBaseES9_NS_15PhiloxCudaStateEEUliRfSB_SB_SB_RKfSD_SD_SD_E_fSC_jLin1ELi1ELi4ELi512ELi2EEEvNS0_6detail10TensorInfoIT0_T2_EENSG_IT1_SI_EESI_T_: ; @_ZN2at4cuda12_GLOBAL__N_121kernelPointwiseApply2IZNS_6native9templates4cuda28bernoulli_tensor_cuda_kernelIffEEvRKNS_10TensorBaseES9_NS_15PhiloxCudaStateEEUliRfSB_SB_SB_RKfSD_SD_SD_E_fSC_jLin1ELi1ELi4ELi512ELi2EEEvNS0_6detail10TensorInfoIT0_T2_EENSG_IT1_SI_EESI_T_
; %bb.0:
	s_load_dword s2, s[4:5], 0x1e4
	s_load_dword s33, s[4:5], 0x1b0
	s_add_u32 s0, s4, 0x1d8
	s_addc_u32 s1, s5, 0
	s_waitcnt lgkmcnt(0)
	s_and_b32 s2, s2, 0xffff
	s_mul_i32 s6, s6, s2
	v_add_u32_e32 v5, s6, v0
	v_lshlrev_b32_e32 v30, 2, v5
	v_cmp_gt_u32_e32 vcc, s33, v30
	s_and_saveexec_b64 s[6:7], vcc
	s_cbranch_execz .LBB83_65
; %bb.1:
	s_load_dword s3, s[0:1], 0x0
	s_load_dword s62, s[4:5], 0x144
	s_load_dwordx4 s[12:15], s[4:5], 0x1b8
	s_load_dwordx2 s[10:11], s[4:5], 0xd8
	s_load_dword s6, s[4:5], 0xd0
	s_waitcnt lgkmcnt(0)
	s_mul_i32 s7, s3, s2
	s_load_dwordx2 s[16:17], s[4:5], 0x1c8
	s_load_dword s2, s[4:5], 0x1d0
	s_load_dword s63, s[4:5], 0x6c
	s_mov_b32 s64, 0xcd9e8d57
	s_load_dwordx2 s[20:21], s[4:5], 0x0
	s_cmp_gt_i32 s6, 1
	s_cselect_b64 s[0:1], -1, 0
	s_waitcnt lgkmcnt(0)
	s_bitcmp1_b32 s2, 0
	v_mad_u64_u32 v[0:1], s[2:3], v5, s64, 0
	s_cselect_b64 s[22:23], -1, 0
	s_add_i32 s2, s6, -1
	s_mov_b32 s3, 0
	s_lshl_b32 s65, s7, 2
	s_add_i32 s66, s6, 1
	s_lshl_b64 s[2:3], s[2:3], 2
	s_add_u32 s2, s2, s4
	s_addc_u32 s3, s3, s5
	v_mov_b32_e32 v4, v1
	s_add_u32 s24, s2, 8
	v_cndmask_b32_e64 v1, 0, 1, s[0:1]
	v_mov_b32_e32 v3, 0
	s_addc_u32 s25, s3, 0
	s_mov_b64 s[26:27], 0
	s_mov_b32 s67, 0xd2511f53
	v_cmp_ne_u32_e64 s[0:1], 1, v1
	s_mov_b32 s68, 0xf1bbcdc8
                                        ; implicit-def: $sgpr28_sgpr29
                                        ; implicit-def: $sgpr30_sgpr31
                                        ; implicit-def: $sgpr34_sgpr35
                                        ; implicit-def: $sgpr18_sgpr19
                                        ; implicit-def: $sgpr36_sgpr37
                                        ; implicit-def: $sgpr38_sgpr39
                                        ; implicit-def: $sgpr40_sgpr41
                                        ; implicit-def: $sgpr42_sgpr43
	s_branch .LBB83_3
.LBB83_2:                               ;   in Loop: Header=BB83_3 Depth=1
	s_or_b64 exec, exec, s[4:5]
	s_and_b64 s[2:3], exec, s[2:3]
	s_or_b64 s[26:27], s[2:3], s[26:27]
	s_andn2_b64 s[2:3], s[18:19], exec
	s_and_b64 s[4:5], s[42:43], exec
	s_or_b64 s[18:19], s[2:3], s[4:5]
	s_andn2_b64 s[2:3], s[34:35], exec
	s_and_b64 s[4:5], s[40:41], exec
	;; [unrolled: 3-line block ×4, first 2 shown]
	s_or_b64 s[28:29], s[2:3], s[4:5]
	s_andn2_b64 exec, exec, s[26:27]
	s_cbranch_execz .LBB83_61
.LBB83_3:                               ; =>This Loop Header: Depth=1
                                        ;     Child Loop BB83_6 Depth 2
                                        ;     Child Loop BB83_11 Depth 2
	;; [unrolled: 1-line block ×4, first 2 shown]
	v_sub_u32_e32 v1, s33, v30
	v_cmp_lt_i32_e64 s[2:3], 0, v1
	v_mov_b32_e32 v6, 0
	s_and_saveexec_b64 s[4:5], s[2:3]
	s_cbranch_execz .LBB83_8
; %bb.4:                                ;   in Loop: Header=BB83_3 Depth=1
	s_and_b64 vcc, exec, s[0:1]
	v_mov_b32_e32 v6, 0
	s_waitcnt vmcnt(0)
	v_mov_b32_e32 v2, v30
	s_cbranch_vccnz .LBB83_7
; %bb.5:                                ;   in Loop: Header=BB83_3 Depth=1
	v_mov_b32_e32 v6, 0
	s_mov_b64 s[6:7], s[24:25]
	s_mov_b32 s8, s66
	v_mov_b32_e32 v2, v30
.LBB83_6:                               ;   Parent Loop BB83_3 Depth=1
                                        ; =>  This Inner Loop Header: Depth=2
	s_load_dword s9, s[6:7], 0x0
	s_load_dword s44, s[6:7], 0x64
	v_mov_b32_e32 v7, v2
	s_add_i32 s8, s8, -1
	s_waitcnt lgkmcnt(0)
	v_cvt_f32_u32_e32 v2, s9
	s_sub_i32 s45, 0, s9
	s_add_u32 s6, s6, -4
	s_addc_u32 s7, s7, -1
	v_rcp_iflag_f32_e32 v2, v2
	s_cmp_gt_u32 s8, 2
	v_mul_f32_e32 v2, 0x4f7ffffe, v2
	v_cvt_u32_f32_e32 v2, v2
	v_mul_lo_u32 v8, s45, v2
	v_mul_hi_u32 v8, v2, v8
	v_add_u32_e32 v2, v2, v8
	v_mul_hi_u32 v2, v7, v2
	v_mul_lo_u32 v8, v2, s9
	v_sub_u32_e32 v8, v7, v8
	v_add_u32_e32 v9, 1, v2
	v_cmp_le_u32_e32 vcc, s9, v8
	v_cndmask_b32_e32 v2, v2, v9, vcc
	v_subrev_u32_e32 v9, s9, v8
	v_cndmask_b32_e32 v8, v8, v9, vcc
	v_add_u32_e32 v9, 1, v2
	v_cmp_le_u32_e32 vcc, s9, v8
	v_cndmask_b32_e32 v2, v2, v9, vcc
	v_mul_lo_u32 v8, v2, s9
	v_sub_u32_e32 v7, v7, v8
	v_mad_u64_u32 v[6:7], s[44:45], s44, v7, v[6:7]
	s_cbranch_scc1 .LBB83_6
.LBB83_7:                               ;   in Loop: Header=BB83_3 Depth=1
	v_mad_u64_u32 v[6:7], s[6:7], s63, v2, v[6:7]
.LBB83_8:                               ;   in Loop: Header=BB83_3 Depth=1
	s_or_b64 exec, exec, s[4:5]
	v_cmp_lt_i32_e64 s[4:5], 1, v1
	v_pk_mov_b32 v[8:9], 0, 0
	s_and_saveexec_b64 s[6:7], s[4:5]
	s_cbranch_execz .LBB83_13
; %bb.9:                                ;   in Loop: Header=BB83_3 Depth=1
	s_waitcnt vmcnt(0)
	v_or_b32_e32 v2, 1, v30
	s_and_b64 vcc, exec, s[0:1]
	v_mov_b32_e32 v8, 0
	s_cbranch_vccnz .LBB83_12
; %bb.10:                               ;   in Loop: Header=BB83_3 Depth=1
	v_mov_b32_e32 v8, 0
	s_mov_b64 s[8:9], s[24:25]
	s_mov_b32 s44, s66
.LBB83_11:                              ;   Parent Loop BB83_3 Depth=1
                                        ; =>  This Inner Loop Header: Depth=2
	s_load_dword s45, s[8:9], 0x0
	s_load_dword s46, s[8:9], 0x64
	v_mov_b32_e32 v7, v2
	s_add_i32 s44, s44, -1
	s_waitcnt lgkmcnt(0)
	v_cvt_f32_u32_e32 v2, s45
	s_sub_i32 s47, 0, s45
	s_add_u32 s8, s8, -4
	s_addc_u32 s9, s9, -1
	v_rcp_iflag_f32_e32 v2, v2
	s_cmp_gt_u32 s44, 2
	v_mul_f32_e32 v2, 0x4f7ffffe, v2
	v_cvt_u32_f32_e32 v2, v2
	v_mul_lo_u32 v9, s47, v2
	v_mul_hi_u32 v9, v2, v9
	v_add_u32_e32 v2, v2, v9
	v_mul_hi_u32 v2, v7, v2
	v_mul_lo_u32 v9, v2, s45
	v_sub_u32_e32 v9, v7, v9
	v_add_u32_e32 v10, 1, v2
	v_cmp_le_u32_e32 vcc, s45, v9
	v_cndmask_b32_e32 v2, v2, v10, vcc
	v_subrev_u32_e32 v10, s45, v9
	v_cndmask_b32_e32 v9, v9, v10, vcc
	v_add_u32_e32 v10, 1, v2
	v_cmp_le_u32_e32 vcc, s45, v9
	v_cndmask_b32_e32 v2, v2, v10, vcc
	v_mul_lo_u32 v9, v2, s45
	v_sub_u32_e32 v7, v7, v9
	v_mad_u64_u32 v[8:9], s[46:47], s46, v7, v[8:9]
	s_cbranch_scc1 .LBB83_11
.LBB83_12:                              ;   in Loop: Header=BB83_3 Depth=1
	v_mad_u64_u32 v[8:9], s[8:9], s63, v2, v[8:9]
	v_mov_b32_e32 v9, v3
.LBB83_13:                              ;   in Loop: Header=BB83_3 Depth=1
	s_or_b64 exec, exec, s[6:7]
	v_cmp_lt_i32_e64 s[6:7], 2, v1
	v_pk_mov_b32 v[10:11], 0, 0
	s_and_saveexec_b64 s[8:9], s[6:7]
	s_cbranch_execz .LBB83_18
; %bb.14:                               ;   in Loop: Header=BB83_3 Depth=1
	s_waitcnt vmcnt(0)
	v_or_b32_e32 v2, 2, v30
	s_and_b64 vcc, exec, s[0:1]
	v_mov_b32_e32 v10, 0
	s_cbranch_vccnz .LBB83_17
; %bb.15:                               ;   in Loop: Header=BB83_3 Depth=1
	v_mov_b32_e32 v10, 0
	s_mov_b64 s[44:45], s[24:25]
	s_mov_b32 s46, s66
.LBB83_16:                              ;   Parent Loop BB83_3 Depth=1
                                        ; =>  This Inner Loop Header: Depth=2
	s_load_dword s47, s[44:45], 0x0
	s_load_dword s48, s[44:45], 0x64
	v_mov_b32_e32 v7, v2
	s_add_i32 s46, s46, -1
	s_waitcnt lgkmcnt(0)
	v_cvt_f32_u32_e32 v2, s47
	s_sub_i32 s49, 0, s47
	s_add_u32 s44, s44, -4
	s_addc_u32 s45, s45, -1
	v_rcp_iflag_f32_e32 v2, v2
	s_cmp_gt_u32 s46, 2
	v_mul_f32_e32 v2, 0x4f7ffffe, v2
	v_cvt_u32_f32_e32 v2, v2
	v_mul_lo_u32 v11, s49, v2
	v_mul_hi_u32 v11, v2, v11
	v_add_u32_e32 v2, v2, v11
	v_mul_hi_u32 v2, v7, v2
	v_mul_lo_u32 v11, v2, s47
	v_sub_u32_e32 v11, v7, v11
	v_add_u32_e32 v12, 1, v2
	v_cmp_le_u32_e32 vcc, s47, v11
	v_cndmask_b32_e32 v2, v2, v12, vcc
	v_subrev_u32_e32 v12, s47, v11
	v_cndmask_b32_e32 v11, v11, v12, vcc
	v_add_u32_e32 v12, 1, v2
	v_cmp_le_u32_e32 vcc, s47, v11
	v_cndmask_b32_e32 v2, v2, v12, vcc
	v_mul_lo_u32 v11, v2, s47
	v_sub_u32_e32 v7, v7, v11
	v_mad_u64_u32 v[10:11], s[48:49], s48, v7, v[10:11]
	s_cbranch_scc1 .LBB83_16
.LBB83_17:                              ;   in Loop: Header=BB83_3 Depth=1
	v_mad_u64_u32 v[10:11], s[44:45], s63, v2, v[10:11]
	v_mov_b32_e32 v11, v3
.LBB83_18:                              ;   in Loop: Header=BB83_3 Depth=1
	s_or_b64 exec, exec, s[8:9]
	v_cmp_lt_i32_e64 s[8:9], 3, v1
	v_pk_mov_b32 v[14:15], 0, 0
	s_and_saveexec_b64 s[44:45], s[8:9]
	s_cbranch_execz .LBB83_23
; %bb.19:                               ;   in Loop: Header=BB83_3 Depth=1
	s_waitcnt vmcnt(0)
	v_or_b32_e32 v2, 3, v30
	s_and_b64 vcc, exec, s[0:1]
	v_mov_b32_e32 v12, 0
	s_cbranch_vccnz .LBB83_22
; %bb.20:                               ;   in Loop: Header=BB83_3 Depth=1
	v_mov_b32_e32 v12, 0
	s_mov_b64 s[46:47], s[24:25]
	s_mov_b32 s48, s66
.LBB83_21:                              ;   Parent Loop BB83_3 Depth=1
                                        ; =>  This Inner Loop Header: Depth=2
	s_load_dword s49, s[46:47], 0x0
	s_load_dword s50, s[46:47], 0x64
	v_mov_b32_e32 v7, v2
	s_add_i32 s48, s48, -1
	s_waitcnt lgkmcnt(0)
	v_cvt_f32_u32_e32 v2, s49
	s_sub_i32 s51, 0, s49
	s_add_u32 s46, s46, -4
	s_addc_u32 s47, s47, -1
	v_rcp_iflag_f32_e32 v2, v2
	s_cmp_gt_u32 s48, 2
	v_mul_f32_e32 v2, 0x4f7ffffe, v2
	v_cvt_u32_f32_e32 v2, v2
	v_mul_lo_u32 v13, s51, v2
	v_mul_hi_u32 v13, v2, v13
	v_add_u32_e32 v2, v2, v13
	v_mul_hi_u32 v2, v7, v2
	v_mul_lo_u32 v13, v2, s49
	v_sub_u32_e32 v13, v7, v13
	v_add_u32_e32 v14, 1, v2
	v_cmp_le_u32_e32 vcc, s49, v13
	v_cndmask_b32_e32 v2, v2, v14, vcc
	v_subrev_u32_e32 v14, s49, v13
	v_cndmask_b32_e32 v13, v13, v14, vcc
	v_add_u32_e32 v14, 1, v2
	v_cmp_le_u32_e32 vcc, s49, v13
	v_cndmask_b32_e32 v2, v2, v14, vcc
	v_mul_lo_u32 v13, v2, s49
	v_sub_u32_e32 v7, v7, v13
	v_mad_u64_u32 v[12:13], s[50:51], s50, v7, v[12:13]
	s_cbranch_scc1 .LBB83_21
.LBB83_22:                              ;   in Loop: Header=BB83_3 Depth=1
	v_mad_u64_u32 v[14:15], s[46:47], s63, v2, v[12:13]
	v_mov_b32_e32 v15, v3
.LBB83_23:                              ;   in Loop: Header=BB83_3 Depth=1
	s_or_b64 exec, exec, s[44:45]
	v_mul_lo_u32 v7, v30, s62
	v_add_u32_e32 v31, s62, v7
	v_add_u32_e32 v32, s62, v31
	s_waitcnt vmcnt(0)
	v_add_u32_e32 v2, s62, v32
	v_cndmask_b32_e64 v2, 0, v2, s[8:9]
	v_lshlrev_b64 v[12:13], 2, v[2:3]
	v_mov_b32_e32 v2, s11
	v_add_co_u32_e32 v12, vcc, s10, v12
	v_addc_co_u32_e32 v13, vcc, v2, v13, vcc
	global_load_dword v2, v[12:13], off
	s_andn2_b64 vcc, exec, s[22:23]
	v_pk_mov_b32 v[12:13], s[14:15], s[14:15] op_sel:[0,1]
	v_pk_mov_b32 v[16:17], s[12:13], s[12:13] op_sel:[0,1]
	s_cbranch_vccnz .LBB83_25
; %bb.24:                               ;   in Loop: Header=BB83_3 Depth=1
	v_pk_mov_b32 v[12:13], s[14:15], s[14:15] op_sel:[0,1]
	flat_load_dwordx2 v[12:13], v[12:13]
	v_pk_mov_b32 v[16:17], s[12:13], s[12:13] op_sel:[0,1]
	flat_load_dwordx2 v[16:17], v[16:17]
	v_mov_b32_e32 v18, s17
	s_waitcnt vmcnt(0) lgkmcnt(0)
	v_add_co_u32_e32 v12, vcc, s16, v12
	v_addc_co_u32_e32 v13, vcc, v13, v18, vcc
.LBB83_25:                              ;   in Loop: Header=BB83_3 Depth=1
	v_alignbit_b32 v26, v13, v12, 2
	v_lshrrev_b32_e32 v27, 2, v13
	v_xor_b32_e32 v18, v4, v16
	v_and_b32_e32 v33, 3, v12
	v_mad_u64_u32 v[12:13], s[8:9], v26, s67, 0
	v_xor_b32_e32 v18, v18, v27
	v_xor_b32_e32 v13, v13, v17
	v_add_u32_e32 v38, 0xbb67ae85, v17
	v_mad_u64_u32 v[18:19], s[8:9], v18, s67, 0
	v_mad_u64_u32 v[20:21], s[8:9], v13, s64, 0
	v_xor_b32_e32 v19, v38, v19
	v_add_u32_e32 v37, 0x9e3779b9, v16
	v_xor_b32_e32 v13, v0, v21
	v_xor_b32_e32 v19, v19, v12
	v_xor_b32_e32 v13, v13, v37
	v_add_u32_e32 v39, 0x3c6ef372, v16
	v_mad_u64_u32 v[22:23], s[8:9], v19, s64, 0
	v_add_u32_e32 v40, 0x76cf5d0a, v17
	v_mad_u64_u32 v[12:13], s[8:9], v13, s67, 0
	v_xor_b32_e32 v19, v39, v23
	v_xor_b32_e32 v19, v19, v20
	v_xor_b32_e32 v13, v40, v13
	v_xor_b32_e32 v13, v13, v18
	v_add_u32_e32 v42, 0x32370b8f, v17
	v_mad_u64_u32 v[18:19], s[8:9], v19, s67, 0
	v_add_u32_e32 v41, 0xdaa66d2b, v16
	v_mad_u64_u32 v[20:21], s[8:9], v13, s64, 0
	v_xor_b32_e32 v19, v42, v19
	;; [unrolled: 8-line block ×5, first 2 shown]
	v_xor_b32_e32 v19, v19, v20
	v_xor_b32_e32 v13, v48, v13
	;; [unrolled: 1-line block ×3, first 2 shown]
	v_add_u32_e32 v50, 0x1fd5c5a3, v17
	v_mad_u64_u32 v[18:19], s[8:9], v19, s67, 0
	v_xor_b32_e32 v19, v50, v19
	v_xor_b32_e32 v12, v19, v12
	v_add_u32_e32 v49, 0x5384540f, v16
	v_mad_u64_u32 v[24:25], s[8:9], v13, s64, 0
	v_add_co_u32_e32 v35, vcc, s68, v16
	v_mad_u64_u32 v[20:21], s[8:9], v12, s64, 0
	v_xor_b32_e32 v13, v49, v25
	v_xor_b32_e32 v12, v35, v21
	;; [unrolled: 1-line block ×4, first 2 shown]
	v_mad_u64_u32 v[22:23], s[8:9], v13, s67, 0
	v_mad_u64_u32 v[12:13], s[8:9], v12, s67, 0
	v_add_u32_e32 v36, 0x96a522ad, v17
	v_xor_b32_e32 v13, v13, v22
	v_xor_b32_e32 v34, v36, v13
	v_add_co_u32_e32 v13, vcc, 1, v26
	v_cndmask_b32_e64 v22, 0, 1, vcc
	v_addc_co_u32_e32 v28, vcc, 0, v27, vcc
	v_cmp_eq_u32_e32 vcc, 0, v28
	v_cndmask_b32_e32 v22, 0, v22, vcc
	v_add_u32_e32 v26, v22, v5
	v_cmp_eq_u32_e32 vcc, 0, v26
	v_mad_u64_u32 v[24:25], s[8:9], v13, s67, 0
	v_mad_u64_u32 v[26:27], s[8:9], v26, s64, 0
	v_add_u32_e32 v21, 0x8ff34781, v16
	v_cndmask_b32_e32 v22, 0, v22, vcc
	v_xor_b32_e32 v13, v27, v16
	v_xor_b32_e32 v16, v25, v17
	v_xor_b32_e32 v22, v22, v16
	v_xor_b32_e32 v13, v28, v13
	v_mad_u64_u32 v[28:29], s[8:9], v22, s64, 0
	v_add_u32_e32 v19, 0xdb3d7428, v17
	v_mad_u64_u32 v[16:17], s[8:9], v13, s67, 0
	v_xor_b32_e32 v13, v37, v29
	v_xor_b32_e32 v13, v13, v26
	v_xor_b32_e32 v17, v38, v17
	v_xor_b32_e32 v17, v17, v24
	v_mad_u64_u32 v[24:25], s[8:9], v13, s67, 0
	v_mad_u64_u32 v[26:27], s[8:9], v17, s64, 0
	v_xor_b32_e32 v17, v40, v25
	v_xor_b32_e32 v13, v39, v27
	v_xor_b32_e32 v22, v17, v16
	v_xor_b32_e32 v13, v13, v28
	v_mad_u64_u32 v[28:29], s[8:9], v22, s64, 0
	;; [unrolled: 6-line block ×7, first 2 shown]
	v_xor_b32_e32 v13, v19, v27
	v_xor_b32_e32 v13, v13, v16
	v_mad_u64_u32 v[28:29], s[8:9], v17, s64, 0
	v_mad_u64_u32 v[16:17], s[8:9], v13, s64, 0
	v_xor_b32_e32 v13, v17, v28
	v_xor_b32_e32 v13, v21, v13
	v_cmp_lt_i32_e32 vcc, 1, v33
                                        ; implicit-def: $vgpr17
	s_and_saveexec_b64 s[8:9], vcc
	s_xor_b64 s[8:9], exec, s[8:9]
	s_cbranch_execz .LBB83_31
; %bb.26:                               ;   in Loop: Header=BB83_3 Depth=1
	v_cmp_lt_i32_e32 vcc, 2, v33
                                        ; implicit-def: $vgpr17
	s_and_saveexec_b64 s[44:45], vcc
	s_xor_b64 s[44:45], exec, s[44:45]
; %bb.27:                               ;   in Loop: Header=BB83_3 Depth=1
	v_xor_b32_e32 v17, v35, v29
	v_xor_b32_e32 v17, v17, v24
	v_mul_hi_u32 v17, v17, s67
	v_xor_b32_e32 v17, v17, v26
	v_xor_b32_e32 v17, v36, v17
                                        ; implicit-def: $vgpr34
; %bb.28:                               ;   in Loop: Header=BB83_3 Depth=1
	s_andn2_saveexec_b64 s[44:45], s[44:45]
; %bb.29:                               ;   in Loop: Header=BB83_3 Depth=1
	v_mov_b32_e32 v17, v16
	v_mov_b32_e32 v16, v13
	;; [unrolled: 1-line block ×4, first 2 shown]
; %bb.30:                               ;   in Loop: Header=BB83_3 Depth=1
	s_or_b64 exec, exec, s[44:45]
                                        ; implicit-def: $vgpr18_vgpr19
                                        ; implicit-def: $vgpr20_vgpr21
                                        ; implicit-def: $vgpr33
                                        ; implicit-def: $vgpr34
                                        ; implicit-def: $vgpr22_vgpr23
                                        ; implicit-def: $vgpr19
                                        ; implicit-def: $vgpr21
.LBB83_31:                              ;   in Loop: Header=BB83_3 Depth=1
	s_andn2_saveexec_b64 s[8:9], s[8:9]
	s_cbranch_execz .LBB83_35
; %bb.32:                               ;   in Loop: Header=BB83_3 Depth=1
	v_xor_b32_e32 v16, v19, v23
	v_xor_b32_e32 v16, v16, v18
	v_mad_u64_u32 v[18:19], s[44:45], v16, s64, 0
	v_xor_b32_e32 v16, v19, v20
	v_xor_b32_e32 v19, v21, v16
	v_cmp_eq_u32_e32 vcc, 1, v33
	v_mov_b32_e32 v17, v12
	v_mov_b32_e32 v16, v34
	;; [unrolled: 1-line block ×3, first 2 shown]
	s_and_saveexec_b64 s[44:45], vcc
; %bb.33:                               ;   in Loop: Header=BB83_3 Depth=1
	v_mov_b32_e32 v17, v13
	v_mov_b32_e32 v16, v12
	;; [unrolled: 1-line block ×4, first 2 shown]
; %bb.34:                               ;   in Loop: Header=BB83_3 Depth=1
	s_or_b64 exec, exec, s[44:45]
	v_mov_b32_e32 v12, v19
	v_mov_b32_e32 v13, v20
.LBB83_35:                              ;   in Loop: Header=BB83_3 Depth=1
	s_or_b64 exec, exec, s[8:9]
	v_min_i32_e32 v1, 4, v1
	v_cmp_lt_i32_e32 vcc, 2, v1
	s_mov_b64 s[44:45], 0
	s_mov_b64 s[56:57], 0
	;; [unrolled: 1-line block ×3, first 2 shown]
                                        ; implicit-def: $sgpr46_sgpr47
                                        ; implicit-def: $sgpr48_sgpr49
                                        ; implicit-def: $sgpr50_sgpr51
	s_and_saveexec_b64 s[52:53], vcc
	s_xor_b64 s[52:53], exec, s[52:53]
	s_cbranch_execz .LBB83_47
; %bb.36:                               ;   in Loop: Header=BB83_3 Depth=1
	v_cmp_lt_i32_e32 vcc, 3, v1
	s_mov_b64 s[50:51], -1
	s_mov_b64 s[54:55], 0
                                        ; implicit-def: $sgpr8_sgpr9
                                        ; implicit-def: $sgpr46_sgpr47
	s_and_saveexec_b64 s[48:49], vcc
	s_cbranch_execz .LBB83_42
; %bb.37:                               ;   in Loop: Header=BB83_3 Depth=1
	v_cmp_eq_u32_e32 vcc, 4, v1
	s_mov_b64 s[58:59], 0
	s_mov_b64 s[60:61], -1
                                        ; implicit-def: $sgpr8_sgpr9
                                        ; implicit-def: $sgpr46_sgpr47
	s_and_saveexec_b64 s[50:51], vcc
	s_cbranch_execz .LBB83_41
; %bb.38:                               ;   in Loop: Header=BB83_3 Depth=1
	s_waitcnt vmcnt(0)
	v_cmp_le_f32_e32 vcc, 0, v2
	v_cmp_ge_f32_e64 s[8:9], 1.0, v2
	s_and_b64 s[58:59], vcc, s[8:9]
	s_mov_b64 s[8:9], 0
	s_and_saveexec_b64 s[46:47], s[58:59]
	s_cbranch_execz .LBB83_40
; %bb.39:                               ;   in Loop: Header=BB83_3 Depth=1
	v_cvt_f32_u32_e32 v17, v17
	v_mov_b32_e32 v18, 0x2f800000
	v_lshlrev_b64 v[14:15], 2, v[14:15]
	v_add_co_u32_e32 v14, vcc, s20, v14
	v_fmac_f32_e32 v18, 0x2f800000, v17
	v_mov_b32_e32 v17, s21
	v_addc_co_u32_e32 v15, vcc, v17, v15, vcc
	v_cmp_le_f32_e32 vcc, v18, v2
	s_mov_b64 s[56:57], exec
	v_cndmask_b32_e64 v2, 0, 1.0, vcc
	global_store_dword v[14:15], v2, off
.LBB83_40:                              ;   in Loop: Header=BB83_3 Depth=1
	s_or_b64 exec, exec, s[46:47]
	s_mov_b64 s[46:47], -1
	s_xor_b64 s[60:61], exec, -1
	s_and_b64 s[58:59], s[56:57], exec
.LBB83_41:                              ;   in Loop: Header=BB83_3 Depth=1
	s_or_b64 exec, exec, s[50:51]
	s_and_b64 s[56:57], s[60:61], exec
	s_orn2_b64 s[50:51], s[58:59], exec
.LBB83_42:                              ;   in Loop: Header=BB83_3 Depth=1
	s_or_b64 exec, exec, s[48:49]
	s_mov_b64 s[58:59], s[8:9]
	s_and_saveexec_b64 s[48:49], s[50:51]
	s_cbranch_execz .LBB83_46
; %bb.43:                               ;   in Loop: Header=BB83_3 Depth=1
	s_waitcnt vmcnt(0)
	v_cndmask_b32_e64 v2, 0, v32, s[6:7]
	v_lshlrev_b64 v[14:15], 2, v[2:3]
	v_mov_b32_e32 v2, s11
	v_add_co_u32_e32 v14, vcc, s10, v14
	v_addc_co_u32_e32 v15, vcc, v2, v15, vcc
	global_load_dword v2, v[14:15], off
	s_waitcnt vmcnt(0)
	v_cmp_le_f32_e32 vcc, 0, v2
	v_cmp_ge_f32_e64 s[6:7], 1.0, v2
	s_and_b64 s[50:51], vcc, s[6:7]
	s_mov_b64 s[6:7], 0
	s_and_saveexec_b64 s[54:55], s[50:51]
	s_xor_b64 s[50:51], exec, s[54:55]
	s_cbranch_execz .LBB83_45
; %bb.44:                               ;   in Loop: Header=BB83_3 Depth=1
	v_cvt_f32_u32_e32 v14, v16
	v_mov_b32_e32 v15, 0x2f800000
	v_lshlrev_b64 v[10:11], 2, v[10:11]
	v_add_co_u32_e32 v10, vcc, s20, v10
	v_fmac_f32_e32 v15, 0x2f800000, v14
	v_mov_b32_e32 v14, s21
	v_addc_co_u32_e32 v11, vcc, v14, v11, vcc
	v_cmp_le_f32_e32 vcc, v15, v2
	v_cndmask_b32_e64 v2, 0, 1.0, vcc
	s_mov_b64 s[6:7], exec
	global_store_dword v[10:11], v2, off
.LBB83_45:                              ;   in Loop: Header=BB83_3 Depth=1
	s_or_b64 exec, exec, s[50:51]
	s_andn2_b64 s[58:59], s[8:9], exec
	s_or_b64 s[8:9], s[8:9], exec
	s_andn2_b64 s[46:47], s[46:47], exec
	s_and_b64 s[54:55], s[6:7], exec
.LBB83_46:                              ;   in Loop: Header=BB83_3 Depth=1
	s_or_b64 exec, exec, s[48:49]
	s_and_b64 s[50:51], s[58:59], exec
	s_and_b64 s[48:49], s[8:9], exec
	;; [unrolled: 1-line block ×5, first 2 shown]
.LBB83_47:                              ;   in Loop: Header=BB83_3 Depth=1
	s_andn2_saveexec_b64 s[6:7], s[52:53]
; %bb.48:                               ;   in Loop: Header=BB83_3 Depth=1
	v_cmp_lt_i32_e32 vcc, 1, v1
	s_andn2_b64 s[52:53], s[56:57], exec
	s_and_b64 s[54:55], vcc, exec
	s_mov_b64 s[44:45], exec
	s_andn2_b64 s[50:51], s[50:51], exec
	s_andn2_b64 s[48:49], s[48:49], exec
	;; [unrolled: 1-line block ×3, first 2 shown]
	s_or_b64 s[56:57], s[52:53], s[54:55]
; %bb.49:                               ;   in Loop: Header=BB83_3 Depth=1
	s_or_b64 exec, exec, s[6:7]
	s_mov_b64 s[52:53], 0
	s_mov_b64 s[6:7], s[50:51]
	s_and_saveexec_b64 s[54:55], s[56:57]
	s_cbranch_execnz .LBB83_52
; %bb.50:                               ;   in Loop: Header=BB83_3 Depth=1
	s_or_b64 exec, exec, s[54:55]
	s_and_saveexec_b64 s[4:5], s[44:45]
	s_cbranch_execnz .LBB83_55
.LBB83_51:                              ;   in Loop: Header=BB83_3 Depth=1
	s_or_b64 exec, exec, s[4:5]
	s_and_saveexec_b64 s[4:5], s[52:53]
	s_cbranch_execnz .LBB83_56
	s_branch .LBB83_59
.LBB83_52:                              ;   in Loop: Header=BB83_3 Depth=1
	s_waitcnt vmcnt(0)
	v_cndmask_b32_e64 v2, 0, v31, s[4:5]
	v_lshlrev_b64 v[10:11], 2, v[2:3]
	v_mov_b32_e32 v2, s11
	v_add_co_u32_e32 v10, vcc, s10, v10
	v_addc_co_u32_e32 v11, vcc, v2, v11, vcc
	global_load_dword v2, v[10:11], off
	s_waitcnt vmcnt(0)
	v_cmp_le_f32_e32 vcc, 0, v2
	v_cmp_ge_f32_e64 s[4:5], 1.0, v2
	s_and_b64 s[6:7], vcc, s[4:5]
	s_mov_b64 s[4:5], 0
	s_and_saveexec_b64 s[52:53], s[6:7]
	s_xor_b64 s[6:7], exec, s[52:53]
	s_cbranch_execz .LBB83_54
; %bb.53:                               ;   in Loop: Header=BB83_3 Depth=1
	v_cvt_f32_u32_e32 v10, v13
	v_mov_b32_e32 v11, 0x2f800000
	v_lshlrev_b64 v[8:9], 2, v[8:9]
	v_add_co_u32_e32 v8, vcc, s20, v8
	v_fmac_f32_e32 v11, 0x2f800000, v10
	v_mov_b32_e32 v10, s21
	v_addc_co_u32_e32 v9, vcc, v10, v9, vcc
	v_cmp_le_f32_e32 vcc, v11, v2
	v_cndmask_b32_e64 v2, 0, 1.0, vcc
	s_mov_b64 s[4:5], exec
	global_store_dword v[8:9], v2, off
.LBB83_54:                              ;   in Loop: Header=BB83_3 Depth=1
	s_or_b64 exec, exec, s[6:7]
	s_andn2_b64 s[6:7], s[50:51], exec
	s_or_b64 s[50:51], s[50:51], exec
	s_andn2_b64 s[48:49], s[48:49], exec
	s_andn2_b64 s[46:47], s[46:47], exec
	s_and_b64 s[52:53], s[4:5], exec
	s_andn2_b64 s[44:45], s[44:45], exec
	s_or_b64 exec, exec, s[54:55]
	s_and_saveexec_b64 s[4:5], s[44:45]
	s_cbranch_execz .LBB83_51
.LBB83_55:                              ;   in Loop: Header=BB83_3 Depth=1
	v_cmp_eq_u32_e32 vcc, 1, v1
	s_andn2_b64 s[44:45], s[52:53], exec
	s_and_b64 s[52:53], vcc, exec
	s_andn2_b64 s[6:7], s[6:7], exec
	s_andn2_b64 s[50:51], s[50:51], exec
	;; [unrolled: 1-line block ×4, first 2 shown]
	s_or_b64 s[8:9], s[8:9], exec
	s_or_b64 s[52:53], s[44:45], s[52:53]
	s_or_b64 exec, exec, s[4:5]
	s_and_saveexec_b64 s[4:5], s[52:53]
	s_cbranch_execz .LBB83_59
.LBB83_56:                              ;   in Loop: Header=BB83_3 Depth=1
	s_waitcnt vmcnt(0)
	v_cndmask_b32_e64 v2, 0, v7, s[2:3]
	v_lshlrev_b64 v[8:9], 2, v[2:3]
	v_mov_b32_e32 v1, s11
	v_add_co_u32_e32 v8, vcc, s10, v8
	v_addc_co_u32_e32 v9, vcc, v1, v9, vcc
	global_load_dword v1, v[8:9], off
	s_waitcnt vmcnt(0)
	v_cmp_le_f32_e32 vcc, 0, v1
	v_cmp_ge_f32_e64 s[2:3], 1.0, v1
	s_and_b64 s[52:53], vcc, s[2:3]
	s_mov_b64 s[2:3], 0
	s_and_saveexec_b64 s[44:45], s[52:53]
	s_cbranch_execz .LBB83_58
; %bb.57:                               ;   in Loop: Header=BB83_3 Depth=1
	v_cvt_f32_u32_e32 v2, v12
	v_mov_b32_e32 v7, v3
	v_mov_b32_e32 v8, 0x2f800000
	v_lshlrev_b64 v[6:7], 2, v[6:7]
	v_fmac_f32_e32 v8, 0x2f800000, v2
	v_mov_b32_e32 v2, s21
	v_add_co_u32_e32 v6, vcc, s20, v6
	v_addc_co_u32_e32 v7, vcc, v2, v7, vcc
	v_cmp_le_f32_e32 vcc, v8, v1
	s_mov_b64 s[2:3], exec
	v_cndmask_b32_e64 v1, 0, 1.0, vcc
	global_store_dword v[6:7], v1, off
.LBB83_58:                              ;   in Loop: Header=BB83_3 Depth=1
	s_or_b64 exec, exec, s[44:45]
	s_andn2_b64 s[8:9], s[8:9], exec
	s_and_b64 s[2:3], s[2:3], exec
	s_or_b64 s[6:7], s[6:7], exec
	s_andn2_b64 s[50:51], s[50:51], exec
	s_andn2_b64 s[48:49], s[48:49], exec
	;; [unrolled: 1-line block ×3, first 2 shown]
	s_or_b64 s[8:9], s[8:9], s[2:3]
.LBB83_59:                              ;   in Loop: Header=BB83_3 Depth=1
	s_or_b64 exec, exec, s[4:5]
	s_andn2_b64 s[4:5], s[42:43], exec
	s_and_b64 s[6:7], s[6:7], exec
	s_or_b64 s[42:43], s[4:5], s[6:7]
	s_andn2_b64 s[4:5], s[40:41], exec
	s_and_b64 s[6:7], s[50:51], exec
	s_or_b64 s[40:41], s[4:5], s[6:7]
	s_andn2_b64 s[4:5], s[38:39], exec
	s_and_b64 s[6:7], s[48:49], exec
	s_or_b64 s[38:39], s[4:5], s[6:7]
	s_andn2_b64 s[4:5], s[36:37], exec
	s_and_b64 s[6:7], s[46:47], exec
	s_mov_b64 s[2:3], -1
	s_or_b64 s[36:37], s[4:5], s[6:7]
	s_and_saveexec_b64 s[4:5], s[8:9]
	s_cbranch_execz .LBB83_2
; %bb.60:                               ;   in Loop: Header=BB83_3 Depth=1
	v_add_u32_e32 v30, s65, v30
	v_cmp_le_u32_e32 vcc, s33, v30
	s_andn2_b64 s[42:43], s[42:43], exec
	s_andn2_b64 s[40:41], s[40:41], exec
	s_andn2_b64 s[38:39], s[38:39], exec
	s_andn2_b64 s[36:37], s[36:37], exec
	s_orn2_b64 s[2:3], vcc, exec
	s_branch .LBB83_2
.LBB83_61:
	s_or_b64 exec, exec, s[26:27]
	s_xor_b64 s[6:7], s[34:35], -1
	s_xor_b64 s[8:9], s[30:31], -1
	;; [unrolled: 1-line block ×3, first 2 shown]
	s_mov_b64 s[2:3], 0
	s_and_saveexec_b64 s[4:5], s[0:1]
	s_xor_b64 s[0:1], exec, s[4:5]
	s_cbranch_execnz .LBB83_66
; %bb.62:
	s_andn2_saveexec_b64 s[0:1], s[0:1]
	s_cbranch_execnz .LBB83_74
.LBB83_63:
	s_or_b64 exec, exec, s[0:1]
	s_and_b64 exec, exec, s[2:3]
.LBB83_64:
	; divergent unreachable
.LBB83_65:
	s_endpgm
.LBB83_66:
	s_mov_b64 s[4:5], 0
	s_and_saveexec_b64 s[2:3], s[8:9]
	s_xor_b64 s[2:3], exec, s[2:3]
	s_cbranch_execz .LBB83_72
; %bb.67:
	s_and_saveexec_b64 s[8:9], s[6:7]
	s_xor_b64 s[6:7], exec, s[8:9]
	s_cbranch_execz .LBB83_70
; %bb.68:
	s_and_saveexec_b64 s[8:9], s[18:19]
	s_xor_b64 s[8:9], exec, s[8:9]
	s_cbranch_execnz .LBB83_77
.LBB83_69:
	s_or_b64 exec, exec, s[8:9]
	s_and_b64 s[4:5], s[4:5], exec
.LBB83_70:
	s_andn2_saveexec_b64 s[6:7], s[6:7]
	s_cbranch_execnz .LBB83_76
.LBB83_71:
	s_or_b64 exec, exec, s[6:7]
	s_and_b64 s[4:5], s[4:5], exec
.LBB83_72:
	s_andn2_saveexec_b64 s[2:3], s[2:3]
	s_cbranch_execnz .LBB83_75
.LBB83_73:
	s_or_b64 exec, exec, s[2:3]
	s_and_b64 s[2:3], s[4:5], exec
	s_andn2_saveexec_b64 s[0:1], s[0:1]
	s_cbranch_execz .LBB83_63
.LBB83_74:
	s_or_b64 s[2:3], s[2:3], exec
	s_trap 2
	s_or_b64 exec, exec, s[0:1]
	s_and_b64 exec, exec, s[2:3]
	s_cbranch_execnz .LBB83_64
	s_branch .LBB83_65
.LBB83_75:
	s_or_b64 s[4:5], s[4:5], exec
	s_trap 2
	s_branch .LBB83_73
.LBB83_76:
	s_trap 2
	s_or_b64 s[4:5], s[4:5], exec
	s_branch .LBB83_71
.LBB83_77:
	s_mov_b64 s[4:5], exec
	s_trap 2
	s_branch .LBB83_69
	.section	.rodata,"a",@progbits
	.p2align	6, 0x0
	.amdhsa_kernel _ZN2at4cuda12_GLOBAL__N_121kernelPointwiseApply2IZNS_6native9templates4cuda28bernoulli_tensor_cuda_kernelIffEEvRKNS_10TensorBaseES9_NS_15PhiloxCudaStateEEUliRfSB_SB_SB_RKfSD_SD_SD_E_fSC_jLin1ELi1ELi4ELi512ELi2EEEvNS0_6detail10TensorInfoIT0_T2_EENSG_IT1_SI_EESI_T_
		.amdhsa_group_segment_fixed_size 0
		.amdhsa_private_segment_fixed_size 0
		.amdhsa_kernarg_size 728
		.amdhsa_user_sgpr_count 6
		.amdhsa_user_sgpr_private_segment_buffer 1
		.amdhsa_user_sgpr_dispatch_ptr 0
		.amdhsa_user_sgpr_queue_ptr 0
		.amdhsa_user_sgpr_kernarg_segment_ptr 1
		.amdhsa_user_sgpr_dispatch_id 0
		.amdhsa_user_sgpr_flat_scratch_init 0
		.amdhsa_user_sgpr_kernarg_preload_length 0
		.amdhsa_user_sgpr_kernarg_preload_offset 0
		.amdhsa_user_sgpr_private_segment_size 0
		.amdhsa_uses_dynamic_stack 0
		.amdhsa_system_sgpr_private_segment_wavefront_offset 0
		.amdhsa_system_sgpr_workgroup_id_x 1
		.amdhsa_system_sgpr_workgroup_id_y 0
		.amdhsa_system_sgpr_workgroup_id_z 0
		.amdhsa_system_sgpr_workgroup_info 0
		.amdhsa_system_vgpr_workitem_id 0
		.amdhsa_next_free_vgpr 51
		.amdhsa_next_free_sgpr 69
		.amdhsa_accum_offset 52
		.amdhsa_reserve_vcc 1
		.amdhsa_reserve_flat_scratch 0
		.amdhsa_float_round_mode_32 0
		.amdhsa_float_round_mode_16_64 0
		.amdhsa_float_denorm_mode_32 3
		.amdhsa_float_denorm_mode_16_64 3
		.amdhsa_dx10_clamp 1
		.amdhsa_ieee_mode 1
		.amdhsa_fp16_overflow 0
		.amdhsa_tg_split 0
		.amdhsa_exception_fp_ieee_invalid_op 0
		.amdhsa_exception_fp_denorm_src 0
		.amdhsa_exception_fp_ieee_div_zero 0
		.amdhsa_exception_fp_ieee_overflow 0
		.amdhsa_exception_fp_ieee_underflow 0
		.amdhsa_exception_fp_ieee_inexact 0
		.amdhsa_exception_int_div_zero 0
	.end_amdhsa_kernel
	.section	.text._ZN2at4cuda12_GLOBAL__N_121kernelPointwiseApply2IZNS_6native9templates4cuda28bernoulli_tensor_cuda_kernelIffEEvRKNS_10TensorBaseES9_NS_15PhiloxCudaStateEEUliRfSB_SB_SB_RKfSD_SD_SD_E_fSC_jLin1ELi1ELi4ELi512ELi2EEEvNS0_6detail10TensorInfoIT0_T2_EENSG_IT1_SI_EESI_T_,"axG",@progbits,_ZN2at4cuda12_GLOBAL__N_121kernelPointwiseApply2IZNS_6native9templates4cuda28bernoulli_tensor_cuda_kernelIffEEvRKNS_10TensorBaseES9_NS_15PhiloxCudaStateEEUliRfSB_SB_SB_RKfSD_SD_SD_E_fSC_jLin1ELi1ELi4ELi512ELi2EEEvNS0_6detail10TensorInfoIT0_T2_EENSG_IT1_SI_EESI_T_,comdat
.Lfunc_end83:
	.size	_ZN2at4cuda12_GLOBAL__N_121kernelPointwiseApply2IZNS_6native9templates4cuda28bernoulli_tensor_cuda_kernelIffEEvRKNS_10TensorBaseES9_NS_15PhiloxCudaStateEEUliRfSB_SB_SB_RKfSD_SD_SD_E_fSC_jLin1ELi1ELi4ELi512ELi2EEEvNS0_6detail10TensorInfoIT0_T2_EENSG_IT1_SI_EESI_T_, .Lfunc_end83-_ZN2at4cuda12_GLOBAL__N_121kernelPointwiseApply2IZNS_6native9templates4cuda28bernoulli_tensor_cuda_kernelIffEEvRKNS_10TensorBaseES9_NS_15PhiloxCudaStateEEUliRfSB_SB_SB_RKfSD_SD_SD_E_fSC_jLin1ELi1ELi4ELi512ELi2EEEvNS0_6detail10TensorInfoIT0_T2_EENSG_IT1_SI_EESI_T_
                                        ; -- End function
	.section	.AMDGPU.csdata,"",@progbits
; Kernel info:
; codeLenInByte = 3500
; NumSgprs: 73
; NumVgprs: 51
; NumAgprs: 0
; TotalNumVgprs: 51
; ScratchSize: 0
; MemoryBound: 0
; FloatMode: 240
; IeeeMode: 1
; LDSByteSize: 0 bytes/workgroup (compile time only)
; SGPRBlocks: 9
; VGPRBlocks: 6
; NumSGPRsForWavesPerEU: 73
; NumVGPRsForWavesPerEU: 51
; AccumOffset: 52
; Occupancy: 8
; WaveLimiterHint : 1
; COMPUTE_PGM_RSRC2:SCRATCH_EN: 0
; COMPUTE_PGM_RSRC2:USER_SGPR: 6
; COMPUTE_PGM_RSRC2:TRAP_HANDLER: 0
; COMPUTE_PGM_RSRC2:TGID_X_EN: 1
; COMPUTE_PGM_RSRC2:TGID_Y_EN: 0
; COMPUTE_PGM_RSRC2:TGID_Z_EN: 0
; COMPUTE_PGM_RSRC2:TIDIG_COMP_CNT: 0
; COMPUTE_PGM_RSRC3_GFX90A:ACCUM_OFFSET: 12
; COMPUTE_PGM_RSRC3_GFX90A:TG_SPLIT: 0
	.section	.text._ZN2at4cuda12_GLOBAL__N_121kernelPointwiseApply2IZNS_6native9templates4cuda28bernoulli_tensor_cuda_kernelIffEEvRKNS_10TensorBaseES9_NS_15PhiloxCudaStateEEUliRfSB_SB_SB_RKfSD_SD_SD_E_fSC_jLin1ELi2ELi4ELi512ELi2EEEvNS0_6detail10TensorInfoIT0_T2_EENSG_IT1_SI_EESI_T_,"axG",@progbits,_ZN2at4cuda12_GLOBAL__N_121kernelPointwiseApply2IZNS_6native9templates4cuda28bernoulli_tensor_cuda_kernelIffEEvRKNS_10TensorBaseES9_NS_15PhiloxCudaStateEEUliRfSB_SB_SB_RKfSD_SD_SD_E_fSC_jLin1ELi2ELi4ELi512ELi2EEEvNS0_6detail10TensorInfoIT0_T2_EENSG_IT1_SI_EESI_T_,comdat
	.globl	_ZN2at4cuda12_GLOBAL__N_121kernelPointwiseApply2IZNS_6native9templates4cuda28bernoulli_tensor_cuda_kernelIffEEvRKNS_10TensorBaseES9_NS_15PhiloxCudaStateEEUliRfSB_SB_SB_RKfSD_SD_SD_E_fSC_jLin1ELi2ELi4ELi512ELi2EEEvNS0_6detail10TensorInfoIT0_T2_EENSG_IT1_SI_EESI_T_ ; -- Begin function _ZN2at4cuda12_GLOBAL__N_121kernelPointwiseApply2IZNS_6native9templates4cuda28bernoulli_tensor_cuda_kernelIffEEvRKNS_10TensorBaseES9_NS_15PhiloxCudaStateEEUliRfSB_SB_SB_RKfSD_SD_SD_E_fSC_jLin1ELi2ELi4ELi512ELi2EEEvNS0_6detail10TensorInfoIT0_T2_EENSG_IT1_SI_EESI_T_
	.p2align	8
	.type	_ZN2at4cuda12_GLOBAL__N_121kernelPointwiseApply2IZNS_6native9templates4cuda28bernoulli_tensor_cuda_kernelIffEEvRKNS_10TensorBaseES9_NS_15PhiloxCudaStateEEUliRfSB_SB_SB_RKfSD_SD_SD_E_fSC_jLin1ELi2ELi4ELi512ELi2EEEvNS0_6detail10TensorInfoIT0_T2_EENSG_IT1_SI_EESI_T_,@function
_ZN2at4cuda12_GLOBAL__N_121kernelPointwiseApply2IZNS_6native9templates4cuda28bernoulli_tensor_cuda_kernelIffEEvRKNS_10TensorBaseES9_NS_15PhiloxCudaStateEEUliRfSB_SB_SB_RKfSD_SD_SD_E_fSC_jLin1ELi2ELi4ELi512ELi2EEEvNS0_6detail10TensorInfoIT0_T2_EENSG_IT1_SI_EESI_T_: ; @_ZN2at4cuda12_GLOBAL__N_121kernelPointwiseApply2IZNS_6native9templates4cuda28bernoulli_tensor_cuda_kernelIffEEvRKNS_10TensorBaseES9_NS_15PhiloxCudaStateEEUliRfSB_SB_SB_RKfSD_SD_SD_E_fSC_jLin1ELi2ELi4ELi512ELi2EEEvNS0_6detail10TensorInfoIT0_T2_EENSG_IT1_SI_EESI_T_
; %bb.0:
	s_load_dword s2, s[4:5], 0x1e4
	s_load_dword s33, s[4:5], 0x1b0
	s_add_u32 s0, s4, 0x1d8
	s_addc_u32 s1, s5, 0
	s_waitcnt lgkmcnt(0)
	s_and_b32 s2, s2, 0xffff
	s_mul_i32 s6, s6, s2
	v_add_u32_e32 v5, s6, v0
	v_lshlrev_b32_e32 v34, 2, v5
	v_cmp_gt_u32_e32 vcc, s33, v34
	s_and_saveexec_b64 s[6:7], vcc
	s_cbranch_execz .LBB84_73
; %bb.1:
	s_load_dword s56, s[4:5], 0xe4
	s_load_dwordx2 s[6:7], s[4:5], 0x144
	s_load_dword s3, s[0:1], 0x0
	s_load_dwordx2 s[12:13], s[4:5], 0xd8
	;; [unrolled: 2-line block ×3, first 2 shown]
	s_load_dwordx4 s[8:11], s[4:5], 0x1b8
	s_waitcnt lgkmcnt(0)
	v_cvt_f32_u32_e32 v0, s56
	s_mul_i32 s21, s3, s2
	s_load_dword s2, s[4:5], 0x1d0
	s_load_dword s57, s[4:5], 0x6c
	s_cmp_gt_i32 s20, 1
	v_rcp_iflag_f32_e32 v2, v0
	s_mov_b32 s58, 0xcd9e8d57
	s_cselect_b64 s[0:1], -1, 0
	s_waitcnt lgkmcnt(0)
	s_bitcmp1_b32 s2, 0
	v_mul_f32_e32 v2, 0x4f7ffffe, v2
	v_cvt_u32_f32_e32 v2, v2
	v_mad_u64_u32 v[0:1], s[2:3], v5, s58, 0
	s_cselect_b64 s[18:19], -1, 0
	s_sub_i32 s2, 0, s56
	s_mov_b32 s3, 0
	v_mov_b32_e32 v4, v1
	v_mul_lo_u32 v1, s2, v2
	s_add_i32 s2, s20, -1
	s_load_dwordx2 s[16:17], s[4:5], 0x0
	s_lshl_b32 s59, s21, 2
	s_add_i32 s60, s20, 1
	s_lshl_b64 s[2:3], s[2:3], 2
	s_add_u32 s2, s2, s4
	v_mul_hi_u32 v1, v2, v1
	s_addc_u32 s3, s3, s5
	v_add_u32_e32 v1, v2, v1
	s_add_u32 s20, s2, 8
	v_cndmask_b32_e64 v2, 0, 1, s[0:1]
	v_mov_b32_e32 v3, 0
	s_addc_u32 s21, s3, 0
	s_mov_b64 s[22:23], 0
	s_mov_b32 s61, 0xd2511f53
	v_cmp_ne_u32_e64 s[0:1], 1, v2
	s_mov_b32 s62, 0xf1bbcdc8
                                        ; implicit-def: $sgpr24_sgpr25
                                        ; implicit-def: $sgpr26_sgpr27
                                        ; implicit-def: $sgpr28_sgpr29
                                        ; implicit-def: $sgpr4_sgpr5
                                        ; implicit-def: $sgpr30_sgpr31
                                        ; implicit-def: $sgpr34_sgpr35
                                        ; implicit-def: $sgpr36_sgpr37
                                        ; implicit-def: $sgpr38_sgpr39
	s_branch .LBB84_3
.LBB84_2:                               ;   in Loop: Header=BB84_3 Depth=1
	s_or_b64 exec, exec, s[40:41]
	s_and_b64 s[2:3], exec, s[2:3]
	s_or_b64 s[22:23], s[2:3], s[22:23]
	s_andn2_b64 s[2:3], s[4:5], exec
	s_and_b64 s[4:5], s[38:39], exec
	s_or_b64 s[4:5], s[2:3], s[4:5]
	s_andn2_b64 s[2:3], s[28:29], exec
	s_and_b64 s[28:29], s[36:37], exec
	s_or_b64 s[28:29], s[2:3], s[28:29]
	s_andn2_b64 s[2:3], s[26:27], exec
	s_and_b64 s[26:27], s[34:35], exec
	s_or_b64 s[26:27], s[2:3], s[26:27]
	s_andn2_b64 s[2:3], s[24:25], exec
	s_and_b64 s[24:25], s[30:31], exec
	s_or_b64 s[24:25], s[2:3], s[24:25]
	s_andn2_b64 exec, exec, s[22:23]
	s_cbranch_execz .LBB84_69
.LBB84_3:                               ; =>This Loop Header: Depth=1
                                        ;     Child Loop BB84_6 Depth 2
                                        ;     Child Loop BB84_13 Depth 2
	;; [unrolled: 1-line block ×4, first 2 shown]
	v_sub_u32_e32 v35, s33, v34
	v_cmp_lt_i32_e64 s[2:3], 0, v35
	v_mov_b32_e32 v6, 0
	s_and_saveexec_b64 s[40:41], s[2:3]
	s_cbranch_execz .LBB84_8
; %bb.4:                                ;   in Loop: Header=BB84_3 Depth=1
	s_and_b64 vcc, exec, s[0:1]
	v_mov_b32_e32 v6, 0
	v_mov_b32_e32 v2, v34
	s_cbranch_vccnz .LBB84_7
; %bb.5:                                ;   in Loop: Header=BB84_3 Depth=1
	v_mov_b32_e32 v6, 0
	s_mov_b64 s[42:43], s[20:21]
	s_mov_b32 s44, s60
	v_mov_b32_e32 v2, v34
.LBB84_6:                               ;   Parent Loop BB84_3 Depth=1
                                        ; =>  This Inner Loop Header: Depth=2
	s_load_dword s45, s[42:43], 0x0
	s_load_dword s46, s[42:43], 0x64
	v_mov_b32_e32 v7, v2
	s_add_i32 s44, s44, -1
	s_waitcnt lgkmcnt(0)
	v_cvt_f32_u32_e32 v2, s45
	s_sub_i32 s47, 0, s45
	s_add_u32 s42, s42, -4
	s_addc_u32 s43, s43, -1
	v_rcp_iflag_f32_e32 v2, v2
	s_cmp_gt_u32 s44, 2
	v_mul_f32_e32 v2, 0x4f7ffffe, v2
	v_cvt_u32_f32_e32 v2, v2
	v_mul_lo_u32 v8, s47, v2
	v_mul_hi_u32 v8, v2, v8
	v_add_u32_e32 v2, v2, v8
	v_mul_hi_u32 v2, v7, v2
	v_mul_lo_u32 v8, v2, s45
	v_sub_u32_e32 v8, v7, v8
	s_waitcnt vmcnt(0)
	v_add_u32_e32 v9, 1, v2
	v_cmp_le_u32_e32 vcc, s45, v8
	v_cndmask_b32_e32 v2, v2, v9, vcc
	v_subrev_u32_e32 v9, s45, v8
	v_cndmask_b32_e32 v8, v8, v9, vcc
	v_add_u32_e32 v9, 1, v2
	v_cmp_le_u32_e32 vcc, s45, v8
	v_cndmask_b32_e32 v2, v2, v9, vcc
	v_mul_lo_u32 v8, v2, s45
	v_sub_u32_e32 v7, v7, v8
	v_mad_u64_u32 v[6:7], s[46:47], s46, v7, v[6:7]
	s_cbranch_scc1 .LBB84_6
.LBB84_7:                               ;   in Loop: Header=BB84_3 Depth=1
	v_mad_u64_u32 v[6:7], s[42:43], s57, v2, v[6:7]
.LBB84_8:                               ;   in Loop: Header=BB84_3 Depth=1
	s_or_b64 exec, exec, s[40:41]
	v_mov_b32_e32 v10, 0
	v_mov_b32_e32 v8, 0
	s_and_saveexec_b64 s[40:41], s[2:3]
	s_cbranch_execz .LBB84_10
; %bb.9:                                ;   in Loop: Header=BB84_3 Depth=1
	v_mul_hi_u32 v2, v34, v1
	v_mul_lo_u32 v7, v2, s56
	v_sub_u32_e32 v7, v34, v7
	v_add_u32_e32 v8, 1, v2
	v_cmp_le_u32_e32 vcc, s56, v7
	v_cndmask_b32_e32 v2, v2, v8, vcc
	v_subrev_u32_e32 v8, s56, v7
	v_cndmask_b32_e32 v7, v7, v8, vcc
	v_add_u32_e32 v8, 1, v2
	v_cmp_le_u32_e32 vcc, s56, v7
	v_cndmask_b32_e32 v7, v2, v8, vcc
	v_mul_lo_u32 v2, v7, s56
	v_sub_u32_e32 v2, v34, v2
	v_mul_lo_u32 v2, v2, s7
	s_waitcnt vmcnt(0)
	v_mad_u64_u32 v[8:9], s[2:3], v7, s6, v[2:3]
.LBB84_10:                              ;   in Loop: Header=BB84_3 Depth=1
	s_or_b64 exec, exec, s[40:41]
	v_or_b32_e32 v7, 1, v34
	v_cmp_lt_i32_e64 s[2:3], 1, v35
	s_and_saveexec_b64 s[40:41], s[2:3]
	s_cbranch_execz .LBB84_15
; %bb.11:                               ;   in Loop: Header=BB84_3 Depth=1
	s_and_b64 vcc, exec, s[0:1]
	v_mov_b32_e32 v10, 0
	v_mov_b32_e32 v2, v7
	s_cbranch_vccnz .LBB84_14
; %bb.12:                               ;   in Loop: Header=BB84_3 Depth=1
	v_mov_b32_e32 v10, 0
	s_mov_b64 s[42:43], s[20:21]
	s_mov_b32 s44, s60
	v_mov_b32_e32 v2, v7
.LBB84_13:                              ;   Parent Loop BB84_3 Depth=1
                                        ; =>  This Inner Loop Header: Depth=2
	s_load_dword s45, s[42:43], 0x0
	s_load_dword s46, s[42:43], 0x64
	s_waitcnt vmcnt(0)
	v_mov_b32_e32 v9, v2
	s_add_i32 s44, s44, -1
	s_waitcnt lgkmcnt(0)
	v_cvt_f32_u32_e32 v2, s45
	s_sub_i32 s47, 0, s45
	s_add_u32 s42, s42, -4
	s_addc_u32 s43, s43, -1
	v_rcp_iflag_f32_e32 v2, v2
	s_cmp_gt_u32 s44, 2
	v_mul_f32_e32 v2, 0x4f7ffffe, v2
	v_cvt_u32_f32_e32 v2, v2
	v_mul_lo_u32 v11, s47, v2
	v_mul_hi_u32 v11, v2, v11
	v_add_u32_e32 v2, v2, v11
	v_mul_hi_u32 v2, v9, v2
	v_mul_lo_u32 v11, v2, s45
	v_sub_u32_e32 v11, v9, v11
	v_add_u32_e32 v12, 1, v2
	v_cmp_le_u32_e32 vcc, s45, v11
	v_cndmask_b32_e32 v2, v2, v12, vcc
	v_subrev_u32_e32 v12, s45, v11
	v_cndmask_b32_e32 v11, v11, v12, vcc
	v_add_u32_e32 v12, 1, v2
	v_cmp_le_u32_e32 vcc, s45, v11
	v_cndmask_b32_e32 v2, v2, v12, vcc
	v_mul_lo_u32 v11, v2, s45
	v_sub_u32_e32 v9, v9, v11
	v_mad_u64_u32 v[10:11], s[46:47], s46, v9, v[10:11]
	s_cbranch_scc1 .LBB84_13
.LBB84_14:                              ;   in Loop: Header=BB84_3 Depth=1
	v_mad_u64_u32 v[10:11], s[42:43], s57, v2, v[10:11]
.LBB84_15:                              ;   in Loop: Header=BB84_3 Depth=1
	s_or_b64 exec, exec, s[40:41]
	v_mov_b32_e32 v2, 0
	s_and_saveexec_b64 s[40:41], s[2:3]
	s_cbranch_execz .LBB84_17
; %bb.16:                               ;   in Loop: Header=BB84_3 Depth=1
	v_mul_hi_u32 v2, v7, v1
	s_waitcnt vmcnt(0)
	v_mul_lo_u32 v9, v2, s56
	v_sub_u32_e32 v9, v7, v9
	v_add_u32_e32 v11, 1, v2
	v_cmp_le_u32_e32 vcc, s56, v9
	v_cndmask_b32_e32 v2, v2, v11, vcc
	v_subrev_u32_e32 v11, s56, v9
	v_cndmask_b32_e32 v9, v9, v11, vcc
	v_add_u32_e32 v11, 1, v2
	v_cmp_le_u32_e32 vcc, s56, v9
	v_cndmask_b32_e32 v9, v2, v11, vcc
	v_mul_lo_u32 v2, v9, s56
	v_sub_u32_e32 v2, v7, v2
	v_mul_lo_u32 v2, v2, s7
	v_mad_u64_u32 v[12:13], s[2:3], v9, s6, v[2:3]
	v_mov_b32_e32 v2, v12
.LBB84_17:                              ;   in Loop: Header=BB84_3 Depth=1
	s_or_b64 exec, exec, s[40:41]
	v_or_b32_e32 v7, 2, v34
	v_cmp_lt_i32_e64 s[2:3], 2, v35
	v_pk_mov_b32 v[12:13], 0, 0
	s_and_saveexec_b64 s[40:41], s[2:3]
	s_cbranch_execz .LBB84_22
; %bb.18:                               ;   in Loop: Header=BB84_3 Depth=1
	s_and_b64 vcc, exec, s[0:1]
	v_mov_b32_e32 v12, 0
	s_waitcnt vmcnt(0)
	v_mov_b32_e32 v9, v7
	s_cbranch_vccnz .LBB84_21
; %bb.19:                               ;   in Loop: Header=BB84_3 Depth=1
	v_mov_b32_e32 v12, 0
	s_mov_b64 s[42:43], s[20:21]
	s_mov_b32 s44, s60
	v_mov_b32_e32 v9, v7
.LBB84_20:                              ;   Parent Loop BB84_3 Depth=1
                                        ; =>  This Inner Loop Header: Depth=2
	s_load_dword s45, s[42:43], 0x0
	s_load_dword s46, s[42:43], 0x64
	v_mov_b32_e32 v11, v9
	s_add_i32 s44, s44, -1
	s_waitcnt lgkmcnt(0)
	v_cvt_f32_u32_e32 v9, s45
	s_sub_i32 s47, 0, s45
	s_add_u32 s42, s42, -4
	s_addc_u32 s43, s43, -1
	v_rcp_iflag_f32_e32 v9, v9
	s_cmp_gt_u32 s44, 2
	v_mul_f32_e32 v9, 0x4f7ffffe, v9
	v_cvt_u32_f32_e32 v9, v9
	v_mul_lo_u32 v13, s47, v9
	v_mul_hi_u32 v13, v9, v13
	v_add_u32_e32 v9, v9, v13
	v_mul_hi_u32 v9, v11, v9
	v_mul_lo_u32 v13, v9, s45
	v_sub_u32_e32 v13, v11, v13
	v_add_u32_e32 v14, 1, v9
	v_cmp_le_u32_e32 vcc, s45, v13
	v_cndmask_b32_e32 v9, v9, v14, vcc
	v_subrev_u32_e32 v14, s45, v13
	v_cndmask_b32_e32 v13, v13, v14, vcc
	v_add_u32_e32 v14, 1, v9
	v_cmp_le_u32_e32 vcc, s45, v13
	v_cndmask_b32_e32 v9, v9, v14, vcc
	v_mul_lo_u32 v13, v9, s45
	v_sub_u32_e32 v11, v11, v13
	v_mad_u64_u32 v[12:13], s[46:47], s46, v11, v[12:13]
	s_cbranch_scc1 .LBB84_20
.LBB84_21:                              ;   in Loop: Header=BB84_3 Depth=1
	v_mad_u64_u32 v[12:13], s[42:43], s57, v9, v[12:13]
	v_mov_b32_e32 v13, v3
.LBB84_22:                              ;   in Loop: Header=BB84_3 Depth=1
	s_or_b64 exec, exec, s[40:41]
	v_pk_mov_b32 v[18:19], 0, 0
	v_pk_mov_b32 v[14:15], v[18:19], v[18:19] op_sel:[0,1]
	s_and_saveexec_b64 s[40:41], s[2:3]
	s_cbranch_execz .LBB84_24
; %bb.23:                               ;   in Loop: Header=BB84_3 Depth=1
	s_waitcnt vmcnt(0)
	v_mul_hi_u32 v9, v7, v1
	v_mul_lo_u32 v11, v9, s56
	v_sub_u32_e32 v11, v7, v11
	v_add_u32_e32 v14, 1, v9
	v_cmp_le_u32_e32 vcc, s56, v11
	v_cndmask_b32_e32 v9, v9, v14, vcc
	v_subrev_u32_e32 v14, s56, v11
	v_cndmask_b32_e32 v11, v11, v14, vcc
	v_add_u32_e32 v14, 1, v9
	v_cmp_le_u32_e32 vcc, s56, v11
	v_cndmask_b32_e32 v9, v9, v14, vcc
	v_mul_lo_u32 v11, v9, s56
	v_sub_u32_e32 v7, v7, v11
	v_mul_lo_u32 v14, v7, s7
	v_mad_u64_u32 v[14:15], s[2:3], v9, s6, v[14:15]
	v_mov_b32_e32 v15, v3
.LBB84_24:                              ;   in Loop: Header=BB84_3 Depth=1
	s_or_b64 exec, exec, s[40:41]
	v_or_b32_e32 v7, 3, v34
	v_cmp_lt_i32_e64 s[2:3], 3, v35
	s_and_saveexec_b64 s[40:41], s[2:3]
	s_cbranch_execz .LBB84_29
; %bb.25:                               ;   in Loop: Header=BB84_3 Depth=1
	s_and_b64 vcc, exec, s[0:1]
	v_mov_b32_e32 v16, 0
	s_waitcnt vmcnt(0)
	v_mov_b32_e32 v9, v7
	s_cbranch_vccnz .LBB84_28
; %bb.26:                               ;   in Loop: Header=BB84_3 Depth=1
	v_mov_b32_e32 v16, 0
	s_mov_b64 s[42:43], s[20:21]
	s_mov_b32 s44, s60
	v_mov_b32_e32 v9, v7
.LBB84_27:                              ;   Parent Loop BB84_3 Depth=1
                                        ; =>  This Inner Loop Header: Depth=2
	s_load_dword s45, s[42:43], 0x0
	s_load_dword s46, s[42:43], 0x64
	v_mov_b32_e32 v11, v9
	s_add_i32 s44, s44, -1
	s_waitcnt lgkmcnt(0)
	v_cvt_f32_u32_e32 v9, s45
	s_sub_i32 s47, 0, s45
	s_add_u32 s42, s42, -4
	s_addc_u32 s43, s43, -1
	v_rcp_iflag_f32_e32 v9, v9
	s_cmp_gt_u32 s44, 2
	v_mul_f32_e32 v9, 0x4f7ffffe, v9
	v_cvt_u32_f32_e32 v9, v9
	v_mul_lo_u32 v17, s47, v9
	v_mul_hi_u32 v17, v9, v17
	v_add_u32_e32 v9, v9, v17
	v_mul_hi_u32 v9, v11, v9
	v_mul_lo_u32 v17, v9, s45
	v_sub_u32_e32 v17, v11, v17
	v_add_u32_e32 v18, 1, v9
	v_cmp_le_u32_e32 vcc, s45, v17
	v_cndmask_b32_e32 v9, v9, v18, vcc
	v_subrev_u32_e32 v18, s45, v17
	v_cndmask_b32_e32 v17, v17, v18, vcc
	v_add_u32_e32 v18, 1, v9
	v_cmp_le_u32_e32 vcc, s45, v17
	v_cndmask_b32_e32 v9, v9, v18, vcc
	v_mul_lo_u32 v17, v9, s45
	v_sub_u32_e32 v11, v11, v17
	v_mad_u64_u32 v[16:17], s[46:47], s46, v11, v[16:17]
	s_cbranch_scc1 .LBB84_27
.LBB84_28:                              ;   in Loop: Header=BB84_3 Depth=1
	v_mad_u64_u32 v[18:19], s[42:43], s57, v9, v[16:17]
	v_mov_b32_e32 v19, v3
.LBB84_29:                              ;   in Loop: Header=BB84_3 Depth=1
	s_or_b64 exec, exec, s[40:41]
	v_pk_mov_b32 v[16:17], 0, 0
	s_and_saveexec_b64 s[40:41], s[2:3]
	s_cbranch_execz .LBB84_31
; %bb.30:                               ;   in Loop: Header=BB84_3 Depth=1
	s_waitcnt vmcnt(0)
	v_mul_hi_u32 v9, v7, v1
	v_mul_lo_u32 v11, v9, s56
	v_sub_u32_e32 v11, v7, v11
	v_add_u32_e32 v16, 1, v9
	v_cmp_le_u32_e32 vcc, s56, v11
	v_cndmask_b32_e32 v9, v9, v16, vcc
	v_subrev_u32_e32 v16, s56, v11
	v_cndmask_b32_e32 v11, v11, v16, vcc
	v_add_u32_e32 v16, 1, v9
	v_cmp_le_u32_e32 vcc, s56, v11
	v_cndmask_b32_e32 v9, v9, v16, vcc
	v_mul_lo_u32 v11, v9, s56
	v_sub_u32_e32 v7, v7, v11
	v_mul_lo_u32 v16, v7, s7
	v_mad_u64_u32 v[16:17], s[2:3], v9, s6, v[16:17]
	v_mov_b32_e32 v17, v3
.LBB84_31:                              ;   in Loop: Header=BB84_3 Depth=1
	s_or_b64 exec, exec, s[40:41]
	v_lshlrev_b64 v[16:17], 2, v[16:17]
	v_mov_b32_e32 v7, s13
	v_add_co_u32_e32 v16, vcc, s12, v16
	v_addc_co_u32_e32 v17, vcc, v7, v17, vcc
	global_load_dword v9, v[16:17], off
	s_andn2_b64 vcc, exec, s[18:19]
	v_pk_mov_b32 v[16:17], s[10:11], s[10:11] op_sel:[0,1]
	v_pk_mov_b32 v[20:21], s[8:9], s[8:9] op_sel:[0,1]
	s_cbranch_vccnz .LBB84_33
; %bb.32:                               ;   in Loop: Header=BB84_3 Depth=1
	v_pk_mov_b32 v[16:17], s[10:11], s[10:11] op_sel:[0,1]
	flat_load_dwordx2 v[16:17], v[16:17]
	v_pk_mov_b32 v[20:21], s[8:9], s[8:9] op_sel:[0,1]
	flat_load_dwordx2 v[20:21], v[20:21]
	v_mov_b32_e32 v7, s15
	s_waitcnt vmcnt(0) lgkmcnt(0)
	v_add_co_u32_e32 v16, vcc, s14, v16
	v_addc_co_u32_e32 v17, vcc, v17, v7, vcc
.LBB84_33:                              ;   in Loop: Header=BB84_3 Depth=1
	v_alignbit_b32 v7, v17, v16, 2
	v_lshrrev_b32_e32 v30, 2, v17
	v_xor_b32_e32 v22, v4, v20
	v_and_b32_e32 v11, 3, v16
	v_mad_u64_u32 v[16:17], s[2:3], v7, s61, 0
	v_xor_b32_e32 v22, v22, v30
	v_xor_b32_e32 v17, v17, v21
	v_add_u32_e32 v39, 0xbb67ae85, v21
	v_mad_u64_u32 v[22:23], s[2:3], v22, s61, 0
	v_mad_u64_u32 v[24:25], s[2:3], v17, s58, 0
	v_xor_b32_e32 v23, v39, v23
	v_add_u32_e32 v38, 0x9e3779b9, v20
	v_xor_b32_e32 v17, v0, v25
	v_xor_b32_e32 v23, v23, v16
	v_xor_b32_e32 v17, v17, v38
	v_add_u32_e32 v40, 0x3c6ef372, v20
	v_mad_u64_u32 v[26:27], s[2:3], v23, s58, 0
	v_add_u32_e32 v41, 0x76cf5d0a, v21
	v_mad_u64_u32 v[16:17], s[2:3], v17, s61, 0
	v_xor_b32_e32 v23, v40, v27
	v_xor_b32_e32 v23, v23, v24
	v_xor_b32_e32 v17, v41, v17
	v_xor_b32_e32 v17, v17, v22
	v_add_u32_e32 v43, 0x32370b8f, v21
	v_mad_u64_u32 v[22:23], s[2:3], v23, s61, 0
	v_add_u32_e32 v42, 0xdaa66d2b, v20
	v_mad_u64_u32 v[24:25], s[2:3], v17, s58, 0
	v_xor_b32_e32 v23, v43, v23
	;; [unrolled: 8-line block ×5, first 2 shown]
	v_xor_b32_e32 v23, v23, v24
	v_xor_b32_e32 v17, v49, v17
	;; [unrolled: 1-line block ×3, first 2 shown]
	v_add_u32_e32 v51, 0x1fd5c5a3, v21
	v_mad_u64_u32 v[22:23], s[2:3], v23, s61, 0
	v_xor_b32_e32 v23, v51, v23
	v_xor_b32_e32 v16, v23, v16
	v_add_u32_e32 v50, 0x5384540f, v20
	v_mad_u64_u32 v[28:29], s[2:3], v17, s58, 0
	v_add_co_u32_e32 v36, vcc, s62, v20
	v_mad_u64_u32 v[24:25], s[2:3], v16, s58, 0
	v_xor_b32_e32 v17, v50, v29
	v_xor_b32_e32 v16, v36, v25
	;; [unrolled: 1-line block ×4, first 2 shown]
	v_mad_u64_u32 v[26:27], s[2:3], v17, s61, 0
	v_mad_u64_u32 v[16:17], s[2:3], v16, s61, 0
	v_add_co_u32_e32 v7, vcc, 1, v7
	v_xor_b32_e32 v17, v17, v26
	v_cndmask_b32_e64 v26, 0, 1, vcc
	v_addc_co_u32_e32 v32, vcc, 0, v30, vcc
	v_cmp_eq_u32_e32 vcc, 0, v32
	v_cndmask_b32_e32 v26, 0, v26, vcc
	v_add_u32_e32 v30, v26, v5
	v_cmp_eq_u32_e32 vcc, 0, v30
	v_mad_u64_u32 v[28:29], s[2:3], v7, s61, 0
	v_mad_u64_u32 v[30:31], s[2:3], v30, s58, 0
	v_add_u32_e32 v25, 0x8ff34781, v20
	v_cndmask_b32_e32 v26, 0, v26, vcc
	v_xor_b32_e32 v7, v31, v20
	v_xor_b32_e32 v20, v29, v21
	;; [unrolled: 1-line block ×4, first 2 shown]
	v_mad_u64_u32 v[32:33], s[2:3], v26, s58, 0
	v_add_u32_e32 v23, 0xdb3d7428, v21
	v_add_u32_e32 v37, 0x96a522ad, v21
	v_mad_u64_u32 v[20:21], s[2:3], v7, s61, 0
	v_xor_b32_e32 v7, v38, v33
	v_xor_b32_e32 v7, v7, v30
	v_xor_b32_e32 v21, v39, v21
	v_xor_b32_e32 v21, v21, v28
	v_mad_u64_u32 v[28:29], s[2:3], v7, s61, 0
	v_mad_u64_u32 v[30:31], s[2:3], v21, s58, 0
	v_xor_b32_e32 v21, v41, v29
	v_xor_b32_e32 v7, v40, v31
	v_xor_b32_e32 v26, v21, v20
	v_xor_b32_e32 v7, v7, v32
	v_mad_u64_u32 v[32:33], s[2:3], v26, s58, 0
	;; [unrolled: 6-line block ×7, first 2 shown]
	v_xor_b32_e32 v7, v23, v31
	v_xor_b32_e32 v7, v7, v20
	v_mad_u64_u32 v[32:33], s[2:3], v21, s58, 0
	v_mad_u64_u32 v[20:21], s[2:3], v7, s58, 0
	v_xor_b32_e32 v7, v21, v32
	v_xor_b32_e32 v17, v37, v17
	;; [unrolled: 1-line block ×3, first 2 shown]
	v_cmp_lt_i32_e32 vcc, 1, v11
                                        ; implicit-def: $vgpr21
	s_and_saveexec_b64 s[2:3], vcc
	s_xor_b64 s[2:3], exec, s[2:3]
	s_cbranch_execz .LBB84_39
; %bb.34:                               ;   in Loop: Header=BB84_3 Depth=1
	v_cmp_lt_i32_e32 vcc, 2, v11
                                        ; implicit-def: $vgpr21
	s_and_saveexec_b64 s[40:41], vcc
	s_xor_b64 s[40:41], exec, s[40:41]
; %bb.35:                               ;   in Loop: Header=BB84_3 Depth=1
	v_xor_b32_e32 v11, v36, v33
	v_xor_b32_e32 v11, v11, v28
	v_mul_hi_u32 v11, v11, s61
	v_xor_b32_e32 v11, v11, v30
	v_xor_b32_e32 v21, v37, v11
                                        ; implicit-def: $vgpr17
; %bb.36:                               ;   in Loop: Header=BB84_3 Depth=1
	s_andn2_saveexec_b64 s[40:41], s[40:41]
; %bb.37:                               ;   in Loop: Header=BB84_3 Depth=1
	v_mov_b32_e32 v21, v20
	v_mov_b32_e32 v20, v7
	;; [unrolled: 1-line block ×4, first 2 shown]
; %bb.38:                               ;   in Loop: Header=BB84_3 Depth=1
	s_or_b64 exec, exec, s[40:41]
                                        ; implicit-def: $vgpr22_vgpr23
                                        ; implicit-def: $vgpr24_vgpr25
                                        ; implicit-def: $vgpr11
                                        ; implicit-def: $vgpr17
                                        ; implicit-def: $vgpr26_vgpr27
                                        ; implicit-def: $vgpr23
                                        ; implicit-def: $vgpr25
.LBB84_39:                              ;   in Loop: Header=BB84_3 Depth=1
	s_andn2_saveexec_b64 s[2:3], s[2:3]
	s_cbranch_execz .LBB84_43
; %bb.40:                               ;   in Loop: Header=BB84_3 Depth=1
	v_xor_b32_e32 v20, v23, v27
	v_xor_b32_e32 v20, v20, v22
	v_mad_u64_u32 v[22:23], s[40:41], v20, s58, 0
	v_xor_b32_e32 v20, v23, v24
	v_xor_b32_e32 v23, v25, v20
	v_cmp_eq_u32_e32 vcc, 1, v11
	v_mov_b32_e32 v21, v16
	v_mov_b32_e32 v20, v17
	;; [unrolled: 1-line block ×3, first 2 shown]
	s_and_saveexec_b64 s[40:41], vcc
; %bb.41:                               ;   in Loop: Header=BB84_3 Depth=1
	v_mov_b32_e32 v21, v7
	v_mov_b32_e32 v20, v16
	;; [unrolled: 1-line block ×4, first 2 shown]
; %bb.42:                               ;   in Loop: Header=BB84_3 Depth=1
	s_or_b64 exec, exec, s[40:41]
	v_mov_b32_e32 v16, v23
	v_mov_b32_e32 v7, v11
.LBB84_43:                              ;   in Loop: Header=BB84_3 Depth=1
	s_or_b64 exec, exec, s[2:3]
	v_min_i32_e32 v17, 4, v35
	v_cmp_lt_i32_e32 vcc, 2, v17
	s_mov_b64 s[40:41], 0
	s_mov_b64 s[54:55], 0
	;; [unrolled: 1-line block ×3, first 2 shown]
                                        ; implicit-def: $sgpr44_sgpr45
                                        ; implicit-def: $sgpr46_sgpr47
                                        ; implicit-def: $sgpr48_sgpr49
	s_and_saveexec_b64 s[2:3], vcc
	s_xor_b64 s[50:51], exec, s[2:3]
	s_cbranch_execz .LBB84_55
; %bb.44:                               ;   in Loop: Header=BB84_3 Depth=1
	v_cmp_lt_i32_e32 vcc, 3, v17
	s_mov_b64 s[2:3], -1
	s_mov_b64 s[52:53], 0
                                        ; implicit-def: $sgpr42_sgpr43
                                        ; implicit-def: $sgpr44_sgpr45
	s_and_saveexec_b64 s[46:47], vcc
	s_cbranch_execz .LBB84_50
; %bb.45:                               ;   in Loop: Header=BB84_3 Depth=1
	v_cmp_eq_u32_e32 vcc, 4, v17
	s_mov_b64 s[2:3], 0
	s_mov_b64 s[54:55], -1
                                        ; implicit-def: $sgpr42_sgpr43
                                        ; implicit-def: $sgpr44_sgpr45
	s_and_saveexec_b64 s[48:49], vcc
	s_cbranch_execz .LBB84_49
; %bb.46:                               ;   in Loop: Header=BB84_3 Depth=1
	s_waitcnt vmcnt(0)
	v_cmp_le_f32_e32 vcc, 0, v9
	v_cmp_ge_f32_e64 s[2:3], 1.0, v9
	s_and_b64 s[54:55], vcc, s[2:3]
	s_mov_b64 s[42:43], 0
	s_mov_b64 s[2:3], 0
	s_and_saveexec_b64 s[44:45], s[54:55]
	s_cbranch_execz .LBB84_48
; %bb.47:                               ;   in Loop: Header=BB84_3 Depth=1
	v_cvt_f32_u32_e32 v11, v21
	v_mov_b32_e32 v21, 0x2f800000
	v_lshlrev_b64 v[18:19], 2, v[18:19]
	s_waitcnt lgkmcnt(0)
	v_add_co_u32_e32 v18, vcc, s16, v18
	v_fmac_f32_e32 v21, 0x2f800000, v11
	v_mov_b32_e32 v11, s17
	v_addc_co_u32_e32 v19, vcc, v11, v19, vcc
	v_cmp_le_f32_e32 vcc, v21, v9
	s_mov_b64 s[2:3], exec
	v_cndmask_b32_e64 v9, 0, 1.0, vcc
	global_store_dword v[18:19], v9, off
.LBB84_48:                              ;   in Loop: Header=BB84_3 Depth=1
	s_or_b64 exec, exec, s[44:45]
	s_mov_b64 s[44:45], -1
	s_xor_b64 s[54:55], exec, -1
	s_and_b64 s[2:3], s[2:3], exec
.LBB84_49:                              ;   in Loop: Header=BB84_3 Depth=1
	s_or_b64 exec, exec, s[48:49]
	s_and_b64 s[54:55], s[54:55], exec
	s_orn2_b64 s[2:3], s[2:3], exec
.LBB84_50:                              ;   in Loop: Header=BB84_3 Depth=1
	s_or_b64 exec, exec, s[46:47]
	s_mov_b64 s[48:49], s[42:43]
	s_and_saveexec_b64 s[46:47], s[2:3]
	s_cbranch_execz .LBB84_54
; %bb.51:                               ;   in Loop: Header=BB84_3 Depth=1
	v_lshlrev_b64 v[14:15], 2, v[14:15]
	s_waitcnt vmcnt(0)
	v_mov_b32_e32 v9, s13
	v_add_co_u32_e32 v14, vcc, s12, v14
	v_addc_co_u32_e32 v15, vcc, v9, v15, vcc
	global_load_dword v9, v[14:15], off
	s_waitcnt vmcnt(0)
	v_cmp_le_f32_e32 vcc, 0, v9
	v_cmp_ge_f32_e64 s[2:3], 1.0, v9
	s_and_b64 s[48:49], vcc, s[2:3]
	s_mov_b64 s[2:3], 0
	s_and_saveexec_b64 s[52:53], s[48:49]
	s_xor_b64 s[48:49], exec, s[52:53]
	s_cbranch_execz .LBB84_53
; %bb.52:                               ;   in Loop: Header=BB84_3 Depth=1
	v_cvt_f32_u32_e32 v11, v20
	v_mov_b32_e32 v14, 0x2f800000
	v_lshlrev_b64 v[12:13], 2, v[12:13]
	s_waitcnt lgkmcnt(0)
	v_add_co_u32_e32 v12, vcc, s16, v12
	v_fmac_f32_e32 v14, 0x2f800000, v11
	v_mov_b32_e32 v11, s17
	v_addc_co_u32_e32 v13, vcc, v11, v13, vcc
	v_cmp_le_f32_e32 vcc, v14, v9
	v_cndmask_b32_e64 v9, 0, 1.0, vcc
	s_mov_b64 s[2:3], exec
	global_store_dword v[12:13], v9, off
.LBB84_53:                              ;   in Loop: Header=BB84_3 Depth=1
	s_or_b64 exec, exec, s[48:49]
	s_andn2_b64 s[48:49], s[42:43], exec
	s_or_b64 s[42:43], s[42:43], exec
	s_andn2_b64 s[44:45], s[44:45], exec
	s_and_b64 s[52:53], s[2:3], exec
.LBB84_54:                              ;   in Loop: Header=BB84_3 Depth=1
	s_or_b64 exec, exec, s[46:47]
	s_and_b64 s[48:49], s[48:49], exec
	s_and_b64 s[46:47], s[42:43], exec
	;; [unrolled: 1-line block ×5, first 2 shown]
.LBB84_55:                              ;   in Loop: Header=BB84_3 Depth=1
	s_andn2_saveexec_b64 s[2:3], s[50:51]
; %bb.56:                               ;   in Loop: Header=BB84_3 Depth=1
	v_cmp_lt_i32_e32 vcc, 1, v17
	s_andn2_b64 s[50:51], s[54:55], exec
	s_and_b64 s[52:53], vcc, exec
	s_mov_b64 s[40:41], exec
	s_andn2_b64 s[48:49], s[48:49], exec
	s_andn2_b64 s[46:47], s[46:47], exec
	s_andn2_b64 s[44:45], s[44:45], exec
	s_or_b64 s[54:55], s[50:51], s[52:53]
; %bb.57:                               ;   in Loop: Header=BB84_3 Depth=1
	s_or_b64 exec, exec, s[2:3]
	s_mov_b64 s[2:3], 0
	s_mov_b64 s[50:51], s[48:49]
	s_and_saveexec_b64 s[52:53], s[54:55]
	s_cbranch_execnz .LBB84_60
; %bb.58:                               ;   in Loop: Header=BB84_3 Depth=1
	s_or_b64 exec, exec, s[52:53]
	s_and_saveexec_b64 s[52:53], s[40:41]
	s_cbranch_execnz .LBB84_63
.LBB84_59:                              ;   in Loop: Header=BB84_3 Depth=1
	s_or_b64 exec, exec, s[52:53]
	s_and_saveexec_b64 s[40:41], s[2:3]
	s_cbranch_execnz .LBB84_64
	s_branch .LBB84_67
.LBB84_60:                              ;   in Loop: Header=BB84_3 Depth=1
	v_lshlrev_b64 v[12:13], 2, v[2:3]
	v_mov_b32_e32 v2, s13
	v_add_co_u32_e32 v12, vcc, s12, v12
	v_addc_co_u32_e32 v13, vcc, v2, v13, vcc
	global_load_dword v2, v[12:13], off
	s_waitcnt vmcnt(0)
	v_cmp_le_f32_e32 vcc, 0, v2
	v_cmp_ge_f32_e64 s[2:3], 1.0, v2
	s_and_b64 s[50:51], vcc, s[2:3]
	s_mov_b64 s[2:3], 0
	s_and_saveexec_b64 s[54:55], s[50:51]
	s_xor_b64 s[50:51], exec, s[54:55]
	s_cbranch_execz .LBB84_62
; %bb.61:                               ;   in Loop: Header=BB84_3 Depth=1
	v_cvt_f32_u32_e32 v7, v7
	v_mov_b32_e32 v11, v3
	v_mov_b32_e32 v9, 0x2f800000
	v_lshlrev_b64 v[10:11], 2, v[10:11]
	v_fmac_f32_e32 v9, 0x2f800000, v7
	s_waitcnt lgkmcnt(0)
	v_mov_b32_e32 v7, s17
	v_add_co_u32_e32 v10, vcc, s16, v10
	v_addc_co_u32_e32 v11, vcc, v7, v11, vcc
	v_cmp_le_f32_e32 vcc, v9, v2
	v_cndmask_b32_e64 v2, 0, 1.0, vcc
	s_mov_b64 s[2:3], exec
	global_store_dword v[10:11], v2, off
.LBB84_62:                              ;   in Loop: Header=BB84_3 Depth=1
	s_or_b64 exec, exec, s[50:51]
	s_andn2_b64 s[50:51], s[48:49], exec
	s_or_b64 s[48:49], s[48:49], exec
	s_andn2_b64 s[46:47], s[46:47], exec
	s_andn2_b64 s[44:45], s[44:45], exec
	s_and_b64 s[2:3], s[2:3], exec
	s_andn2_b64 s[40:41], s[40:41], exec
	s_or_b64 exec, exec, s[52:53]
	s_and_saveexec_b64 s[52:53], s[40:41]
	s_cbranch_execz .LBB84_59
.LBB84_63:                              ;   in Loop: Header=BB84_3 Depth=1
	v_cmp_eq_u32_e32 vcc, 1, v17
	s_andn2_b64 s[2:3], s[2:3], exec
	s_and_b64 s[40:41], vcc, exec
	s_andn2_b64 s[50:51], s[50:51], exec
	s_andn2_b64 s[48:49], s[48:49], exec
	;; [unrolled: 1-line block ×4, first 2 shown]
	s_or_b64 s[42:43], s[42:43], exec
	s_or_b64 s[2:3], s[2:3], s[40:41]
	s_or_b64 exec, exec, s[52:53]
	s_and_saveexec_b64 s[40:41], s[2:3]
	s_cbranch_execz .LBB84_67
.LBB84_64:                              ;   in Loop: Header=BB84_3 Depth=1
	s_waitcnt vmcnt(0)
	v_mov_b32_e32 v9, v3
	v_lshlrev_b64 v[8:9], 2, v[8:9]
	v_mov_b32_e32 v2, s13
	v_add_co_u32_e32 v8, vcc, s12, v8
	v_addc_co_u32_e32 v9, vcc, v2, v9, vcc
	global_load_dword v2, v[8:9], off
	s_waitcnt vmcnt(0)
	v_cmp_le_f32_e32 vcc, 0, v2
	v_cmp_ge_f32_e64 s[2:3], 1.0, v2
	s_and_b64 s[54:55], vcc, s[2:3]
	s_mov_b64 s[2:3], 0
	s_and_saveexec_b64 s[52:53], s[54:55]
	s_cbranch_execz .LBB84_66
; %bb.65:                               ;   in Loop: Header=BB84_3 Depth=1
	v_cvt_f32_u32_e32 v8, v16
	v_mov_b32_e32 v7, v3
	v_mov_b32_e32 v9, 0x2f800000
	v_lshlrev_b64 v[6:7], 2, v[6:7]
	v_fmac_f32_e32 v9, 0x2f800000, v8
	s_waitcnt lgkmcnt(0)
	v_mov_b32_e32 v8, s17
	v_add_co_u32_e32 v6, vcc, s16, v6
	v_addc_co_u32_e32 v7, vcc, v8, v7, vcc
	v_cmp_le_f32_e32 vcc, v9, v2
	s_mov_b64 s[2:3], exec
	v_cndmask_b32_e64 v2, 0, 1.0, vcc
	global_store_dword v[6:7], v2, off
.LBB84_66:                              ;   in Loop: Header=BB84_3 Depth=1
	s_or_b64 exec, exec, s[52:53]
	s_andn2_b64 s[42:43], s[42:43], exec
	s_and_b64 s[2:3], s[2:3], exec
	s_or_b64 s[50:51], s[50:51], exec
	s_andn2_b64 s[48:49], s[48:49], exec
	s_andn2_b64 s[46:47], s[46:47], exec
	;; [unrolled: 1-line block ×3, first 2 shown]
	s_or_b64 s[42:43], s[42:43], s[2:3]
.LBB84_67:                              ;   in Loop: Header=BB84_3 Depth=1
	s_or_b64 exec, exec, s[40:41]
	s_andn2_b64 s[38:39], s[38:39], exec
	s_and_b64 s[40:41], s[50:51], exec
	s_or_b64 s[38:39], s[38:39], s[40:41]
	s_andn2_b64 s[36:37], s[36:37], exec
	s_and_b64 s[40:41], s[48:49], exec
	s_or_b64 s[36:37], s[36:37], s[40:41]
	;; [unrolled: 3-line block ×3, first 2 shown]
	s_andn2_b64 s[30:31], s[30:31], exec
	s_and_b64 s[40:41], s[44:45], exec
	s_mov_b64 s[2:3], -1
	s_or_b64 s[30:31], s[30:31], s[40:41]
	s_and_saveexec_b64 s[40:41], s[42:43]
	s_cbranch_execz .LBB84_2
; %bb.68:                               ;   in Loop: Header=BB84_3 Depth=1
	v_add_u32_e32 v34, s59, v34
	v_cmp_le_u32_e32 vcc, s33, v34
	s_andn2_b64 s[38:39], s[38:39], exec
	s_andn2_b64 s[36:37], s[36:37], exec
	s_andn2_b64 s[34:35], s[34:35], exec
	s_andn2_b64 s[30:31], s[30:31], exec
	s_orn2_b64 s[2:3], vcc, exec
	s_branch .LBB84_2
.LBB84_69:
	s_or_b64 exec, exec, s[22:23]
	s_xor_b64 s[8:9], s[28:29], -1
	s_xor_b64 s[10:11], s[26:27], -1
	s_xor_b64 s[0:1], s[24:25], -1
	s_mov_b64 s[2:3], 0
	s_and_saveexec_b64 s[6:7], s[0:1]
	s_xor_b64 s[0:1], exec, s[6:7]
	s_cbranch_execnz .LBB84_74
; %bb.70:
	s_andn2_saveexec_b64 s[0:1], s[0:1]
	s_cbranch_execnz .LBB84_82
.LBB84_71:
	s_or_b64 exec, exec, s[0:1]
	s_and_b64 exec, exec, s[2:3]
.LBB84_72:
	; divergent unreachable
.LBB84_73:
	s_endpgm
.LBB84_74:
	s_mov_b64 s[6:7], 0
	s_and_saveexec_b64 s[2:3], s[10:11]
	s_xor_b64 s[2:3], exec, s[2:3]
	s_cbranch_execz .LBB84_80
; %bb.75:
	s_and_saveexec_b64 s[10:11], s[8:9]
	s_xor_b64 s[8:9], exec, s[10:11]
	s_cbranch_execz .LBB84_78
; %bb.76:
	s_and_saveexec_b64 s[10:11], s[4:5]
	s_xor_b64 s[4:5], exec, s[10:11]
	s_cbranch_execnz .LBB84_85
.LBB84_77:
	s_or_b64 exec, exec, s[4:5]
	s_and_b64 s[6:7], s[6:7], exec
.LBB84_78:
	s_andn2_saveexec_b64 s[4:5], s[8:9]
	s_cbranch_execnz .LBB84_84
.LBB84_79:
	s_or_b64 exec, exec, s[4:5]
	s_and_b64 s[6:7], s[6:7], exec
.LBB84_80:
	s_andn2_saveexec_b64 s[2:3], s[2:3]
	s_cbranch_execnz .LBB84_83
.LBB84_81:
	s_or_b64 exec, exec, s[2:3]
	s_and_b64 s[2:3], s[6:7], exec
	s_andn2_saveexec_b64 s[0:1], s[0:1]
	s_cbranch_execz .LBB84_71
.LBB84_82:
	s_or_b64 s[2:3], s[2:3], exec
	s_trap 2
	s_or_b64 exec, exec, s[0:1]
	s_and_b64 exec, exec, s[2:3]
	s_cbranch_execnz .LBB84_72
	s_branch .LBB84_73
.LBB84_83:
	s_or_b64 s[6:7], s[6:7], exec
	s_trap 2
	s_branch .LBB84_81
.LBB84_84:
	s_trap 2
	s_or_b64 s[6:7], s[6:7], exec
	s_branch .LBB84_79
.LBB84_85:
	s_mov_b64 s[6:7], exec
	s_trap 2
	s_branch .LBB84_77
	.section	.rodata,"a",@progbits
	.p2align	6, 0x0
	.amdhsa_kernel _ZN2at4cuda12_GLOBAL__N_121kernelPointwiseApply2IZNS_6native9templates4cuda28bernoulli_tensor_cuda_kernelIffEEvRKNS_10TensorBaseES9_NS_15PhiloxCudaStateEEUliRfSB_SB_SB_RKfSD_SD_SD_E_fSC_jLin1ELi2ELi4ELi512ELi2EEEvNS0_6detail10TensorInfoIT0_T2_EENSG_IT1_SI_EESI_T_
		.amdhsa_group_segment_fixed_size 0
		.amdhsa_private_segment_fixed_size 0
		.amdhsa_kernarg_size 728
		.amdhsa_user_sgpr_count 6
		.amdhsa_user_sgpr_private_segment_buffer 1
		.amdhsa_user_sgpr_dispatch_ptr 0
		.amdhsa_user_sgpr_queue_ptr 0
		.amdhsa_user_sgpr_kernarg_segment_ptr 1
		.amdhsa_user_sgpr_dispatch_id 0
		.amdhsa_user_sgpr_flat_scratch_init 0
		.amdhsa_user_sgpr_kernarg_preload_length 0
		.amdhsa_user_sgpr_kernarg_preload_offset 0
		.amdhsa_user_sgpr_private_segment_size 0
		.amdhsa_uses_dynamic_stack 0
		.amdhsa_system_sgpr_private_segment_wavefront_offset 0
		.amdhsa_system_sgpr_workgroup_id_x 1
		.amdhsa_system_sgpr_workgroup_id_y 0
		.amdhsa_system_sgpr_workgroup_id_z 0
		.amdhsa_system_sgpr_workgroup_info 0
		.amdhsa_system_vgpr_workitem_id 0
		.amdhsa_next_free_vgpr 52
		.amdhsa_next_free_sgpr 63
		.amdhsa_accum_offset 52
		.amdhsa_reserve_vcc 1
		.amdhsa_reserve_flat_scratch 0
		.amdhsa_float_round_mode_32 0
		.amdhsa_float_round_mode_16_64 0
		.amdhsa_float_denorm_mode_32 3
		.amdhsa_float_denorm_mode_16_64 3
		.amdhsa_dx10_clamp 1
		.amdhsa_ieee_mode 1
		.amdhsa_fp16_overflow 0
		.amdhsa_tg_split 0
		.amdhsa_exception_fp_ieee_invalid_op 0
		.amdhsa_exception_fp_denorm_src 0
		.amdhsa_exception_fp_ieee_div_zero 0
		.amdhsa_exception_fp_ieee_overflow 0
		.amdhsa_exception_fp_ieee_underflow 0
		.amdhsa_exception_fp_ieee_inexact 0
		.amdhsa_exception_int_div_zero 0
	.end_amdhsa_kernel
	.section	.text._ZN2at4cuda12_GLOBAL__N_121kernelPointwiseApply2IZNS_6native9templates4cuda28bernoulli_tensor_cuda_kernelIffEEvRKNS_10TensorBaseES9_NS_15PhiloxCudaStateEEUliRfSB_SB_SB_RKfSD_SD_SD_E_fSC_jLin1ELi2ELi4ELi512ELi2EEEvNS0_6detail10TensorInfoIT0_T2_EENSG_IT1_SI_EESI_T_,"axG",@progbits,_ZN2at4cuda12_GLOBAL__N_121kernelPointwiseApply2IZNS_6native9templates4cuda28bernoulli_tensor_cuda_kernelIffEEvRKNS_10TensorBaseES9_NS_15PhiloxCudaStateEEUliRfSB_SB_SB_RKfSD_SD_SD_E_fSC_jLin1ELi2ELi4ELi512ELi2EEEvNS0_6detail10TensorInfoIT0_T2_EENSG_IT1_SI_EESI_T_,comdat
.Lfunc_end84:
	.size	_ZN2at4cuda12_GLOBAL__N_121kernelPointwiseApply2IZNS_6native9templates4cuda28bernoulli_tensor_cuda_kernelIffEEvRKNS_10TensorBaseES9_NS_15PhiloxCudaStateEEUliRfSB_SB_SB_RKfSD_SD_SD_E_fSC_jLin1ELi2ELi4ELi512ELi2EEEvNS0_6detail10TensorInfoIT0_T2_EENSG_IT1_SI_EESI_T_, .Lfunc_end84-_ZN2at4cuda12_GLOBAL__N_121kernelPointwiseApply2IZNS_6native9templates4cuda28bernoulli_tensor_cuda_kernelIffEEvRKNS_10TensorBaseES9_NS_15PhiloxCudaStateEEUliRfSB_SB_SB_RKfSD_SD_SD_E_fSC_jLin1ELi2ELi4ELi512ELi2EEEvNS0_6detail10TensorInfoIT0_T2_EENSG_IT1_SI_EESI_T_
                                        ; -- End function
	.section	.AMDGPU.csdata,"",@progbits
; Kernel info:
; codeLenInByte = 3956
; NumSgprs: 67
; NumVgprs: 52
; NumAgprs: 0
; TotalNumVgprs: 52
; ScratchSize: 0
; MemoryBound: 0
; FloatMode: 240
; IeeeMode: 1
; LDSByteSize: 0 bytes/workgroup (compile time only)
; SGPRBlocks: 8
; VGPRBlocks: 6
; NumSGPRsForWavesPerEU: 67
; NumVGPRsForWavesPerEU: 52
; AccumOffset: 52
; Occupancy: 8
; WaveLimiterHint : 1
; COMPUTE_PGM_RSRC2:SCRATCH_EN: 0
; COMPUTE_PGM_RSRC2:USER_SGPR: 6
; COMPUTE_PGM_RSRC2:TRAP_HANDLER: 0
; COMPUTE_PGM_RSRC2:TGID_X_EN: 1
; COMPUTE_PGM_RSRC2:TGID_Y_EN: 0
; COMPUTE_PGM_RSRC2:TGID_Z_EN: 0
; COMPUTE_PGM_RSRC2:TIDIG_COMP_CNT: 0
; COMPUTE_PGM_RSRC3_GFX90A:ACCUM_OFFSET: 12
; COMPUTE_PGM_RSRC3_GFX90A:TG_SPLIT: 0
	.section	.text._ZN2at4cuda12_GLOBAL__N_121kernelPointwiseApply2IZNS_6native9templates4cuda28bernoulli_tensor_cuda_kernelIffEEvRKNS_10TensorBaseES9_NS_15PhiloxCudaStateEEUliRfSB_SB_SB_RKfSD_SD_SD_E_fSC_jLin1ELin1ELi4ELi512ELi2EEEvNS0_6detail10TensorInfoIT0_T2_EENSG_IT1_SI_EESI_T_,"axG",@progbits,_ZN2at4cuda12_GLOBAL__N_121kernelPointwiseApply2IZNS_6native9templates4cuda28bernoulli_tensor_cuda_kernelIffEEvRKNS_10TensorBaseES9_NS_15PhiloxCudaStateEEUliRfSB_SB_SB_RKfSD_SD_SD_E_fSC_jLin1ELin1ELi4ELi512ELi2EEEvNS0_6detail10TensorInfoIT0_T2_EENSG_IT1_SI_EESI_T_,comdat
	.globl	_ZN2at4cuda12_GLOBAL__N_121kernelPointwiseApply2IZNS_6native9templates4cuda28bernoulli_tensor_cuda_kernelIffEEvRKNS_10TensorBaseES9_NS_15PhiloxCudaStateEEUliRfSB_SB_SB_RKfSD_SD_SD_E_fSC_jLin1ELin1ELi4ELi512ELi2EEEvNS0_6detail10TensorInfoIT0_T2_EENSG_IT1_SI_EESI_T_ ; -- Begin function _ZN2at4cuda12_GLOBAL__N_121kernelPointwiseApply2IZNS_6native9templates4cuda28bernoulli_tensor_cuda_kernelIffEEvRKNS_10TensorBaseES9_NS_15PhiloxCudaStateEEUliRfSB_SB_SB_RKfSD_SD_SD_E_fSC_jLin1ELin1ELi4ELi512ELi2EEEvNS0_6detail10TensorInfoIT0_T2_EENSG_IT1_SI_EESI_T_
	.p2align	8
	.type	_ZN2at4cuda12_GLOBAL__N_121kernelPointwiseApply2IZNS_6native9templates4cuda28bernoulli_tensor_cuda_kernelIffEEvRKNS_10TensorBaseES9_NS_15PhiloxCudaStateEEUliRfSB_SB_SB_RKfSD_SD_SD_E_fSC_jLin1ELin1ELi4ELi512ELi2EEEvNS0_6detail10TensorInfoIT0_T2_EENSG_IT1_SI_EESI_T_,@function
_ZN2at4cuda12_GLOBAL__N_121kernelPointwiseApply2IZNS_6native9templates4cuda28bernoulli_tensor_cuda_kernelIffEEvRKNS_10TensorBaseES9_NS_15PhiloxCudaStateEEUliRfSB_SB_SB_RKfSD_SD_SD_E_fSC_jLin1ELin1ELi4ELi512ELi2EEEvNS0_6detail10TensorInfoIT0_T2_EENSG_IT1_SI_EESI_T_: ; @_ZN2at4cuda12_GLOBAL__N_121kernelPointwiseApply2IZNS_6native9templates4cuda28bernoulli_tensor_cuda_kernelIffEEvRKNS_10TensorBaseES9_NS_15PhiloxCudaStateEEUliRfSB_SB_SB_RKfSD_SD_SD_E_fSC_jLin1ELin1ELi4ELi512ELi2EEEvNS0_6detail10TensorInfoIT0_T2_EENSG_IT1_SI_EESI_T_
; %bb.0:
	s_load_dword s2, s[4:5], 0x1e4
	s_load_dword s33, s[4:5], 0x1b0
	s_add_u32 s0, s4, 0x1d8
	s_addc_u32 s1, s5, 0
	s_waitcnt lgkmcnt(0)
	s_and_b32 s2, s2, 0xffff
	s_mul_i32 s6, s6, s2
	v_add_u32_e32 v5, s6, v0
	v_lshlrev_b32_e32 v34, 2, v5
	v_cmp_gt_u32_e32 vcc, s33, v34
	s_and_saveexec_b64 s[6:7], vcc
	s_cbranch_execz .LBB85_85
; %bb.1:
	s_load_dword s0, s[0:1], 0x0
	s_nop 0
	s_load_dword s16, s[4:5], 0x1d0
	s_load_dword s20, s[4:5], 0xd0
	s_add_u32 s22, s4, 0xd8
	s_load_dwordx2 s[6:7], s[4:5], 0x1c8
	s_load_dwordx4 s[8:11], s[4:5], 0x1b8
	s_load_dword s24, s[4:5], 0x1a8
	s_load_dwordx2 s[12:13], s[4:5], 0xd8
	s_load_dword s56, s[4:5], 0x6c
	s_addc_u32 s23, s5, 0
	s_waitcnt lgkmcnt(0)
	s_mul_i32 s21, s0, s2
	s_cmp_gt_i32 s20, 1
	s_cselect_b64 s[0:1], -1, 0
	s_cmp_gt_i32 s24, 1
	s_mov_b32 s58, 0xcd9e8d57
	s_cselect_b64 s[2:3], -1, 0
	s_bitcmp1_b32 s16, 0
	v_mad_u64_u32 v[0:1], s[18:19], v5, s58, 0
	s_cselect_b64 s[16:17], -1, 0
	s_add_i32 s18, s20, -1
	s_mov_b32 s19, 0
	s_lshl_b32 s59, s21, 2
	s_add_i32 s60, s20, 1
	s_lshl_b64 s[20:21], s[18:19], 2
	s_load_dword s57, s[4:5], 0x144
	s_load_dwordx2 s[14:15], s[4:5], 0x0
	s_add_u32 s4, s20, s4
	s_addc_u32 s5, s21, s5
	s_add_u32 s20, s4, 8
	s_addc_u32 s21, s5, 0
	s_add_i32 s18, s24, -1
	s_add_i32 s61, s24, 1
	s_lshl_b64 s[4:5], s[18:19], 2
	s_add_u32 s4, s4, s22
	s_addc_u32 s5, s5, s23
	s_add_u32 s22, s4, 8
	v_cndmask_b32_e64 v2, 0, 1, s[0:1]
	v_mov_b32_e32 v3, 0
	v_mov_b32_e32 v4, v1
	s_addc_u32 s23, s5, 0
	s_mov_b64 s[24:25], 0
	v_cndmask_b32_e64 v1, 0, 1, s[2:3]
	s_mov_b32 s62, 0xd2511f53
	v_cmp_ne_u32_e64 s[0:1], 1, v2
	s_mov_b32 s63, 0xf1bbcdc8
                                        ; implicit-def: $sgpr26_sgpr27
                                        ; implicit-def: $sgpr28_sgpr29
                                        ; implicit-def: $sgpr30_sgpr31
                                        ; implicit-def: $sgpr18_sgpr19
                                        ; implicit-def: $sgpr34_sgpr35
                                        ; implicit-def: $sgpr36_sgpr37
                                        ; implicit-def: $sgpr38_sgpr39
                                        ; implicit-def: $sgpr40_sgpr41
	s_branch .LBB85_3
.LBB85_2:                               ;   in Loop: Header=BB85_3 Depth=1
	s_or_b64 exec, exec, s[4:5]
	s_and_b64 s[2:3], exec, s[2:3]
	s_or_b64 s[24:25], s[2:3], s[24:25]
	s_andn2_b64 s[2:3], s[18:19], exec
	s_and_b64 s[4:5], s[40:41], exec
	s_or_b64 s[18:19], s[2:3], s[4:5]
	s_andn2_b64 s[2:3], s[30:31], exec
	s_and_b64 s[4:5], s[38:39], exec
	;; [unrolled: 3-line block ×4, first 2 shown]
	s_or_b64 s[26:27], s[2:3], s[4:5]
	s_andn2_b64 exec, exec, s[24:25]
	s_cbranch_execz .LBB85_81
.LBB85_3:                               ; =>This Loop Header: Depth=1
                                        ;     Child Loop BB85_6 Depth 2
                                        ;     Child Loop BB85_11 Depth 2
                                        ;     Child Loop BB85_16 Depth 2
                                        ;     Child Loop BB85_21 Depth 2
                                        ;     Child Loop BB85_26 Depth 2
                                        ;     Child Loop BB85_31 Depth 2
                                        ;     Child Loop BB85_36 Depth 2
                                        ;     Child Loop BB85_41 Depth 2
	v_sub_u32_e32 v35, s33, v34
	v_cmp_lt_i32_e64 s[4:5], 0, v35
	v_mov_b32_e32 v6, 0
	s_and_saveexec_b64 s[2:3], s[4:5]
	s_cbranch_execz .LBB85_8
; %bb.4:                                ;   in Loop: Header=BB85_3 Depth=1
	s_and_b64 vcc, exec, s[0:1]
	v_mov_b32_e32 v6, 0
	v_mov_b32_e32 v2, v34
	s_cbranch_vccnz .LBB85_7
; %bb.5:                                ;   in Loop: Header=BB85_3 Depth=1
	v_mov_b32_e32 v6, 0
	s_mov_b64 s[42:43], s[20:21]
	s_mov_b32 s44, s60
	v_mov_b32_e32 v2, v34
.LBB85_6:                               ;   Parent Loop BB85_3 Depth=1
                                        ; =>  This Inner Loop Header: Depth=2
	s_load_dword s45, s[42:43], 0x0
	s_load_dword s46, s[42:43], 0x64
	v_mov_b32_e32 v7, v2
	s_add_i32 s44, s44, -1
	s_waitcnt lgkmcnt(0)
	v_cvt_f32_u32_e32 v2, s45
	s_sub_i32 s47, 0, s45
	s_add_u32 s42, s42, -4
	s_addc_u32 s43, s43, -1
	v_rcp_iflag_f32_e32 v2, v2
	s_cmp_gt_u32 s44, 2
	v_mul_f32_e32 v2, 0x4f7ffffe, v2
	v_cvt_u32_f32_e32 v2, v2
	v_mul_lo_u32 v8, s47, v2
	v_mul_hi_u32 v8, v2, v8
	v_add_u32_e32 v2, v2, v8
	v_mul_hi_u32 v2, v7, v2
	v_mul_lo_u32 v8, v2, s45
	v_sub_u32_e32 v8, v7, v8
	s_waitcnt vmcnt(0)
	v_add_u32_e32 v9, 1, v2
	v_cmp_le_u32_e32 vcc, s45, v8
	v_cndmask_b32_e32 v2, v2, v9, vcc
	v_subrev_u32_e32 v9, s45, v8
	v_cndmask_b32_e32 v8, v8, v9, vcc
	v_add_u32_e32 v9, 1, v2
	v_cmp_le_u32_e32 vcc, s45, v8
	v_cndmask_b32_e32 v2, v2, v9, vcc
	v_mul_lo_u32 v8, v2, s45
	v_sub_u32_e32 v7, v7, v8
	v_mad_u64_u32 v[6:7], s[46:47], s46, v7, v[6:7]
	s_cbranch_scc1 .LBB85_6
.LBB85_7:                               ;   in Loop: Header=BB85_3 Depth=1
	v_mad_u64_u32 v[6:7], s[42:43], s56, v2, v[6:7]
.LBB85_8:                               ;   in Loop: Header=BB85_3 Depth=1
	s_or_b64 exec, exec, s[2:3]
	v_mov_b32_e32 v8, 0
	v_cmp_ne_u32_e64 s[2:3], 1, v1
	s_and_saveexec_b64 s[42:43], s[4:5]
	s_cbranch_execz .LBB85_13
; %bb.9:                                ;   in Loop: Header=BB85_3 Depth=1
	s_and_b64 vcc, exec, s[2:3]
	v_mov_b32_e32 v8, 0
	v_mov_b32_e32 v2, v34
	s_cbranch_vccnz .LBB85_12
; %bb.10:                               ;   in Loop: Header=BB85_3 Depth=1
	v_mov_b32_e32 v8, 0
	s_mov_b64 s[4:5], s[22:23]
	s_mov_b32 s44, s61
	v_mov_b32_e32 v2, v34
.LBB85_11:                              ;   Parent Loop BB85_3 Depth=1
                                        ; =>  This Inner Loop Header: Depth=2
	s_load_dword s45, s[4:5], 0x0
	s_load_dword s46, s[4:5], 0x64
	v_mov_b32_e32 v7, v2
	s_add_i32 s44, s44, -1
	s_waitcnt lgkmcnt(0)
	v_cvt_f32_u32_e32 v2, s45
	s_sub_i32 s47, 0, s45
	s_add_u32 s4, s4, -4
	s_addc_u32 s5, s5, -1
	v_rcp_iflag_f32_e32 v2, v2
	s_cmp_gt_u32 s44, 2
	v_mul_f32_e32 v2, 0x4f7ffffe, v2
	v_cvt_u32_f32_e32 v2, v2
	s_waitcnt vmcnt(0)
	v_mul_lo_u32 v9, s47, v2
	v_mul_hi_u32 v9, v2, v9
	v_add_u32_e32 v2, v2, v9
	v_mul_hi_u32 v2, v7, v2
	v_mul_lo_u32 v9, v2, s45
	v_sub_u32_e32 v9, v7, v9
	v_add_u32_e32 v10, 1, v2
	v_cmp_le_u32_e32 vcc, s45, v9
	v_cndmask_b32_e32 v2, v2, v10, vcc
	v_subrev_u32_e32 v10, s45, v9
	v_cndmask_b32_e32 v9, v9, v10, vcc
	v_add_u32_e32 v10, 1, v2
	v_cmp_le_u32_e32 vcc, s45, v9
	v_cndmask_b32_e32 v2, v2, v10, vcc
	v_mul_lo_u32 v9, v2, s45
	v_sub_u32_e32 v7, v7, v9
	v_mad_u64_u32 v[8:9], s[46:47], s46, v7, v[8:9]
	s_cbranch_scc1 .LBB85_11
.LBB85_12:                              ;   in Loop: Header=BB85_3 Depth=1
	s_waitcnt vmcnt(0) lgkmcnt(0)
	v_mad_u64_u32 v[8:9], s[4:5], s57, v2, v[8:9]
.LBB85_13:                              ;   in Loop: Header=BB85_3 Depth=1
	s_or_b64 exec, exec, s[42:43]
	v_or_b32_e32 v7, 1, v34
	v_cmp_lt_i32_e64 s[4:5], 1, v35
	v_mov_b32_e32 v10, 0
	s_and_saveexec_b64 s[42:43], s[4:5]
	s_cbranch_execz .LBB85_18
; %bb.14:                               ;   in Loop: Header=BB85_3 Depth=1
	s_and_b64 vcc, exec, s[0:1]
	v_mov_b32_e32 v10, 0
	v_mov_b32_e32 v2, v7
	s_cbranch_vccnz .LBB85_17
; %bb.15:                               ;   in Loop: Header=BB85_3 Depth=1
	v_mov_b32_e32 v10, 0
	s_mov_b64 s[44:45], s[20:21]
	s_mov_b32 s46, s60
	v_mov_b32_e32 v2, v7
.LBB85_16:                              ;   Parent Loop BB85_3 Depth=1
                                        ; =>  This Inner Loop Header: Depth=2
	s_load_dword s47, s[44:45], 0x0
	s_load_dword s48, s[44:45], 0x64
	s_waitcnt vmcnt(0)
	v_mov_b32_e32 v9, v2
	s_add_i32 s46, s46, -1
	s_waitcnt lgkmcnt(0)
	v_cvt_f32_u32_e32 v2, s47
	s_sub_i32 s49, 0, s47
	s_add_u32 s44, s44, -4
	s_addc_u32 s45, s45, -1
	v_rcp_iflag_f32_e32 v2, v2
	s_cmp_gt_u32 s46, 2
	v_mul_f32_e32 v2, 0x4f7ffffe, v2
	v_cvt_u32_f32_e32 v2, v2
	v_mul_lo_u32 v11, s49, v2
	v_mul_hi_u32 v11, v2, v11
	v_add_u32_e32 v2, v2, v11
	v_mul_hi_u32 v2, v9, v2
	v_mul_lo_u32 v11, v2, s47
	v_sub_u32_e32 v11, v9, v11
	v_add_u32_e32 v12, 1, v2
	v_cmp_le_u32_e32 vcc, s47, v11
	v_cndmask_b32_e32 v2, v2, v12, vcc
	v_subrev_u32_e32 v12, s47, v11
	v_cndmask_b32_e32 v11, v11, v12, vcc
	v_add_u32_e32 v12, 1, v2
	v_cmp_le_u32_e32 vcc, s47, v11
	v_cndmask_b32_e32 v2, v2, v12, vcc
	v_mul_lo_u32 v11, v2, s47
	v_sub_u32_e32 v9, v9, v11
	v_mad_u64_u32 v[10:11], s[48:49], s48, v9, v[10:11]
	s_cbranch_scc1 .LBB85_16
.LBB85_17:                              ;   in Loop: Header=BB85_3 Depth=1
	v_mad_u64_u32 v[10:11], s[44:45], s56, v2, v[10:11]
.LBB85_18:                              ;   in Loop: Header=BB85_3 Depth=1
	s_or_b64 exec, exec, s[42:43]
	v_mov_b32_e32 v2, 0
	s_and_saveexec_b64 s[42:43], s[4:5]
	s_cbranch_execz .LBB85_23
; %bb.19:                               ;   in Loop: Header=BB85_3 Depth=1
	s_and_b64 vcc, exec, s[2:3]
	v_mov_b32_e32 v12, 0
	s_cbranch_vccnz .LBB85_22
; %bb.20:                               ;   in Loop: Header=BB85_3 Depth=1
	v_mov_b32_e32 v12, 0
	s_mov_b64 s[4:5], s[22:23]
	s_mov_b32 s44, s61
.LBB85_21:                              ;   Parent Loop BB85_3 Depth=1
                                        ; =>  This Inner Loop Header: Depth=2
	s_load_dword s45, s[4:5], 0x0
	s_load_dword s46, s[4:5], 0x64
	v_mov_b32_e32 v2, v7
	s_add_i32 s44, s44, -1
	s_waitcnt lgkmcnt(0)
	v_cvt_f32_u32_e32 v7, s45
	s_sub_i32 s47, 0, s45
	s_add_u32 s4, s4, -4
	s_addc_u32 s5, s5, -1
	v_rcp_iflag_f32_e32 v7, v7
	s_cmp_gt_u32 s44, 2
	v_mul_f32_e32 v7, 0x4f7ffffe, v7
	v_cvt_u32_f32_e32 v7, v7
	s_waitcnt vmcnt(0)
	v_mul_lo_u32 v9, s47, v7
	v_mul_hi_u32 v9, v7, v9
	v_add_u32_e32 v7, v7, v9
	v_mul_hi_u32 v7, v2, v7
	v_mul_lo_u32 v9, v7, s45
	v_sub_u32_e32 v9, v2, v9
	v_add_u32_e32 v11, 1, v7
	v_cmp_le_u32_e32 vcc, s45, v9
	v_cndmask_b32_e32 v7, v7, v11, vcc
	v_subrev_u32_e32 v11, s45, v9
	v_cndmask_b32_e32 v9, v9, v11, vcc
	v_add_u32_e32 v11, 1, v7
	v_cmp_le_u32_e32 vcc, s45, v9
	v_cndmask_b32_e32 v7, v7, v11, vcc
	v_mul_lo_u32 v9, v7, s45
	v_sub_u32_e32 v2, v2, v9
	v_mad_u64_u32 v[12:13], s[46:47], s46, v2, v[12:13]
	s_cbranch_scc1 .LBB85_21
.LBB85_22:                              ;   in Loop: Header=BB85_3 Depth=1
	s_waitcnt lgkmcnt(0)
	v_mad_u64_u32 v[12:13], s[4:5], s57, v7, v[12:13]
	v_mov_b32_e32 v2, v12
.LBB85_23:                              ;   in Loop: Header=BB85_3 Depth=1
	s_or_b64 exec, exec, s[42:43]
	v_or_b32_e32 v7, 2, v34
	v_cmp_lt_i32_e64 s[4:5], 2, v35
	v_mov_b32_e32 v12, 0
	s_and_saveexec_b64 s[42:43], s[4:5]
	s_cbranch_execz .LBB85_28
; %bb.24:                               ;   in Loop: Header=BB85_3 Depth=1
	s_and_b64 vcc, exec, s[0:1]
	v_mov_b32_e32 v12, 0
	s_waitcnt vmcnt(0)
	v_mov_b32_e32 v9, v7
	s_cbranch_vccnz .LBB85_27
; %bb.25:                               ;   in Loop: Header=BB85_3 Depth=1
	v_mov_b32_e32 v12, 0
	s_mov_b64 s[44:45], s[20:21]
	s_mov_b32 s46, s60
	v_mov_b32_e32 v9, v7
.LBB85_26:                              ;   Parent Loop BB85_3 Depth=1
                                        ; =>  This Inner Loop Header: Depth=2
	s_load_dword s47, s[44:45], 0x0
	s_load_dword s48, s[44:45], 0x64
	v_mov_b32_e32 v11, v9
	s_add_i32 s46, s46, -1
	s_waitcnt lgkmcnt(0)
	v_cvt_f32_u32_e32 v9, s47
	s_sub_i32 s49, 0, s47
	s_add_u32 s44, s44, -4
	s_addc_u32 s45, s45, -1
	v_rcp_iflag_f32_e32 v9, v9
	s_cmp_gt_u32 s46, 2
	v_mul_f32_e32 v9, 0x4f7ffffe, v9
	v_cvt_u32_f32_e32 v9, v9
	v_mul_lo_u32 v13, s49, v9
	v_mul_hi_u32 v13, v9, v13
	v_add_u32_e32 v9, v9, v13
	v_mul_hi_u32 v9, v11, v9
	v_mul_lo_u32 v13, v9, s47
	v_sub_u32_e32 v13, v11, v13
	v_add_u32_e32 v14, 1, v9
	v_cmp_le_u32_e32 vcc, s47, v13
	v_cndmask_b32_e32 v9, v9, v14, vcc
	v_subrev_u32_e32 v14, s47, v13
	v_cndmask_b32_e32 v13, v13, v14, vcc
	v_add_u32_e32 v14, 1, v9
	v_cmp_le_u32_e32 vcc, s47, v13
	v_cndmask_b32_e32 v9, v9, v14, vcc
	v_mul_lo_u32 v13, v9, s47
	v_sub_u32_e32 v11, v11, v13
	v_mad_u64_u32 v[12:13], s[48:49], s48, v11, v[12:13]
	s_cbranch_scc1 .LBB85_26
.LBB85_27:                              ;   in Loop: Header=BB85_3 Depth=1
	v_mad_u64_u32 v[12:13], s[44:45], s56, v9, v[12:13]
.LBB85_28:                              ;   in Loop: Header=BB85_3 Depth=1
	s_or_b64 exec, exec, s[42:43]
	v_pk_mov_b32 v[14:15], 0, 0
	s_and_saveexec_b64 s[42:43], s[4:5]
	s_cbranch_execz .LBB85_33
; %bb.29:                               ;   in Loop: Header=BB85_3 Depth=1
	s_and_b64 vcc, exec, s[2:3]
	v_mov_b32_e32 v14, 0
	s_cbranch_vccnz .LBB85_32
; %bb.30:                               ;   in Loop: Header=BB85_3 Depth=1
	v_mov_b32_e32 v14, 0
	s_mov_b64 s[4:5], s[22:23]
	s_mov_b32 s44, s61
.LBB85_31:                              ;   Parent Loop BB85_3 Depth=1
                                        ; =>  This Inner Loop Header: Depth=2
	s_load_dword s45, s[4:5], 0x0
	s_load_dword s46, s[4:5], 0x64
	s_waitcnt vmcnt(0)
	v_mov_b32_e32 v9, v7
	s_add_i32 s44, s44, -1
	s_waitcnt lgkmcnt(0)
	v_cvt_f32_u32_e32 v7, s45
	s_sub_i32 s47, 0, s45
	s_add_u32 s4, s4, -4
	s_addc_u32 s5, s5, -1
	v_rcp_iflag_f32_e32 v7, v7
	s_cmp_gt_u32 s44, 2
	v_mul_f32_e32 v7, 0x4f7ffffe, v7
	v_cvt_u32_f32_e32 v7, v7
	v_mul_lo_u32 v11, s47, v7
	v_mul_hi_u32 v11, v7, v11
	v_add_u32_e32 v7, v7, v11
	v_mul_hi_u32 v7, v9, v7
	v_mul_lo_u32 v11, v7, s45
	v_sub_u32_e32 v11, v9, v11
	v_add_u32_e32 v13, 1, v7
	v_cmp_le_u32_e32 vcc, s45, v11
	v_cndmask_b32_e32 v7, v7, v13, vcc
	v_subrev_u32_e32 v13, s45, v11
	v_cndmask_b32_e32 v11, v11, v13, vcc
	v_add_u32_e32 v13, 1, v7
	v_cmp_le_u32_e32 vcc, s45, v11
	v_cndmask_b32_e32 v7, v7, v13, vcc
	v_mul_lo_u32 v11, v7, s45
	v_sub_u32_e32 v9, v9, v11
	v_mad_u64_u32 v[14:15], s[46:47], s46, v9, v[14:15]
	s_cbranch_scc1 .LBB85_31
.LBB85_32:                              ;   in Loop: Header=BB85_3 Depth=1
	s_waitcnt lgkmcnt(0)
	v_mad_u64_u32 v[14:15], s[4:5], s57, v7, v[14:15]
	v_mov_b32_e32 v15, v3
.LBB85_33:                              ;   in Loop: Header=BB85_3 Depth=1
	s_or_b64 exec, exec, s[42:43]
	v_or_b32_e32 v7, 3, v34
	v_cmp_lt_i32_e64 s[4:5], 3, v35
	v_pk_mov_b32 v[18:19], 0, 0
	s_and_saveexec_b64 s[42:43], s[4:5]
	s_cbranch_execz .LBB85_38
; %bb.34:                               ;   in Loop: Header=BB85_3 Depth=1
	s_and_b64 vcc, exec, s[0:1]
	v_mov_b32_e32 v16, 0
	s_waitcnt vmcnt(0)
	v_mov_b32_e32 v9, v7
	s_cbranch_vccnz .LBB85_37
; %bb.35:                               ;   in Loop: Header=BB85_3 Depth=1
	v_mov_b32_e32 v16, 0
	s_mov_b64 s[44:45], s[20:21]
	s_mov_b32 s46, s60
	v_mov_b32_e32 v9, v7
.LBB85_36:                              ;   Parent Loop BB85_3 Depth=1
                                        ; =>  This Inner Loop Header: Depth=2
	s_load_dword s47, s[44:45], 0x0
	s_load_dword s48, s[44:45], 0x64
	v_mov_b32_e32 v11, v9
	s_add_i32 s46, s46, -1
	s_waitcnt lgkmcnt(0)
	v_cvt_f32_u32_e32 v9, s47
	s_sub_i32 s49, 0, s47
	s_add_u32 s44, s44, -4
	s_addc_u32 s45, s45, -1
	v_rcp_iflag_f32_e32 v9, v9
	s_cmp_gt_u32 s46, 2
	v_mul_f32_e32 v9, 0x4f7ffffe, v9
	v_cvt_u32_f32_e32 v9, v9
	v_mul_lo_u32 v13, s49, v9
	v_mul_hi_u32 v13, v9, v13
	v_add_u32_e32 v9, v9, v13
	v_mul_hi_u32 v9, v11, v9
	v_mul_lo_u32 v13, v9, s47
	v_sub_u32_e32 v13, v11, v13
	v_add_u32_e32 v17, 1, v9
	v_cmp_le_u32_e32 vcc, s47, v13
	v_cndmask_b32_e32 v9, v9, v17, vcc
	v_subrev_u32_e32 v17, s47, v13
	v_cndmask_b32_e32 v13, v13, v17, vcc
	v_add_u32_e32 v17, 1, v9
	v_cmp_le_u32_e32 vcc, s47, v13
	v_cndmask_b32_e32 v9, v9, v17, vcc
	v_mul_lo_u32 v13, v9, s47
	v_sub_u32_e32 v11, v11, v13
	v_mad_u64_u32 v[16:17], s[48:49], s48, v11, v[16:17]
	s_cbranch_scc1 .LBB85_36
.LBB85_37:                              ;   in Loop: Header=BB85_3 Depth=1
	v_mad_u64_u32 v[18:19], s[44:45], s56, v9, v[16:17]
	v_mov_b32_e32 v19, v3
.LBB85_38:                              ;   in Loop: Header=BB85_3 Depth=1
	s_or_b64 exec, exec, s[42:43]
	v_pk_mov_b32 v[16:17], 0, 0
	s_and_saveexec_b64 s[42:43], s[4:5]
	s_cbranch_execz .LBB85_43
; %bb.39:                               ;   in Loop: Header=BB85_3 Depth=1
	s_and_b64 vcc, exec, s[2:3]
	v_mov_b32_e32 v16, 0
	s_cbranch_vccnz .LBB85_42
; %bb.40:                               ;   in Loop: Header=BB85_3 Depth=1
	v_mov_b32_e32 v16, 0
	s_mov_b64 s[2:3], s[22:23]
	s_mov_b32 s4, s61
.LBB85_41:                              ;   Parent Loop BB85_3 Depth=1
                                        ; =>  This Inner Loop Header: Depth=2
	s_load_dword s5, s[2:3], 0x0
	s_load_dword s44, s[2:3], 0x64
	s_waitcnt vmcnt(0)
	v_mov_b32_e32 v9, v7
	s_add_i32 s4, s4, -1
	s_waitcnt lgkmcnt(0)
	v_cvt_f32_u32_e32 v7, s5
	s_sub_i32 s45, 0, s5
	s_add_u32 s2, s2, -4
	s_addc_u32 s3, s3, -1
	v_rcp_iflag_f32_e32 v7, v7
	s_cmp_gt_u32 s4, 2
	v_mul_f32_e32 v7, 0x4f7ffffe, v7
	v_cvt_u32_f32_e32 v7, v7
	v_mul_lo_u32 v11, s45, v7
	v_mul_hi_u32 v11, v7, v11
	v_add_u32_e32 v7, v7, v11
	v_mul_hi_u32 v7, v9, v7
	v_mul_lo_u32 v11, v7, s5
	v_sub_u32_e32 v11, v9, v11
	v_add_u32_e32 v13, 1, v7
	v_cmp_le_u32_e32 vcc, s5, v11
	v_cndmask_b32_e32 v7, v7, v13, vcc
	v_subrev_u32_e32 v13, s5, v11
	v_cndmask_b32_e32 v11, v11, v13, vcc
	v_add_u32_e32 v13, 1, v7
	v_cmp_le_u32_e32 vcc, s5, v11
	v_cndmask_b32_e32 v7, v7, v13, vcc
	v_mul_lo_u32 v11, v7, s5
	v_sub_u32_e32 v9, v9, v11
	v_mad_u64_u32 v[16:17], s[44:45], s44, v9, v[16:17]
	s_cbranch_scc1 .LBB85_41
.LBB85_42:                              ;   in Loop: Header=BB85_3 Depth=1
	s_waitcnt lgkmcnt(0)
	v_mad_u64_u32 v[16:17], s[2:3], s57, v7, v[16:17]
	v_mov_b32_e32 v17, v3
.LBB85_43:                              ;   in Loop: Header=BB85_3 Depth=1
	s_or_b64 exec, exec, s[42:43]
	v_lshlrev_b64 v[16:17], 2, v[16:17]
	v_mov_b32_e32 v7, s13
	v_add_co_u32_e32 v16, vcc, s12, v16
	v_addc_co_u32_e32 v17, vcc, v7, v17, vcc
	global_load_dword v9, v[16:17], off
	s_andn2_b64 vcc, exec, s[16:17]
	v_pk_mov_b32 v[16:17], s[10:11], s[10:11] op_sel:[0,1]
	v_pk_mov_b32 v[20:21], s[8:9], s[8:9] op_sel:[0,1]
	s_cbranch_vccnz .LBB85_45
; %bb.44:                               ;   in Loop: Header=BB85_3 Depth=1
	v_pk_mov_b32 v[16:17], s[10:11], s[10:11] op_sel:[0,1]
	flat_load_dwordx2 v[16:17], v[16:17]
	v_pk_mov_b32 v[20:21], s[8:9], s[8:9] op_sel:[0,1]
	flat_load_dwordx2 v[20:21], v[20:21]
	v_mov_b32_e32 v7, s7
	s_waitcnt vmcnt(0) lgkmcnt(0)
	v_add_co_u32_e32 v16, vcc, s6, v16
	v_addc_co_u32_e32 v17, vcc, v17, v7, vcc
.LBB85_45:                              ;   in Loop: Header=BB85_3 Depth=1
	v_alignbit_b32 v7, v17, v16, 2
	v_lshrrev_b32_e32 v13, 2, v17
	v_xor_b32_e32 v22, v4, v20
	v_and_b32_e32 v11, 3, v16
	v_mad_u64_u32 v[16:17], s[2:3], v7, s62, 0
	v_xor_b32_e32 v22, v22, v13
	v_xor_b32_e32 v17, v17, v21
	v_add_u32_e32 v39, 0xbb67ae85, v21
	v_mad_u64_u32 v[22:23], s[2:3], v22, s62, 0
	v_mad_u64_u32 v[24:25], s[2:3], v17, s58, 0
	v_xor_b32_e32 v23, v39, v23
	v_add_u32_e32 v38, 0x9e3779b9, v20
	v_xor_b32_e32 v17, v0, v25
	v_xor_b32_e32 v23, v23, v16
	v_xor_b32_e32 v17, v17, v38
	v_add_u32_e32 v40, 0x3c6ef372, v20
	v_mad_u64_u32 v[26:27], s[2:3], v23, s58, 0
	v_add_u32_e32 v41, 0x76cf5d0a, v21
	v_mad_u64_u32 v[16:17], s[2:3], v17, s62, 0
	v_xor_b32_e32 v23, v40, v27
	v_xor_b32_e32 v23, v23, v24
	v_xor_b32_e32 v17, v41, v17
	v_xor_b32_e32 v17, v17, v22
	v_add_u32_e32 v43, 0x32370b8f, v21
	v_mad_u64_u32 v[22:23], s[2:3], v23, s62, 0
	v_add_u32_e32 v42, 0xdaa66d2b, v20
	v_mad_u64_u32 v[24:25], s[2:3], v17, s58, 0
	v_xor_b32_e32 v23, v43, v23
	;; [unrolled: 8-line block ×5, first 2 shown]
	v_xor_b32_e32 v23, v23, v24
	v_xor_b32_e32 v17, v49, v17
	;; [unrolled: 1-line block ×3, first 2 shown]
	v_add_u32_e32 v51, 0x1fd5c5a3, v21
	v_mad_u64_u32 v[22:23], s[2:3], v23, s62, 0
	v_xor_b32_e32 v23, v51, v23
	v_xor_b32_e32 v16, v23, v16
	v_add_u32_e32 v50, 0x5384540f, v20
	v_mad_u64_u32 v[28:29], s[2:3], v17, s58, 0
	v_add_co_u32_e32 v36, vcc, s63, v20
	v_mad_u64_u32 v[24:25], s[2:3], v16, s58, 0
	v_xor_b32_e32 v17, v50, v29
	v_xor_b32_e32 v16, v36, v25
	;; [unrolled: 1-line block ×4, first 2 shown]
	v_mad_u64_u32 v[26:27], s[2:3], v17, s62, 0
	v_mad_u64_u32 v[16:17], s[2:3], v16, s62, 0
	v_add_co_u32_e32 v7, vcc, 1, v7
	v_xor_b32_e32 v17, v17, v26
	v_cndmask_b32_e64 v26, 0, 1, vcc
	v_addc_co_u32_e32 v13, vcc, 0, v13, vcc
	v_cmp_eq_u32_e32 vcc, 0, v13
	v_cndmask_b32_e32 v26, 0, v26, vcc
	v_add_u32_e32 v30, v26, v5
	v_cmp_eq_u32_e32 vcc, 0, v30
	v_mad_u64_u32 v[30:31], s[2:3], v30, s58, 0
	v_mad_u64_u32 v[28:29], s[2:3], v7, s62, 0
	v_xor_b32_e32 v7, v31, v20
	v_cndmask_b32_e32 v26, 0, v26, vcc
	v_xor_b32_e32 v7, v13, v7
	v_xor_b32_e32 v13, v29, v21
	;; [unrolled: 1-line block ×3, first 2 shown]
	v_mad_u64_u32 v[32:33], s[2:3], v13, s58, 0
	v_add_u32_e32 v23, 0xdb3d7428, v21
	v_add_u32_e32 v25, 0x8ff34781, v20
	;; [unrolled: 1-line block ×3, first 2 shown]
	v_mad_u64_u32 v[20:21], s[2:3], v7, s62, 0
	v_xor_b32_e32 v7, v38, v33
	v_xor_b32_e32 v7, v7, v30
	v_xor_b32_e32 v13, v39, v21
	v_xor_b32_e32 v13, v13, v28
	v_mad_u64_u32 v[28:29], s[2:3], v7, s62, 0
	v_mad_u64_u32 v[30:31], s[2:3], v13, s58, 0
	v_xor_b32_e32 v13, v41, v29
	v_xor_b32_e32 v7, v40, v31
	v_xor_b32_e32 v13, v13, v20
	v_xor_b32_e32 v7, v7, v32
	v_mad_u64_u32 v[32:33], s[2:3], v13, s58, 0
	;; [unrolled: 6-line block ×7, first 2 shown]
	v_xor_b32_e32 v7, v23, v31
	v_xor_b32_e32 v7, v7, v20
	v_mad_u64_u32 v[32:33], s[2:3], v13, s58, 0
	v_mad_u64_u32 v[20:21], s[2:3], v7, s58, 0
	v_xor_b32_e32 v7, v21, v32
	v_xor_b32_e32 v17, v37, v17
	;; [unrolled: 1-line block ×3, first 2 shown]
	v_cmp_lt_i32_e32 vcc, 1, v11
                                        ; implicit-def: $vgpr13
	s_and_saveexec_b64 s[2:3], vcc
	s_xor_b64 s[2:3], exec, s[2:3]
	s_cbranch_execz .LBB85_51
; %bb.46:                               ;   in Loop: Header=BB85_3 Depth=1
	v_cmp_lt_i32_e32 vcc, 2, v11
                                        ; implicit-def: $vgpr13
	s_and_saveexec_b64 s[4:5], vcc
	s_xor_b64 s[4:5], exec, s[4:5]
; %bb.47:                               ;   in Loop: Header=BB85_3 Depth=1
	v_xor_b32_e32 v11, v36, v33
	v_xor_b32_e32 v11, v11, v28
	v_mul_hi_u32 v11, v11, s62
	v_xor_b32_e32 v11, v11, v30
	v_xor_b32_e32 v13, v37, v11
                                        ; implicit-def: $vgpr17
; %bb.48:                               ;   in Loop: Header=BB85_3 Depth=1
	s_andn2_saveexec_b64 s[4:5], s[4:5]
; %bb.49:                               ;   in Loop: Header=BB85_3 Depth=1
	v_mov_b32_e32 v13, v20
	v_mov_b32_e32 v20, v7
	;; [unrolled: 1-line block ×4, first 2 shown]
; %bb.50:                               ;   in Loop: Header=BB85_3 Depth=1
	s_or_b64 exec, exec, s[4:5]
                                        ; implicit-def: $vgpr22_vgpr23
                                        ; implicit-def: $vgpr24_vgpr25
                                        ; implicit-def: $vgpr11
                                        ; implicit-def: $vgpr17
                                        ; implicit-def: $vgpr26_vgpr27
                                        ; implicit-def: $vgpr23
                                        ; implicit-def: $vgpr25
.LBB85_51:                              ;   in Loop: Header=BB85_3 Depth=1
	s_andn2_saveexec_b64 s[2:3], s[2:3]
	s_cbranch_execz .LBB85_55
; %bb.52:                               ;   in Loop: Header=BB85_3 Depth=1
	v_xor_b32_e32 v13, v23, v27
	v_xor_b32_e32 v13, v13, v22
	v_mad_u64_u32 v[22:23], s[4:5], v13, s58, 0
	v_xor_b32_e32 v13, v23, v24
	v_xor_b32_e32 v21, v25, v13
	v_cmp_eq_u32_e32 vcc, 1, v11
	v_mov_b32_e32 v13, v16
	v_mov_b32_e32 v20, v17
	v_mov_b32_e32 v11, v22
	s_and_saveexec_b64 s[4:5], vcc
; %bb.53:                               ;   in Loop: Header=BB85_3 Depth=1
	v_mov_b32_e32 v13, v7
	v_mov_b32_e32 v20, v16
	;; [unrolled: 1-line block ×4, first 2 shown]
; %bb.54:                               ;   in Loop: Header=BB85_3 Depth=1
	s_or_b64 exec, exec, s[4:5]
	v_mov_b32_e32 v16, v21
	v_mov_b32_e32 v7, v11
.LBB85_55:                              ;   in Loop: Header=BB85_3 Depth=1
	s_or_b64 exec, exec, s[2:3]
	v_min_i32_e32 v17, 4, v35
	v_cmp_lt_i32_e32 vcc, 2, v17
	s_mov_b64 s[4:5], 0
	s_mov_b64 s[54:55], 0
	;; [unrolled: 1-line block ×3, first 2 shown]
                                        ; implicit-def: $sgpr44_sgpr45
                                        ; implicit-def: $sgpr46_sgpr47
                                        ; implicit-def: $sgpr48_sgpr49
	s_and_saveexec_b64 s[2:3], vcc
	s_xor_b64 s[50:51], exec, s[2:3]
	s_cbranch_execz .LBB85_67
; %bb.56:                               ;   in Loop: Header=BB85_3 Depth=1
	v_cmp_lt_i32_e32 vcc, 3, v17
	s_mov_b64 s[2:3], -1
	s_mov_b64 s[52:53], 0
                                        ; implicit-def: $sgpr42_sgpr43
                                        ; implicit-def: $sgpr44_sgpr45
	s_and_saveexec_b64 s[46:47], vcc
	s_cbranch_execz .LBB85_62
; %bb.57:                               ;   in Loop: Header=BB85_3 Depth=1
	v_cmp_eq_u32_e32 vcc, 4, v17
	s_mov_b64 s[2:3], 0
	s_mov_b64 s[54:55], -1
                                        ; implicit-def: $sgpr42_sgpr43
                                        ; implicit-def: $sgpr44_sgpr45
	s_and_saveexec_b64 s[48:49], vcc
	s_cbranch_execz .LBB85_61
; %bb.58:                               ;   in Loop: Header=BB85_3 Depth=1
	s_waitcnt vmcnt(0)
	v_cmp_le_f32_e32 vcc, 0, v9
	v_cmp_ge_f32_e64 s[2:3], 1.0, v9
	s_and_b64 s[54:55], vcc, s[2:3]
	s_mov_b64 s[42:43], 0
	s_mov_b64 s[2:3], 0
	s_and_saveexec_b64 s[44:45], s[54:55]
	s_cbranch_execz .LBB85_60
; %bb.59:                               ;   in Loop: Header=BB85_3 Depth=1
	v_cvt_f32_u32_e32 v11, v13
	v_mov_b32_e32 v13, 0x2f800000
	v_lshlrev_b64 v[18:19], 2, v[18:19]
	s_waitcnt lgkmcnt(0)
	v_add_co_u32_e32 v18, vcc, s14, v18
	v_fmac_f32_e32 v13, 0x2f800000, v11
	v_mov_b32_e32 v11, s15
	v_addc_co_u32_e32 v19, vcc, v11, v19, vcc
	v_cmp_le_f32_e32 vcc, v13, v9
	s_mov_b64 s[2:3], exec
	v_cndmask_b32_e64 v9, 0, 1.0, vcc
	global_store_dword v[18:19], v9, off
.LBB85_60:                              ;   in Loop: Header=BB85_3 Depth=1
	s_or_b64 exec, exec, s[44:45]
	s_mov_b64 s[44:45], -1
	s_xor_b64 s[54:55], exec, -1
	s_and_b64 s[2:3], s[2:3], exec
.LBB85_61:                              ;   in Loop: Header=BB85_3 Depth=1
	s_or_b64 exec, exec, s[48:49]
	s_and_b64 s[54:55], s[54:55], exec
	s_orn2_b64 s[2:3], s[2:3], exec
.LBB85_62:                              ;   in Loop: Header=BB85_3 Depth=1
	s_or_b64 exec, exec, s[46:47]
	s_mov_b64 s[48:49], s[42:43]
	s_and_saveexec_b64 s[46:47], s[2:3]
	s_cbranch_execz .LBB85_66
; %bb.63:                               ;   in Loop: Header=BB85_3 Depth=1
	v_lshlrev_b64 v[14:15], 2, v[14:15]
	s_waitcnt vmcnt(0)
	v_mov_b32_e32 v9, s13
	v_add_co_u32_e32 v14, vcc, s12, v14
	v_addc_co_u32_e32 v15, vcc, v9, v15, vcc
	global_load_dword v9, v[14:15], off
	s_waitcnt vmcnt(0)
	v_cmp_le_f32_e32 vcc, 0, v9
	v_cmp_ge_f32_e64 s[2:3], 1.0, v9
	s_and_b64 s[48:49], vcc, s[2:3]
	s_mov_b64 s[2:3], 0
	s_and_saveexec_b64 s[52:53], s[48:49]
	s_xor_b64 s[48:49], exec, s[52:53]
	s_cbranch_execz .LBB85_65
; %bb.64:                               ;   in Loop: Header=BB85_3 Depth=1
	v_cvt_f32_u32_e32 v11, v20
	v_mov_b32_e32 v13, v3
	v_mov_b32_e32 v14, 0x2f800000
	v_lshlrev_b64 v[12:13], 2, v[12:13]
	v_fmac_f32_e32 v14, 0x2f800000, v11
	s_waitcnt lgkmcnt(0)
	v_mov_b32_e32 v11, s15
	v_add_co_u32_e32 v12, vcc, s14, v12
	v_addc_co_u32_e32 v13, vcc, v11, v13, vcc
	v_cmp_le_f32_e32 vcc, v14, v9
	v_cndmask_b32_e64 v9, 0, 1.0, vcc
	s_mov_b64 s[2:3], exec
	global_store_dword v[12:13], v9, off
.LBB85_65:                              ;   in Loop: Header=BB85_3 Depth=1
	s_or_b64 exec, exec, s[48:49]
	s_andn2_b64 s[48:49], s[42:43], exec
	s_or_b64 s[42:43], s[42:43], exec
	s_andn2_b64 s[44:45], s[44:45], exec
	s_and_b64 s[52:53], s[2:3], exec
.LBB85_66:                              ;   in Loop: Header=BB85_3 Depth=1
	s_or_b64 exec, exec, s[46:47]
	s_and_b64 s[48:49], s[48:49], exec
	s_and_b64 s[46:47], s[42:43], exec
	;; [unrolled: 1-line block ×5, first 2 shown]
.LBB85_67:                              ;   in Loop: Header=BB85_3 Depth=1
	s_andn2_saveexec_b64 s[2:3], s[50:51]
; %bb.68:                               ;   in Loop: Header=BB85_3 Depth=1
	v_cmp_lt_i32_e32 vcc, 1, v17
	s_andn2_b64 s[50:51], s[54:55], exec
	s_and_b64 s[52:53], vcc, exec
	s_mov_b64 s[4:5], exec
	s_andn2_b64 s[48:49], s[48:49], exec
	s_andn2_b64 s[46:47], s[46:47], exec
	s_andn2_b64 s[44:45], s[44:45], exec
	s_or_b64 s[54:55], s[50:51], s[52:53]
; %bb.69:                               ;   in Loop: Header=BB85_3 Depth=1
	s_or_b64 exec, exec, s[2:3]
	s_mov_b64 s[2:3], 0
	s_mov_b64 s[50:51], s[48:49]
	s_and_saveexec_b64 s[52:53], s[54:55]
	s_cbranch_execnz .LBB85_72
; %bb.70:                               ;   in Loop: Header=BB85_3 Depth=1
	s_or_b64 exec, exec, s[52:53]
	s_and_saveexec_b64 s[52:53], s[4:5]
	s_cbranch_execnz .LBB85_75
.LBB85_71:                              ;   in Loop: Header=BB85_3 Depth=1
	s_or_b64 exec, exec, s[52:53]
	s_and_saveexec_b64 s[4:5], s[2:3]
	s_cbranch_execnz .LBB85_76
	s_branch .LBB85_79
.LBB85_72:                              ;   in Loop: Header=BB85_3 Depth=1
	v_lshlrev_b64 v[12:13], 2, v[2:3]
	v_mov_b32_e32 v2, s13
	v_add_co_u32_e32 v12, vcc, s12, v12
	v_addc_co_u32_e32 v13, vcc, v2, v13, vcc
	global_load_dword v2, v[12:13], off
	s_waitcnt vmcnt(0)
	v_cmp_le_f32_e32 vcc, 0, v2
	v_cmp_ge_f32_e64 s[2:3], 1.0, v2
	s_and_b64 s[50:51], vcc, s[2:3]
	s_mov_b64 s[2:3], 0
	s_and_saveexec_b64 s[54:55], s[50:51]
	s_xor_b64 s[50:51], exec, s[54:55]
	s_cbranch_execz .LBB85_74
; %bb.73:                               ;   in Loop: Header=BB85_3 Depth=1
	v_cvt_f32_u32_e32 v7, v7
	v_mov_b32_e32 v11, v3
	v_mov_b32_e32 v9, 0x2f800000
	v_lshlrev_b64 v[10:11], 2, v[10:11]
	v_fmac_f32_e32 v9, 0x2f800000, v7
	s_waitcnt lgkmcnt(0)
	v_mov_b32_e32 v7, s15
	v_add_co_u32_e32 v10, vcc, s14, v10
	v_addc_co_u32_e32 v11, vcc, v7, v11, vcc
	v_cmp_le_f32_e32 vcc, v9, v2
	v_cndmask_b32_e64 v2, 0, 1.0, vcc
	s_mov_b64 s[2:3], exec
	global_store_dword v[10:11], v2, off
.LBB85_74:                              ;   in Loop: Header=BB85_3 Depth=1
	s_or_b64 exec, exec, s[50:51]
	s_andn2_b64 s[50:51], s[48:49], exec
	s_or_b64 s[48:49], s[48:49], exec
	s_andn2_b64 s[46:47], s[46:47], exec
	s_andn2_b64 s[44:45], s[44:45], exec
	s_and_b64 s[2:3], s[2:3], exec
	s_andn2_b64 s[4:5], s[4:5], exec
	s_or_b64 exec, exec, s[52:53]
	s_and_saveexec_b64 s[52:53], s[4:5]
	s_cbranch_execz .LBB85_71
.LBB85_75:                              ;   in Loop: Header=BB85_3 Depth=1
	v_cmp_eq_u32_e32 vcc, 1, v17
	s_andn2_b64 s[2:3], s[2:3], exec
	s_and_b64 s[4:5], vcc, exec
	s_andn2_b64 s[50:51], s[50:51], exec
	s_andn2_b64 s[48:49], s[48:49], exec
	s_andn2_b64 s[46:47], s[46:47], exec
	s_andn2_b64 s[44:45], s[44:45], exec
	s_or_b64 s[42:43], s[42:43], exec
	s_or_b64 s[2:3], s[2:3], s[4:5]
	s_or_b64 exec, exec, s[52:53]
	s_and_saveexec_b64 s[4:5], s[2:3]
	s_cbranch_execz .LBB85_79
.LBB85_76:                              ;   in Loop: Header=BB85_3 Depth=1
	s_waitcnt vmcnt(0)
	v_mov_b32_e32 v9, v3
	v_lshlrev_b64 v[8:9], 2, v[8:9]
	v_mov_b32_e32 v2, s13
	v_add_co_u32_e32 v8, vcc, s12, v8
	v_addc_co_u32_e32 v9, vcc, v2, v9, vcc
	global_load_dword v2, v[8:9], off
	s_waitcnt vmcnt(0)
	v_cmp_le_f32_e32 vcc, 0, v2
	v_cmp_ge_f32_e64 s[2:3], 1.0, v2
	s_and_b64 s[54:55], vcc, s[2:3]
	s_mov_b64 s[2:3], 0
	s_and_saveexec_b64 s[52:53], s[54:55]
	s_cbranch_execz .LBB85_78
; %bb.77:                               ;   in Loop: Header=BB85_3 Depth=1
	v_cvt_f32_u32_e32 v8, v16
	v_mov_b32_e32 v7, v3
	v_mov_b32_e32 v9, 0x2f800000
	v_lshlrev_b64 v[6:7], 2, v[6:7]
	v_fmac_f32_e32 v9, 0x2f800000, v8
	s_waitcnt lgkmcnt(0)
	v_mov_b32_e32 v8, s15
	v_add_co_u32_e32 v6, vcc, s14, v6
	v_addc_co_u32_e32 v7, vcc, v8, v7, vcc
	v_cmp_le_f32_e32 vcc, v9, v2
	s_mov_b64 s[2:3], exec
	v_cndmask_b32_e64 v2, 0, 1.0, vcc
	global_store_dword v[6:7], v2, off
.LBB85_78:                              ;   in Loop: Header=BB85_3 Depth=1
	s_or_b64 exec, exec, s[52:53]
	s_andn2_b64 s[42:43], s[42:43], exec
	s_and_b64 s[2:3], s[2:3], exec
	s_or_b64 s[50:51], s[50:51], exec
	s_andn2_b64 s[48:49], s[48:49], exec
	s_andn2_b64 s[46:47], s[46:47], exec
	;; [unrolled: 1-line block ×3, first 2 shown]
	s_or_b64 s[42:43], s[42:43], s[2:3]
.LBB85_79:                              ;   in Loop: Header=BB85_3 Depth=1
	s_or_b64 exec, exec, s[4:5]
	s_andn2_b64 s[4:5], s[40:41], exec
	s_and_b64 s[40:41], s[50:51], exec
	s_or_b64 s[40:41], s[4:5], s[40:41]
	s_andn2_b64 s[4:5], s[38:39], exec
	s_and_b64 s[38:39], s[48:49], exec
	s_or_b64 s[38:39], s[4:5], s[38:39]
	;; [unrolled: 3-line block ×3, first 2 shown]
	s_andn2_b64 s[4:5], s[34:35], exec
	s_and_b64 s[34:35], s[44:45], exec
	s_mov_b64 s[2:3], -1
	s_or_b64 s[34:35], s[4:5], s[34:35]
	s_and_saveexec_b64 s[4:5], s[42:43]
	s_cbranch_execz .LBB85_2
; %bb.80:                               ;   in Loop: Header=BB85_3 Depth=1
	v_add_u32_e32 v34, s59, v34
	v_cmp_le_u32_e32 vcc, s33, v34
	s_andn2_b64 s[40:41], s[40:41], exec
	s_andn2_b64 s[38:39], s[38:39], exec
	;; [unrolled: 1-line block ×4, first 2 shown]
	s_orn2_b64 s[2:3], vcc, exec
	s_branch .LBB85_2
.LBB85_81:
	s_or_b64 exec, exec, s[24:25]
	s_xor_b64 s[6:7], s[30:31], -1
	s_xor_b64 s[8:9], s[28:29], -1
	;; [unrolled: 1-line block ×3, first 2 shown]
	s_mov_b64 s[2:3], 0
	s_and_saveexec_b64 s[4:5], s[0:1]
	s_xor_b64 s[0:1], exec, s[4:5]
	s_cbranch_execnz .LBB85_86
; %bb.82:
	s_andn2_saveexec_b64 s[0:1], s[0:1]
	s_cbranch_execnz .LBB85_94
.LBB85_83:
	s_or_b64 exec, exec, s[0:1]
	s_and_b64 exec, exec, s[2:3]
.LBB85_84:
	; divergent unreachable
.LBB85_85:
	s_endpgm
.LBB85_86:
	s_mov_b64 s[4:5], 0
	s_and_saveexec_b64 s[2:3], s[8:9]
	s_xor_b64 s[2:3], exec, s[2:3]
	s_cbranch_execz .LBB85_92
; %bb.87:
	s_and_saveexec_b64 s[8:9], s[6:7]
	s_xor_b64 s[6:7], exec, s[8:9]
	s_cbranch_execz .LBB85_90
; %bb.88:
	s_and_saveexec_b64 s[8:9], s[18:19]
	s_xor_b64 s[8:9], exec, s[8:9]
	s_cbranch_execnz .LBB85_97
.LBB85_89:
	s_or_b64 exec, exec, s[8:9]
	s_and_b64 s[4:5], s[4:5], exec
.LBB85_90:
	s_andn2_saveexec_b64 s[6:7], s[6:7]
	s_cbranch_execnz .LBB85_96
.LBB85_91:
	s_or_b64 exec, exec, s[6:7]
	s_and_b64 s[4:5], s[4:5], exec
.LBB85_92:
	s_andn2_saveexec_b64 s[2:3], s[2:3]
	s_cbranch_execnz .LBB85_95
.LBB85_93:
	s_or_b64 exec, exec, s[2:3]
	s_and_b64 s[2:3], s[4:5], exec
	s_andn2_saveexec_b64 s[0:1], s[0:1]
	s_cbranch_execz .LBB85_83
.LBB85_94:
	s_or_b64 s[2:3], s[2:3], exec
	s_trap 2
	s_or_b64 exec, exec, s[0:1]
	s_and_b64 exec, exec, s[2:3]
	s_cbranch_execnz .LBB85_84
	s_branch .LBB85_85
.LBB85_95:
	s_or_b64 s[4:5], s[4:5], exec
	s_trap 2
	s_branch .LBB85_93
.LBB85_96:
	s_trap 2
	s_or_b64 s[4:5], s[4:5], exec
	s_branch .LBB85_91
.LBB85_97:
	s_mov_b64 s[4:5], exec
	s_trap 2
	s_branch .LBB85_89
	.section	.rodata,"a",@progbits
	.p2align	6, 0x0
	.amdhsa_kernel _ZN2at4cuda12_GLOBAL__N_121kernelPointwiseApply2IZNS_6native9templates4cuda28bernoulli_tensor_cuda_kernelIffEEvRKNS_10TensorBaseES9_NS_15PhiloxCudaStateEEUliRfSB_SB_SB_RKfSD_SD_SD_E_fSC_jLin1ELin1ELi4ELi512ELi2EEEvNS0_6detail10TensorInfoIT0_T2_EENSG_IT1_SI_EESI_T_
		.amdhsa_group_segment_fixed_size 0
		.amdhsa_private_segment_fixed_size 0
		.amdhsa_kernarg_size 728
		.amdhsa_user_sgpr_count 6
		.amdhsa_user_sgpr_private_segment_buffer 1
		.amdhsa_user_sgpr_dispatch_ptr 0
		.amdhsa_user_sgpr_queue_ptr 0
		.amdhsa_user_sgpr_kernarg_segment_ptr 1
		.amdhsa_user_sgpr_dispatch_id 0
		.amdhsa_user_sgpr_flat_scratch_init 0
		.amdhsa_user_sgpr_kernarg_preload_length 0
		.amdhsa_user_sgpr_kernarg_preload_offset 0
		.amdhsa_user_sgpr_private_segment_size 0
		.amdhsa_uses_dynamic_stack 0
		.amdhsa_system_sgpr_private_segment_wavefront_offset 0
		.amdhsa_system_sgpr_workgroup_id_x 1
		.amdhsa_system_sgpr_workgroup_id_y 0
		.amdhsa_system_sgpr_workgroup_id_z 0
		.amdhsa_system_sgpr_workgroup_info 0
		.amdhsa_system_vgpr_workitem_id 0
		.amdhsa_next_free_vgpr 52
		.amdhsa_next_free_sgpr 64
		.amdhsa_accum_offset 52
		.amdhsa_reserve_vcc 1
		.amdhsa_reserve_flat_scratch 0
		.amdhsa_float_round_mode_32 0
		.amdhsa_float_round_mode_16_64 0
		.amdhsa_float_denorm_mode_32 3
		.amdhsa_float_denorm_mode_16_64 3
		.amdhsa_dx10_clamp 1
		.amdhsa_ieee_mode 1
		.amdhsa_fp16_overflow 0
		.amdhsa_tg_split 0
		.amdhsa_exception_fp_ieee_invalid_op 0
		.amdhsa_exception_fp_denorm_src 0
		.amdhsa_exception_fp_ieee_div_zero 0
		.amdhsa_exception_fp_ieee_overflow 0
		.amdhsa_exception_fp_ieee_underflow 0
		.amdhsa_exception_fp_ieee_inexact 0
		.amdhsa_exception_int_div_zero 0
	.end_amdhsa_kernel
	.section	.text._ZN2at4cuda12_GLOBAL__N_121kernelPointwiseApply2IZNS_6native9templates4cuda28bernoulli_tensor_cuda_kernelIffEEvRKNS_10TensorBaseES9_NS_15PhiloxCudaStateEEUliRfSB_SB_SB_RKfSD_SD_SD_E_fSC_jLin1ELin1ELi4ELi512ELi2EEEvNS0_6detail10TensorInfoIT0_T2_EENSG_IT1_SI_EESI_T_,"axG",@progbits,_ZN2at4cuda12_GLOBAL__N_121kernelPointwiseApply2IZNS_6native9templates4cuda28bernoulli_tensor_cuda_kernelIffEEvRKNS_10TensorBaseES9_NS_15PhiloxCudaStateEEUliRfSB_SB_SB_RKfSD_SD_SD_E_fSC_jLin1ELin1ELi4ELi512ELi2EEEvNS0_6detail10TensorInfoIT0_T2_EENSG_IT1_SI_EESI_T_,comdat
.Lfunc_end85:
	.size	_ZN2at4cuda12_GLOBAL__N_121kernelPointwiseApply2IZNS_6native9templates4cuda28bernoulli_tensor_cuda_kernelIffEEvRKNS_10TensorBaseES9_NS_15PhiloxCudaStateEEUliRfSB_SB_SB_RKfSD_SD_SD_E_fSC_jLin1ELin1ELi4ELi512ELi2EEEvNS0_6detail10TensorInfoIT0_T2_EENSG_IT1_SI_EESI_T_, .Lfunc_end85-_ZN2at4cuda12_GLOBAL__N_121kernelPointwiseApply2IZNS_6native9templates4cuda28bernoulli_tensor_cuda_kernelIffEEvRKNS_10TensorBaseES9_NS_15PhiloxCudaStateEEUliRfSB_SB_SB_RKfSD_SD_SD_E_fSC_jLin1ELin1ELi4ELi512ELi2EEEvNS0_6detail10TensorInfoIT0_T2_EENSG_IT1_SI_EESI_T_
                                        ; -- End function
	.section	.AMDGPU.csdata,"",@progbits
; Kernel info:
; codeLenInByte = 4444
; NumSgprs: 68
; NumVgprs: 52
; NumAgprs: 0
; TotalNumVgprs: 52
; ScratchSize: 0
; MemoryBound: 0
; FloatMode: 240
; IeeeMode: 1
; LDSByteSize: 0 bytes/workgroup (compile time only)
; SGPRBlocks: 8
; VGPRBlocks: 6
; NumSGPRsForWavesPerEU: 68
; NumVGPRsForWavesPerEU: 52
; AccumOffset: 52
; Occupancy: 8
; WaveLimiterHint : 1
; COMPUTE_PGM_RSRC2:SCRATCH_EN: 0
; COMPUTE_PGM_RSRC2:USER_SGPR: 6
; COMPUTE_PGM_RSRC2:TRAP_HANDLER: 0
; COMPUTE_PGM_RSRC2:TGID_X_EN: 1
; COMPUTE_PGM_RSRC2:TGID_Y_EN: 0
; COMPUTE_PGM_RSRC2:TGID_Z_EN: 0
; COMPUTE_PGM_RSRC2:TIDIG_COMP_CNT: 0
; COMPUTE_PGM_RSRC3_GFX90A:ACCUM_OFFSET: 12
; COMPUTE_PGM_RSRC3_GFX90A:TG_SPLIT: 0
	.section	.text._ZN2at4cuda12_GLOBAL__N_121kernelPointwiseApply2IZNS_6native9templates4cuda28bernoulli_tensor_cuda_kernelIffEEvRKNS_10TensorBaseES9_NS_15PhiloxCudaStateEEUliRfSB_SB_SB_RKfSD_SD_SD_E_fSC_mLi1ELi1ELi4ELi512ELi2EEEvNS0_6detail10TensorInfoIT0_T2_EENSG_IT1_SI_EESI_T_,"axG",@progbits,_ZN2at4cuda12_GLOBAL__N_121kernelPointwiseApply2IZNS_6native9templates4cuda28bernoulli_tensor_cuda_kernelIffEEvRKNS_10TensorBaseES9_NS_15PhiloxCudaStateEEUliRfSB_SB_SB_RKfSD_SD_SD_E_fSC_mLi1ELi1ELi4ELi512ELi2EEEvNS0_6detail10TensorInfoIT0_T2_EENSG_IT1_SI_EESI_T_,comdat
	.globl	_ZN2at4cuda12_GLOBAL__N_121kernelPointwiseApply2IZNS_6native9templates4cuda28bernoulli_tensor_cuda_kernelIffEEvRKNS_10TensorBaseES9_NS_15PhiloxCudaStateEEUliRfSB_SB_SB_RKfSD_SD_SD_E_fSC_mLi1ELi1ELi4ELi512ELi2EEEvNS0_6detail10TensorInfoIT0_T2_EENSG_IT1_SI_EESI_T_ ; -- Begin function _ZN2at4cuda12_GLOBAL__N_121kernelPointwiseApply2IZNS_6native9templates4cuda28bernoulli_tensor_cuda_kernelIffEEvRKNS_10TensorBaseES9_NS_15PhiloxCudaStateEEUliRfSB_SB_SB_RKfSD_SD_SD_E_fSC_mLi1ELi1ELi4ELi512ELi2EEEvNS0_6detail10TensorInfoIT0_T2_EENSG_IT1_SI_EESI_T_
	.p2align	8
	.type	_ZN2at4cuda12_GLOBAL__N_121kernelPointwiseApply2IZNS_6native9templates4cuda28bernoulli_tensor_cuda_kernelIffEEvRKNS_10TensorBaseES9_NS_15PhiloxCudaStateEEUliRfSB_SB_SB_RKfSD_SD_SD_E_fSC_mLi1ELi1ELi4ELi512ELi2EEEvNS0_6detail10TensorInfoIT0_T2_EENSG_IT1_SI_EESI_T_,@function
_ZN2at4cuda12_GLOBAL__N_121kernelPointwiseApply2IZNS_6native9templates4cuda28bernoulli_tensor_cuda_kernelIffEEvRKNS_10TensorBaseES9_NS_15PhiloxCudaStateEEUliRfSB_SB_SB_RKfSD_SD_SD_E_fSC_mLi1ELi1ELi4ELi512ELi2EEEvNS0_6detail10TensorInfoIT0_T2_EENSG_IT1_SI_EESI_T_: ; @_ZN2at4cuda12_GLOBAL__N_121kernelPointwiseApply2IZNS_6native9templates4cuda28bernoulli_tensor_cuda_kernelIffEEvRKNS_10TensorBaseES9_NS_15PhiloxCudaStateEEUliRfSB_SB_SB_RKfSD_SD_SD_E_fSC_mLi1ELi1ELi4ELi512ELi2EEEvNS0_6detail10TensorInfoIT0_T2_EENSG_IT1_SI_EESI_T_
; %bb.0:
	s_load_dword s2, s[4:5], 0x374
	s_load_dwordx8 s[8:15], s[4:5], 0x340
	s_add_u32 s0, s4, 0x368
	s_addc_u32 s1, s5, 0
	v_mov_b32_e32 v1, 0
	s_waitcnt lgkmcnt(0)
	s_and_b32 s2, s2, 0xffff
	s_mul_i32 s6, s6, s2
	v_add_u32_e32 v5, s6, v0
	v_lshlrev_b32_e32 v0, 2, v5
	v_cmp_gt_u64_e32 vcc, s[8:9], v[0:1]
	s_and_saveexec_b64 s[6:7], vcc
	s_cbranch_execz .LBB86_43
; %bb.1:
	s_load_dword s3, s[0:1], 0x0
	s_load_dword s22, s[4:5], 0x360
	s_load_dwordx2 s[6:7], s[4:5], 0x0
	s_load_dwordx2 s[18:19], s[4:5], 0xd0
	;; [unrolled: 1-line block ×4, first 2 shown]
	s_waitcnt lgkmcnt(0)
	s_mul_i32 s3, s3, s2
	s_bitcmp1_b32 s22, 0
	s_mov_b32 s33, 0xcd9e8d57
	v_pk_mov_b32 v[6:7], s[18:19], s[18:19] op_sel:[0,1]
	s_cselect_b64 s[4:5], -1, 0
	v_mad_u64_u32 v[2:3], s[0:1], v5, s33, 0
	s_lshl_b32 s56, s3, 2
	v_mad_u64_u32 v[6:7], s[0:1], s18, v0, v[6:7]
	s_mul_i32 s0, s19, s56
	s_mul_hi_u32 s1, s18, s56
	v_add_co_u32_e32 v16, vcc, 2, v0
	s_add_i32 s58, s1, s0
	v_addc_co_u32_e64 v17, s[0:1], 0, 0, vcc
	v_add_co_u32_e32 v18, vcc, 3, v0
	v_mul_lo_u32 v10, s19, v16
	v_mul_lo_u32 v11, s18, v17
	v_mad_u64_u32 v[8:9], s[0:1], s18, v16, 0
	v_addc_co_u32_e64 v19, s[0:1], 0, 0, vcc
	v_add3_u32 v9, v9, v11, v10
	v_mul_lo_u32 v12, s19, v18
	v_mul_lo_u32 v13, s18, v19
	v_mad_u64_u32 v[10:11], s[0:1], s18, v18, 0
	v_mul_lo_u32 v14, s19, v0
	v_add3_u32 v11, v11, v13, v12
	v_mad_u64_u32 v[12:13], s[0:1], s18, v0, 0
	v_add_u32_e32 v7, v14, v7
	v_add_u32_e32 v13, v13, v14
	v_pk_mov_b32 v[14:15], s[20:21], s[20:21] op_sel:[0,1]
	v_mad_u64_u32 v[14:15], s[0:1], s20, v0, v[14:15]
	s_mul_i32 s0, s21, s56
	s_mul_hi_u32 s1, s20, s56
	s_add_i32 s60, s1, s0
	v_mul_lo_u32 v20, s21, v16
	v_mul_lo_u32 v21, s20, v17
	v_mad_u64_u32 v[16:17], s[0:1], s20, v16, 0
	v_add3_u32 v17, v17, v21, v20
	v_mul_lo_u32 v20, s21, v18
	v_mul_lo_u32 v21, s20, v19
	v_mad_u64_u32 v[18:19], s[0:1], s20, v18, 0
	v_mul_lo_u32 v22, s21, v0
	v_add3_u32 v19, v19, v21, v20
	v_mad_u64_u32 v[20:21], s[0:1], s20, v0, 0
	v_mov_b32_e32 v4, v3
	s_mov_b32 s57, 0
	v_sub_u32_e32 v3, s8, v0
	s_mul_i32 s59, s18, s56
	v_add_u32_e32 v15, v22, v15
	s_mul_i32 s61, s20, s56
	v_add_u32_e32 v21, v21, v22
	s_mov_b64 s[20:21], 0
	s_mov_b32 s62, 0xd2511f53
	v_mov_b32_e32 v38, s17
	s_mov_b32 s63, 0xf1bbcdc8
	s_mov_b64 s[36:37], 0
	s_mov_b64 s[40:41], 0
                                        ; implicit-def: $sgpr22_sgpr23
                                        ; implicit-def: $sgpr24_sgpr25
                                        ; implicit-def: $sgpr26_sgpr27
                                        ; implicit-def: $sgpr18_sgpr19
                                        ; implicit-def: $sgpr28_sgpr29
                                        ; implicit-def: $sgpr30_sgpr31
                                        ; implicit-def: $sgpr34_sgpr35
                                        ; implicit-def: $sgpr38_sgpr39
	s_branch .LBB86_3
.LBB86_2:                               ;   in Loop: Header=BB86_3 Depth=1
	s_or_b64 exec, exec, s[2:3]
	s_and_b64 s[0:1], exec, s[0:1]
	s_or_b64 s[20:21], s[0:1], s[20:21]
	s_andn2_b64 s[0:1], s[18:19], exec
	s_and_b64 s[2:3], s[38:39], exec
	s_or_b64 s[18:19], s[0:1], s[2:3]
	s_andn2_b64 s[0:1], s[26:27], exec
	s_and_b64 s[2:3], s[34:35], exec
	;; [unrolled: 3-line block ×4, first 2 shown]
	s_or_b64 s[22:23], s[0:1], s[2:3]
	s_andn2_b64 exec, exec, s[20:21]
	s_cbranch_execz .LBB86_39
.LBB86_3:                               ; =>This Inner Loop Header: Depth=1
	v_mov_b32_e32 v22, s37
	v_add_co_u32_e32 v24, vcc, s36, v18
	v_addc_co_u32_e32 v22, vcc, v19, v22, vcc
	v_cmp_lt_i32_e64 s[0:1], 3, v3
	v_cndmask_b32_e64 v23, 0, v22, s[0:1]
	v_cndmask_b32_e64 v22, 0, v24, s[0:1]
	v_lshlrev_b64 v[22:23], 2, v[22:23]
	v_add_co_u32_e32 v22, vcc, s16, v22
	v_addc_co_u32_e32 v23, vcc, v38, v23, vcc
	global_load_dword v39, v[22:23], off
	s_andn2_b64 vcc, exec, s[4:5]
	v_pk_mov_b32 v[22:23], s[12:13], s[12:13] op_sel:[0,1]
	v_pk_mov_b32 v[24:25], s[10:11], s[10:11] op_sel:[0,1]
	s_cbranch_vccnz .LBB86_5
; %bb.4:                                ;   in Loop: Header=BB86_3 Depth=1
	v_pk_mov_b32 v[22:23], s[12:13], s[12:13] op_sel:[0,1]
	flat_load_dwordx2 v[22:23], v[22:23]
	v_pk_mov_b32 v[24:25], s[10:11], s[10:11] op_sel:[0,1]
	flat_load_dwordx2 v[24:25], v[24:25]
	v_mov_b32_e32 v26, s15
	s_waitcnt vmcnt(0) lgkmcnt(0)
	v_add_co_u32_e32 v22, vcc, s14, v22
	v_addc_co_u32_e32 v23, vcc, v23, v26, vcc
.LBB86_5:                               ;   in Loop: Header=BB86_3 Depth=1
	v_alignbit_b32 v34, v23, v22, 2
	v_lshrrev_b32_e32 v35, 2, v23
	v_xor_b32_e32 v26, v4, v24
	v_and_b32_e32 v40, 3, v22
	v_mad_u64_u32 v[22:23], s[2:3], v34, s62, 0
	v_xor_b32_e32 v26, v26, v35
	v_xor_b32_e32 v23, v23, v25
	v_add_u32_e32 v45, 0xbb67ae85, v25
	v_mad_u64_u32 v[26:27], s[2:3], v26, s62, 0
	v_mad_u64_u32 v[28:29], s[2:3], v23, s33, 0
	v_xor_b32_e32 v27, v45, v27
	v_add_u32_e32 v44, 0x9e3779b9, v24
	v_xor_b32_e32 v23, v2, v29
	v_xor_b32_e32 v27, v27, v22
	v_xor_b32_e32 v23, v23, v44
	v_add_u32_e32 v46, 0x3c6ef372, v24
	v_mad_u64_u32 v[30:31], s[2:3], v27, s33, 0
	v_add_u32_e32 v47, 0x76cf5d0a, v25
	v_mad_u64_u32 v[22:23], s[2:3], v23, s62, 0
	v_xor_b32_e32 v27, v46, v31
	v_xor_b32_e32 v27, v27, v28
	v_xor_b32_e32 v23, v47, v23
	v_xor_b32_e32 v23, v23, v26
	v_add_u32_e32 v49, 0x32370b8f, v25
	v_mad_u64_u32 v[26:27], s[2:3], v27, s62, 0
	v_add_u32_e32 v48, 0xdaa66d2b, v24
	v_mad_u64_u32 v[28:29], s[2:3], v23, s33, 0
	v_xor_b32_e32 v27, v49, v27
	;; [unrolled: 8-line block ×5, first 2 shown]
	v_xor_b32_e32 v27, v27, v28
	v_xor_b32_e32 v23, v55, v23
	;; [unrolled: 1-line block ×3, first 2 shown]
	v_add_u32_e32 v57, 0x1fd5c5a3, v25
	v_mad_u64_u32 v[26:27], s[2:3], v27, s62, 0
	v_xor_b32_e32 v27, v57, v27
	v_xor_b32_e32 v22, v27, v22
	v_add_u32_e32 v56, 0x5384540f, v24
	v_mad_u64_u32 v[32:33], s[2:3], v23, s33, 0
	v_add_co_u32_e32 v42, vcc, s63, v24
	v_mad_u64_u32 v[28:29], s[2:3], v22, s33, 0
	v_xor_b32_e32 v23, v56, v33
	v_xor_b32_e32 v22, v42, v29
	;; [unrolled: 1-line block ×4, first 2 shown]
	v_mad_u64_u32 v[30:31], s[2:3], v23, s62, 0
	v_mad_u64_u32 v[22:23], s[2:3], v22, s62, 0
	v_add_u32_e32 v43, 0x96a522ad, v25
	v_xor_b32_e32 v23, v23, v30
	v_xor_b32_e32 v41, v43, v23
	v_add_co_u32_e32 v23, vcc, 1, v34
	v_cndmask_b32_e64 v30, 0, 1, vcc
	v_addc_co_u32_e32 v36, vcc, 0, v35, vcc
	v_cmp_eq_u32_e32 vcc, 0, v36
	v_cndmask_b32_e32 v30, 0, v30, vcc
	v_add_u32_e32 v34, v30, v5
	v_cmp_eq_u32_e32 vcc, 0, v34
	v_mad_u64_u32 v[32:33], s[2:3], v23, s62, 0
	v_mad_u64_u32 v[34:35], s[2:3], v34, s33, 0
	v_add_u32_e32 v29, 0x8ff34781, v24
	v_cndmask_b32_e32 v30, 0, v30, vcc
	v_xor_b32_e32 v23, v35, v24
	v_xor_b32_e32 v24, v33, v25
	;; [unrolled: 1-line block ×4, first 2 shown]
	v_mad_u64_u32 v[36:37], s[2:3], v30, s33, 0
	v_add_u32_e32 v27, 0xdb3d7428, v25
	v_mad_u64_u32 v[24:25], s[2:3], v23, s62, 0
	v_xor_b32_e32 v23, v44, v37
	v_xor_b32_e32 v23, v23, v34
	v_xor_b32_e32 v25, v45, v25
	v_xor_b32_e32 v25, v25, v32
	v_mad_u64_u32 v[32:33], s[2:3], v23, s62, 0
	v_mad_u64_u32 v[34:35], s[2:3], v25, s33, 0
	v_xor_b32_e32 v25, v47, v33
	v_xor_b32_e32 v23, v46, v35
	v_xor_b32_e32 v30, v25, v24
	v_xor_b32_e32 v23, v23, v36
	v_mad_u64_u32 v[36:37], s[2:3], v30, s33, 0
	;; [unrolled: 6-line block ×7, first 2 shown]
	v_xor_b32_e32 v23, v27, v35
	v_xor_b32_e32 v23, v23, v24
	v_mad_u64_u32 v[36:37], s[2:3], v25, s33, 0
	v_mad_u64_u32 v[24:25], s[2:3], v23, s33, 0
	v_xor_b32_e32 v23, v25, v36
	v_xor_b32_e32 v23, v29, v23
	v_cmp_lt_i32_e32 vcc, 1, v40
                                        ; implicit-def: $vgpr33
	s_and_saveexec_b64 s[2:3], vcc
	s_xor_b64 s[2:3], exec, s[2:3]
	s_cbranch_execz .LBB86_11
; %bb.6:                                ;   in Loop: Header=BB86_3 Depth=1
	v_cmp_lt_i32_e32 vcc, 2, v40
                                        ; implicit-def: $vgpr33
	s_and_saveexec_b64 s[42:43], vcc
	s_xor_b64 s[42:43], exec, s[42:43]
; %bb.7:                                ;   in Loop: Header=BB86_3 Depth=1
	v_xor_b32_e32 v25, v42, v37
	v_xor_b32_e32 v25, v25, v32
	v_mul_hi_u32 v25, v25, s62
	v_xor_b32_e32 v25, v25, v34
	v_xor_b32_e32 v33, v43, v25
                                        ; implicit-def: $vgpr41
; %bb.8:                                ;   in Loop: Header=BB86_3 Depth=1
	s_andn2_saveexec_b64 s[42:43], s[42:43]
; %bb.9:                                ;   in Loop: Header=BB86_3 Depth=1
	v_mov_b32_e32 v33, v24
	v_mov_b32_e32 v24, v23
	;; [unrolled: 1-line block ×4, first 2 shown]
; %bb.10:                               ;   in Loop: Header=BB86_3 Depth=1
	s_or_b64 exec, exec, s[42:43]
                                        ; implicit-def: $vgpr26_vgpr27
                                        ; implicit-def: $vgpr28_vgpr29
                                        ; implicit-def: $vgpr40
                                        ; implicit-def: $vgpr41
                                        ; implicit-def: $vgpr30_vgpr31
                                        ; implicit-def: $vgpr27
                                        ; implicit-def: $vgpr29
.LBB86_11:                              ;   in Loop: Header=BB86_3 Depth=1
	s_andn2_saveexec_b64 s[2:3], s[2:3]
	s_cbranch_execz .LBB86_15
; %bb.12:                               ;   in Loop: Header=BB86_3 Depth=1
	v_xor_b32_e32 v24, v27, v31
	v_xor_b32_e32 v24, v24, v26
	v_mad_u64_u32 v[26:27], s[42:43], v24, s33, 0
	v_xor_b32_e32 v24, v27, v28
	v_xor_b32_e32 v25, v29, v24
	v_cmp_eq_u32_e32 vcc, 1, v40
	v_mov_b32_e32 v33, v22
	v_mov_b32_e32 v24, v41
	;; [unrolled: 1-line block ×3, first 2 shown]
	s_and_saveexec_b64 s[42:43], vcc
; %bb.13:                               ;   in Loop: Header=BB86_3 Depth=1
	v_mov_b32_e32 v33, v23
	v_mov_b32_e32 v24, v22
	;; [unrolled: 1-line block ×4, first 2 shown]
; %bb.14:                               ;   in Loop: Header=BB86_3 Depth=1
	s_or_b64 exec, exec, s[42:43]
	v_mov_b32_e32 v22, v25
	v_mov_b32_e32 v23, v27
.LBB86_15:                              ;   in Loop: Header=BB86_3 Depth=1
	s_or_b64 exec, exec, s[2:3]
	v_min_i32_e32 v25, 4, v3
	v_cmp_lt_i32_e32 vcc, 2, v25
	s_mov_b64 s[42:43], 0
	s_mov_b64 s[2:3], 0
                                        ; implicit-def: $sgpr44_sgpr45
                                        ; implicit-def: $sgpr46_sgpr47
                                        ; implicit-def: $sgpr48_sgpr49
	s_and_saveexec_b64 s[50:51], vcc
	s_xor_b64 s[50:51], exec, s[50:51]
	s_cbranch_execz .LBB86_25
; %bb.16:                               ;   in Loop: Header=BB86_3 Depth=1
	v_cmp_lt_i32_e32 vcc, 3, v25
	s_mov_b64 s[2:3], -1
                                        ; implicit-def: $sgpr44_sgpr45
                                        ; implicit-def: $sgpr52_sgpr53
	s_and_saveexec_b64 s[46:47], vcc
	s_cbranch_execz .LBB86_20
; %bb.17:                               ;   in Loop: Header=BB86_3 Depth=1
	s_waitcnt vmcnt(0)
	v_cmp_le_f32_e32 vcc, 0, v39
	v_cmp_ge_f32_e64 s[2:3], 1.0, v39
	s_and_b64 s[52:53], vcc, s[2:3]
	s_mov_b64 s[44:45], 0
	s_mov_b64 s[2:3], 0
	s_and_saveexec_b64 s[48:49], s[52:53]
	s_cbranch_execz .LBB86_19
; %bb.18:                               ;   in Loop: Header=BB86_3 Depth=1
	v_cvt_f32_u32_e32 v26, v33
	v_mov_b32_e32 v28, 0x2f800000
	v_mov_b32_e32 v27, s41
	;; [unrolled: 1-line block ×3, first 2 shown]
	v_fmac_f32_e32 v28, 0x2f800000, v26
	v_add_co_u32_e32 v26, vcc, s40, v10
	v_addc_co_u32_e32 v27, vcc, v11, v27, vcc
	v_cndmask_b32_e64 v27, 0, v27, s[0:1]
	v_cndmask_b32_e64 v26, 0, v26, s[0:1]
	v_lshlrev_b64 v[26:27], 2, v[26:27]
	v_add_co_u32_e32 v26, vcc, s6, v26
	v_addc_co_u32_e32 v27, vcc, v29, v27, vcc
	v_cmp_le_f32_e32 vcc, v28, v39
	s_mov_b64 s[2:3], exec
	v_cndmask_b32_e64 v28, 0, 1.0, vcc
	global_store_dword v[26:27], v28, off
.LBB86_19:                              ;   in Loop: Header=BB86_3 Depth=1
	s_or_b64 exec, exec, s[48:49]
	s_mov_b64 s[52:53], -1
	s_orn2_b64 s[2:3], s[2:3], exec
.LBB86_20:                              ;   in Loop: Header=BB86_3 Depth=1
	s_or_b64 exec, exec, s[46:47]
	s_mov_b64 s[0:1], 0
	s_mov_b64 s[48:49], s[44:45]
	s_and_saveexec_b64 s[46:47], s[2:3]
	s_cbranch_execz .LBB86_24
; %bb.21:                               ;   in Loop: Header=BB86_3 Depth=1
	v_mov_b32_e32 v26, s37
	v_add_co_u32_e32 v28, vcc, s36, v16
	v_addc_co_u32_e32 v26, vcc, v17, v26, vcc
	v_cmp_lt_i32_e32 vcc, 2, v3
	v_cndmask_b32_e32 v27, 0, v26, vcc
	v_cndmask_b32_e32 v26, 0, v28, vcc
	v_lshlrev_b64 v[26:27], 2, v[26:27]
	v_mov_b32_e32 v28, s17
	v_add_co_u32_e64 v26, s[0:1], s16, v26
	v_addc_co_u32_e64 v27, s[0:1], v28, v27, s[0:1]
	global_load_dword v26, v[26:27], off
	s_waitcnt vmcnt(0)
	v_cmp_le_f32_e64 s[0:1], 0, v26
	v_cmp_ge_f32_e64 s[2:3], 1.0, v26
	s_and_b64 s[0:1], s[0:1], s[2:3]
	s_mov_b64 s[2:3], 0
	s_and_saveexec_b64 s[48:49], s[0:1]
	s_xor_b64 s[48:49], exec, s[48:49]
	s_cbranch_execz .LBB86_23
; %bb.22:                               ;   in Loop: Header=BB86_3 Depth=1
	v_cvt_f32_u32_e32 v24, v24
	v_mov_b32_e32 v27, 0x2f800000
	v_mov_b32_e32 v28, s41
	s_mov_b64 s[2:3], exec
	v_fmac_f32_e32 v27, 0x2f800000, v24
	v_add_co_u32_e64 v24, s[0:1], s40, v8
	v_addc_co_u32_e64 v28, s[0:1], v9, v28, s[0:1]
	v_cndmask_b32_e32 v29, 0, v28, vcc
	v_cndmask_b32_e32 v28, 0, v24, vcc
	v_lshlrev_b64 v[28:29], 2, v[28:29]
	v_mov_b32_e32 v24, s7
	v_add_co_u32_e32 v28, vcc, s6, v28
	v_addc_co_u32_e32 v29, vcc, v24, v29, vcc
	v_cmp_le_f32_e32 vcc, v27, v26
	v_cndmask_b32_e64 v24, 0, 1.0, vcc
	global_store_dword v[28:29], v24, off
.LBB86_23:                              ;   in Loop: Header=BB86_3 Depth=1
	s_or_b64 exec, exec, s[48:49]
	s_andn2_b64 s[48:49], s[44:45], exec
	s_or_b64 s[44:45], s[44:45], exec
	s_andn2_b64 s[52:53], s[52:53], exec
	s_and_b64 s[0:1], s[2:3], exec
.LBB86_24:                              ;   in Loop: Header=BB86_3 Depth=1
	s_or_b64 exec, exec, s[46:47]
	s_and_b64 s[48:49], s[48:49], exec
	s_and_b64 s[46:47], s[44:45], exec
	;; [unrolled: 1-line block ×4, first 2 shown]
.LBB86_25:                              ;   in Loop: Header=BB86_3 Depth=1
	s_andn2_saveexec_b64 s[0:1], s[50:51]
; %bb.26:                               ;   in Loop: Header=BB86_3 Depth=1
	v_cmp_lt_i32_e32 vcc, 1, v25
	s_andn2_b64 s[2:3], s[2:3], exec
	s_and_b64 s[50:51], vcc, exec
	s_mov_b64 s[42:43], exec
	s_andn2_b64 s[48:49], s[48:49], exec
	s_andn2_b64 s[46:47], s[46:47], exec
	;; [unrolled: 1-line block ×3, first 2 shown]
	s_or_b64 s[2:3], s[2:3], s[50:51]
; %bb.27:                               ;   in Loop: Header=BB86_3 Depth=1
	s_or_b64 exec, exec, s[0:1]
	s_mov_b64 s[50:51], 0
	s_mov_b64 s[0:1], 0
	;; [unrolled: 1-line block ×3, first 2 shown]
	s_and_saveexec_b64 s[54:55], s[2:3]
	s_cbranch_execnz .LBB86_30
; %bb.28:                               ;   in Loop: Header=BB86_3 Depth=1
	s_or_b64 exec, exec, s[54:55]
	s_and_saveexec_b64 s[2:3], s[42:43]
	s_cbranch_execnz .LBB86_33
.LBB86_29:                              ;   in Loop: Header=BB86_3 Depth=1
	s_or_b64 exec, exec, s[2:3]
	s_and_saveexec_b64 s[42:43], s[0:1]
	s_cbranch_execnz .LBB86_34
	s_branch .LBB86_37
.LBB86_30:                              ;   in Loop: Header=BB86_3 Depth=1
	v_mov_b32_e32 v24, s37
	v_add_co_u32_e32 v26, vcc, s36, v14
	v_addc_co_u32_e32 v24, vcc, v15, v24, vcc
	v_cmp_lt_i32_e32 vcc, 1, v3
	v_cndmask_b32_e32 v27, 0, v24, vcc
	v_cndmask_b32_e32 v26, 0, v26, vcc
	v_lshlrev_b64 v[26:27], 2, v[26:27]
	v_mov_b32_e32 v24, s17
	v_add_co_u32_e64 v26, s[0:1], s16, v26
	v_addc_co_u32_e64 v27, s[0:1], v24, v27, s[0:1]
	global_load_dword v24, v[26:27], off
	s_waitcnt vmcnt(0)
	v_cmp_le_f32_e64 s[0:1], 0, v24
	v_cmp_ge_f32_e64 s[2:3], 1.0, v24
	s_and_b64 s[0:1], s[0:1], s[2:3]
	s_mov_b64 s[2:3], 0
	s_and_saveexec_b64 s[52:53], s[0:1]
	s_xor_b64 s[52:53], exec, s[52:53]
	s_cbranch_execz .LBB86_32
; %bb.31:                               ;   in Loop: Header=BB86_3 Depth=1
	v_cvt_f32_u32_e32 v23, v23
	v_mov_b32_e32 v28, 0x2f800000
	v_mov_b32_e32 v26, s41
	s_mov_b64 s[2:3], exec
	v_fmac_f32_e32 v28, 0x2f800000, v23
	v_add_co_u32_e64 v23, s[0:1], s40, v6
	v_addc_co_u32_e64 v26, s[0:1], v7, v26, s[0:1]
	v_cndmask_b32_e32 v27, 0, v26, vcc
	v_cndmask_b32_e32 v26, 0, v23, vcc
	v_lshlrev_b64 v[26:27], 2, v[26:27]
	v_mov_b32_e32 v23, s7
	v_add_co_u32_e32 v26, vcc, s6, v26
	v_addc_co_u32_e32 v27, vcc, v23, v27, vcc
	v_cmp_le_f32_e32 vcc, v28, v24
	v_cndmask_b32_e64 v23, 0, 1.0, vcc
	global_store_dword v[26:27], v23, off
.LBB86_32:                              ;   in Loop: Header=BB86_3 Depth=1
	s_or_b64 exec, exec, s[52:53]
	s_andn2_b64 s[52:53], s[48:49], exec
	s_or_b64 s[48:49], s[48:49], exec
	s_andn2_b64 s[46:47], s[46:47], exec
	s_andn2_b64 s[44:45], s[44:45], exec
	s_and_b64 s[0:1], s[2:3], exec
	s_andn2_b64 s[42:43], s[42:43], exec
	s_or_b64 exec, exec, s[54:55]
	s_and_saveexec_b64 s[2:3], s[42:43]
	s_cbranch_execz .LBB86_29
.LBB86_33:                              ;   in Loop: Header=BB86_3 Depth=1
	v_cmp_eq_u32_e32 vcc, 1, v25
	s_andn2_b64 s[0:1], s[0:1], exec
	s_and_b64 s[42:43], vcc, exec
	s_mov_b64 s[50:51], exec
	s_andn2_b64 s[52:53], s[52:53], exec
	s_andn2_b64 s[48:49], s[48:49], exec
	;; [unrolled: 1-line block ×4, first 2 shown]
	s_or_b64 s[0:1], s[0:1], s[42:43]
	s_or_b64 exec, exec, s[2:3]
	s_and_saveexec_b64 s[42:43], s[0:1]
	s_cbranch_execz .LBB86_37
.LBB86_34:                              ;   in Loop: Header=BB86_3 Depth=1
	v_mov_b32_e32 v23, s37
	v_add_co_u32_e32 v24, vcc, s36, v20
	v_addc_co_u32_e32 v23, vcc, v21, v23, vcc
	v_cmp_lt_i32_e32 vcc, 0, v3
	v_cndmask_b32_e32 v25, 0, v23, vcc
	v_cndmask_b32_e32 v24, 0, v24, vcc
	v_lshlrev_b64 v[24:25], 2, v[24:25]
	v_mov_b32_e32 v23, s17
	v_add_co_u32_e64 v24, s[0:1], s16, v24
	v_addc_co_u32_e64 v25, s[0:1], v23, v25, s[0:1]
	global_load_dword v23, v[24:25], off
	s_waitcnt vmcnt(0)
	v_cmp_le_f32_e64 s[0:1], 0, v23
	v_cmp_ge_f32_e64 s[2:3], 1.0, v23
	s_and_b64 s[0:1], s[0:1], s[2:3]
	s_mov_b64 s[2:3], 0
	s_and_saveexec_b64 s[54:55], s[0:1]
	s_cbranch_execz .LBB86_36
; %bb.35:                               ;   in Loop: Header=BB86_3 Depth=1
	v_cvt_f32_u32_e32 v22, v22
	v_mov_b32_e32 v26, 0x2f800000
	v_mov_b32_e32 v24, s41
	s_mov_b64 s[2:3], exec
	v_fmac_f32_e32 v26, 0x2f800000, v22
	v_add_co_u32_e64 v22, s[0:1], s40, v12
	v_addc_co_u32_e64 v24, s[0:1], v13, v24, s[0:1]
	v_cndmask_b32_e32 v25, 0, v24, vcc
	v_cndmask_b32_e32 v24, 0, v22, vcc
	v_lshlrev_b64 v[24:25], 2, v[24:25]
	v_mov_b32_e32 v22, s7
	v_add_co_u32_e32 v24, vcc, s6, v24
	v_addc_co_u32_e32 v25, vcc, v22, v25, vcc
	v_cmp_le_f32_e32 vcc, v26, v23
	v_cndmask_b32_e64 v22, 0, 1.0, vcc
	global_store_dword v[24:25], v22, off
.LBB86_36:                              ;   in Loop: Header=BB86_3 Depth=1
	s_or_b64 exec, exec, s[54:55]
	s_andn2_b64 s[0:1], s[50:51], exec
	s_and_b64 s[2:3], s[2:3], exec
	s_or_b64 s[52:53], s[52:53], exec
	s_andn2_b64 s[48:49], s[48:49], exec
	s_andn2_b64 s[46:47], s[46:47], exec
	;; [unrolled: 1-line block ×3, first 2 shown]
	s_or_b64 s[50:51], s[0:1], s[2:3]
.LBB86_37:                              ;   in Loop: Header=BB86_3 Depth=1
	s_or_b64 exec, exec, s[42:43]
	s_andn2_b64 s[2:3], s[38:39], exec
	s_and_b64 s[38:39], s[52:53], exec
	s_or_b64 s[38:39], s[2:3], s[38:39]
	s_andn2_b64 s[2:3], s[34:35], exec
	s_and_b64 s[34:35], s[48:49], exec
	s_or_b64 s[34:35], s[2:3], s[34:35]
	;; [unrolled: 3-line block ×3, first 2 shown]
	s_andn2_b64 s[2:3], s[28:29], exec
	s_and_b64 s[28:29], s[44:45], exec
	s_mov_b64 s[0:1], -1
	s_or_b64 s[28:29], s[2:3], s[28:29]
	s_and_saveexec_b64 s[2:3], s[50:51]
	s_cbranch_execz .LBB86_2
; %bb.38:                               ;   in Loop: Header=BB86_3 Depth=1
	v_mov_b32_e32 v22, s57
	v_add_co_u32_e32 v0, vcc, s56, v0
	s_add_u32 s40, s40, s59
	v_addc_co_u32_e32 v1, vcc, v1, v22, vcc
	s_addc_u32 s41, s41, s58
	s_add_u32 s36, s36, s61
	v_cmp_le_u64_e32 vcc, s[8:9], v[0:1]
	v_subrev_u32_e32 v3, s56, v3
	s_addc_u32 s37, s37, s60
	s_andn2_b64 s[38:39], s[38:39], exec
	s_andn2_b64 s[34:35], s[34:35], exec
	;; [unrolled: 1-line block ×4, first 2 shown]
	s_orn2_b64 s[0:1], vcc, exec
	s_branch .LBB86_2
.LBB86_39:
	s_or_b64 exec, exec, s[20:21]
	s_xor_b64 s[6:7], s[26:27], -1
	s_xor_b64 s[8:9], s[24:25], -1
	s_xor_b64 s[0:1], s[22:23], -1
	s_mov_b64 s[2:3], 0
	s_and_saveexec_b64 s[4:5], s[0:1]
	s_xor_b64 s[0:1], exec, s[4:5]
	s_cbranch_execnz .LBB86_44
; %bb.40:
	s_andn2_saveexec_b64 s[0:1], s[0:1]
	s_cbranch_execnz .LBB86_52
.LBB86_41:
	s_or_b64 exec, exec, s[0:1]
	s_and_b64 exec, exec, s[2:3]
.LBB86_42:
	; divergent unreachable
.LBB86_43:
	s_endpgm
.LBB86_44:
	s_mov_b64 s[4:5], 0
	s_and_saveexec_b64 s[2:3], s[8:9]
	s_xor_b64 s[2:3], exec, s[2:3]
	s_cbranch_execz .LBB86_50
; %bb.45:
	s_and_saveexec_b64 s[8:9], s[6:7]
	s_xor_b64 s[6:7], exec, s[8:9]
	s_cbranch_execz .LBB86_48
; %bb.46:
	s_and_saveexec_b64 s[8:9], s[18:19]
	s_xor_b64 s[8:9], exec, s[8:9]
	s_cbranch_execnz .LBB86_55
.LBB86_47:
	s_or_b64 exec, exec, s[8:9]
	s_and_b64 s[4:5], s[4:5], exec
.LBB86_48:
	s_andn2_saveexec_b64 s[6:7], s[6:7]
	s_cbranch_execnz .LBB86_54
.LBB86_49:
	s_or_b64 exec, exec, s[6:7]
	s_and_b64 s[4:5], s[4:5], exec
.LBB86_50:
	s_andn2_saveexec_b64 s[2:3], s[2:3]
	s_cbranch_execnz .LBB86_53
.LBB86_51:
	s_or_b64 exec, exec, s[2:3]
	s_and_b64 s[2:3], s[4:5], exec
	s_andn2_saveexec_b64 s[0:1], s[0:1]
	s_cbranch_execz .LBB86_41
.LBB86_52:
	s_or_b64 s[2:3], s[2:3], exec
	s_trap 2
	s_or_b64 exec, exec, s[0:1]
	s_and_b64 exec, exec, s[2:3]
	s_cbranch_execnz .LBB86_42
	s_branch .LBB86_43
.LBB86_53:
	s_or_b64 s[4:5], s[4:5], exec
	s_trap 2
	s_branch .LBB86_51
.LBB86_54:
	s_trap 2
	s_or_b64 s[4:5], s[4:5], exec
	s_branch .LBB86_49
.LBB86_55:
	s_mov_b64 s[4:5], exec
	s_trap 2
	s_branch .LBB86_47
	.section	.rodata,"a",@progbits
	.p2align	6, 0x0
	.amdhsa_kernel _ZN2at4cuda12_GLOBAL__N_121kernelPointwiseApply2IZNS_6native9templates4cuda28bernoulli_tensor_cuda_kernelIffEEvRKNS_10TensorBaseES9_NS_15PhiloxCudaStateEEUliRfSB_SB_SB_RKfSD_SD_SD_E_fSC_mLi1ELi1ELi4ELi512ELi2EEEvNS0_6detail10TensorInfoIT0_T2_EENSG_IT1_SI_EESI_T_
		.amdhsa_group_segment_fixed_size 0
		.amdhsa_private_segment_fixed_size 0
		.amdhsa_kernarg_size 1128
		.amdhsa_user_sgpr_count 6
		.amdhsa_user_sgpr_private_segment_buffer 1
		.amdhsa_user_sgpr_dispatch_ptr 0
		.amdhsa_user_sgpr_queue_ptr 0
		.amdhsa_user_sgpr_kernarg_segment_ptr 1
		.amdhsa_user_sgpr_dispatch_id 0
		.amdhsa_user_sgpr_flat_scratch_init 0
		.amdhsa_user_sgpr_kernarg_preload_length 0
		.amdhsa_user_sgpr_kernarg_preload_offset 0
		.amdhsa_user_sgpr_private_segment_size 0
		.amdhsa_uses_dynamic_stack 0
		.amdhsa_system_sgpr_private_segment_wavefront_offset 0
		.amdhsa_system_sgpr_workgroup_id_x 1
		.amdhsa_system_sgpr_workgroup_id_y 0
		.amdhsa_system_sgpr_workgroup_id_z 0
		.amdhsa_system_sgpr_workgroup_info 0
		.amdhsa_system_vgpr_workitem_id 0
		.amdhsa_next_free_vgpr 58
		.amdhsa_next_free_sgpr 64
		.amdhsa_accum_offset 60
		.amdhsa_reserve_vcc 1
		.amdhsa_reserve_flat_scratch 0
		.amdhsa_float_round_mode_32 0
		.amdhsa_float_round_mode_16_64 0
		.amdhsa_float_denorm_mode_32 3
		.amdhsa_float_denorm_mode_16_64 3
		.amdhsa_dx10_clamp 1
		.amdhsa_ieee_mode 1
		.amdhsa_fp16_overflow 0
		.amdhsa_tg_split 0
		.amdhsa_exception_fp_ieee_invalid_op 0
		.amdhsa_exception_fp_denorm_src 0
		.amdhsa_exception_fp_ieee_div_zero 0
		.amdhsa_exception_fp_ieee_overflow 0
		.amdhsa_exception_fp_ieee_underflow 0
		.amdhsa_exception_fp_ieee_inexact 0
		.amdhsa_exception_int_div_zero 0
	.end_amdhsa_kernel
	.section	.text._ZN2at4cuda12_GLOBAL__N_121kernelPointwiseApply2IZNS_6native9templates4cuda28bernoulli_tensor_cuda_kernelIffEEvRKNS_10TensorBaseES9_NS_15PhiloxCudaStateEEUliRfSB_SB_SB_RKfSD_SD_SD_E_fSC_mLi1ELi1ELi4ELi512ELi2EEEvNS0_6detail10TensorInfoIT0_T2_EENSG_IT1_SI_EESI_T_,"axG",@progbits,_ZN2at4cuda12_GLOBAL__N_121kernelPointwiseApply2IZNS_6native9templates4cuda28bernoulli_tensor_cuda_kernelIffEEvRKNS_10TensorBaseES9_NS_15PhiloxCudaStateEEUliRfSB_SB_SB_RKfSD_SD_SD_E_fSC_mLi1ELi1ELi4ELi512ELi2EEEvNS0_6detail10TensorInfoIT0_T2_EENSG_IT1_SI_EESI_T_,comdat
.Lfunc_end86:
	.size	_ZN2at4cuda12_GLOBAL__N_121kernelPointwiseApply2IZNS_6native9templates4cuda28bernoulli_tensor_cuda_kernelIffEEvRKNS_10TensorBaseES9_NS_15PhiloxCudaStateEEUliRfSB_SB_SB_RKfSD_SD_SD_E_fSC_mLi1ELi1ELi4ELi512ELi2EEEvNS0_6detail10TensorInfoIT0_T2_EENSG_IT1_SI_EESI_T_, .Lfunc_end86-_ZN2at4cuda12_GLOBAL__N_121kernelPointwiseApply2IZNS_6native9templates4cuda28bernoulli_tensor_cuda_kernelIffEEvRKNS_10TensorBaseES9_NS_15PhiloxCudaStateEEUliRfSB_SB_SB_RKfSD_SD_SD_E_fSC_mLi1ELi1ELi4ELi512ELi2EEEvNS0_6detail10TensorInfoIT0_T2_EENSG_IT1_SI_EESI_T_
                                        ; -- End function
	.section	.AMDGPU.csdata,"",@progbits
; Kernel info:
; codeLenInByte = 2944
; NumSgprs: 68
; NumVgprs: 58
; NumAgprs: 0
; TotalNumVgprs: 58
; ScratchSize: 0
; MemoryBound: 0
; FloatMode: 240
; IeeeMode: 1
; LDSByteSize: 0 bytes/workgroup (compile time only)
; SGPRBlocks: 8
; VGPRBlocks: 7
; NumSGPRsForWavesPerEU: 68
; NumVGPRsForWavesPerEU: 58
; AccumOffset: 60
; Occupancy: 8
; WaveLimiterHint : 1
; COMPUTE_PGM_RSRC2:SCRATCH_EN: 0
; COMPUTE_PGM_RSRC2:USER_SGPR: 6
; COMPUTE_PGM_RSRC2:TRAP_HANDLER: 0
; COMPUTE_PGM_RSRC2:TGID_X_EN: 1
; COMPUTE_PGM_RSRC2:TGID_Y_EN: 0
; COMPUTE_PGM_RSRC2:TGID_Z_EN: 0
; COMPUTE_PGM_RSRC2:TIDIG_COMP_CNT: 0
; COMPUTE_PGM_RSRC3_GFX90A:ACCUM_OFFSET: 14
; COMPUTE_PGM_RSRC3_GFX90A:TG_SPLIT: 0
	.section	.text._ZN2at4cuda12_GLOBAL__N_121kernelPointwiseApply2IZNS_6native9templates4cuda28bernoulli_tensor_cuda_kernelIffEEvRKNS_10TensorBaseES9_NS_15PhiloxCudaStateEEUliRfSB_SB_SB_RKfSD_SD_SD_E_fSC_mLin1ELin1ELi4ELi512ELi2EEEvNS0_6detail10TensorInfoIT0_T2_EENSG_IT1_SI_EESI_T_,"axG",@progbits,_ZN2at4cuda12_GLOBAL__N_121kernelPointwiseApply2IZNS_6native9templates4cuda28bernoulli_tensor_cuda_kernelIffEEvRKNS_10TensorBaseES9_NS_15PhiloxCudaStateEEUliRfSB_SB_SB_RKfSD_SD_SD_E_fSC_mLin1ELin1ELi4ELi512ELi2EEEvNS0_6detail10TensorInfoIT0_T2_EENSG_IT1_SI_EESI_T_,comdat
	.globl	_ZN2at4cuda12_GLOBAL__N_121kernelPointwiseApply2IZNS_6native9templates4cuda28bernoulli_tensor_cuda_kernelIffEEvRKNS_10TensorBaseES9_NS_15PhiloxCudaStateEEUliRfSB_SB_SB_RKfSD_SD_SD_E_fSC_mLin1ELin1ELi4ELi512ELi2EEEvNS0_6detail10TensorInfoIT0_T2_EENSG_IT1_SI_EESI_T_ ; -- Begin function _ZN2at4cuda12_GLOBAL__N_121kernelPointwiseApply2IZNS_6native9templates4cuda28bernoulli_tensor_cuda_kernelIffEEvRKNS_10TensorBaseES9_NS_15PhiloxCudaStateEEUliRfSB_SB_SB_RKfSD_SD_SD_E_fSC_mLin1ELin1ELi4ELi512ELi2EEEvNS0_6detail10TensorInfoIT0_T2_EENSG_IT1_SI_EESI_T_
	.p2align	8
	.type	_ZN2at4cuda12_GLOBAL__N_121kernelPointwiseApply2IZNS_6native9templates4cuda28bernoulli_tensor_cuda_kernelIffEEvRKNS_10TensorBaseES9_NS_15PhiloxCudaStateEEUliRfSB_SB_SB_RKfSD_SD_SD_E_fSC_mLin1ELin1ELi4ELi512ELi2EEEvNS0_6detail10TensorInfoIT0_T2_EENSG_IT1_SI_EESI_T_,@function
_ZN2at4cuda12_GLOBAL__N_121kernelPointwiseApply2IZNS_6native9templates4cuda28bernoulli_tensor_cuda_kernelIffEEvRKNS_10TensorBaseES9_NS_15PhiloxCudaStateEEUliRfSB_SB_SB_RKfSD_SD_SD_E_fSC_mLin1ELin1ELi4ELi512ELi2EEEvNS0_6detail10TensorInfoIT0_T2_EENSG_IT1_SI_EESI_T_: ; @_ZN2at4cuda12_GLOBAL__N_121kernelPointwiseApply2IZNS_6native9templates4cuda28bernoulli_tensor_cuda_kernelIffEEvRKNS_10TensorBaseES9_NS_15PhiloxCudaStateEEUliRfSB_SB_SB_RKfSD_SD_SD_E_fSC_mLin1ELin1ELi4ELi512ELi2EEEvNS0_6detail10TensorInfoIT0_T2_EENSG_IT1_SI_EESI_T_
; %bb.0:
	s_load_dword s2, s[4:5], 0x374
	s_load_dwordx8 s[8:15], s[4:5], 0x340
	s_add_u32 s0, s4, 0x368
	s_addc_u32 s1, s5, 0
	v_mov_b32_e32 v2, 0
	s_waitcnt lgkmcnt(0)
	s_and_b32 s2, s2, 0xffff
	s_mul_i32 s6, s6, s2
	v_add_u32_e32 v7, s6, v0
	v_lshlrev_b32_e32 v0, 2, v7
	v_mov_b32_e32 v1, v2
	v_cmp_gt_u64_e32 vcc, s[8:9], v[0:1]
	s_and_saveexec_b64 s[6:7], vcc
	s_cbranch_execz .LBB87_114
; %bb.1:
	s_load_dword s0, s[0:1], 0x0
	s_add_u32 s6, s4, 0x1a0
	s_load_dword s7, s[4:5], 0x198
	s_load_dwordx2 s[20:21], s[4:5], 0x270
	s_addc_u32 s28, s5, 0
	s_waitcnt lgkmcnt(0)
	s_mul_i32 s29, s0, s2
	s_load_dword s2, s[4:5], 0x360
	s_load_dword s34, s[4:5], 0x338
	s_load_dwordx2 s[16:17], s[4:5], 0x1a0
	s_load_dwordx2 s[18:19], s[4:5], 0xd0
	;; [unrolled: 1-line block ×3, first 2 shown]
	s_cmp_gt_i32 s7, 1
	s_cselect_b64 s[0:1], -1, 0
	s_waitcnt lgkmcnt(0)
	s_cmp_gt_i32 s34, 1
	s_mov_b32 s33, 0xcd9e8d57
	s_cselect_b64 s[22:23], -1, 0
	s_bitcmp1_b32 s2, 0
	v_mad_u64_u32 v[4:5], s[2:3], v7, s33, 0
	s_mov_b32 s63, 0
	s_cselect_b64 s[26:27], -1, 0
	s_add_i32 s2, s7, -1
	s_mov_b32 s3, s63
	s_lshl_b32 s62, s29, 2
	s_add_i32 s64, s7, 1
	s_lshl_b64 s[2:3], s[2:3], 3
	s_add_u32 s2, s2, s4
	s_addc_u32 s3, s3, s5
	s_add_u32 s30, s2, 8
	s_addc_u32 s31, s3, 0
	s_add_i32 s2, s34, -1
	s_mov_b32 s3, s63
	s_add_i32 s65, s34, 1
	s_lshl_b64 s[2:3], s[2:3], 3
	s_add_u32 s2, s2, s6
	s_addc_u32 s3, s3, s28
	s_add_u32 s34, s2, 8
	v_mov_b32_e32 v6, v5
	s_addc_u32 s35, s3, 0
	s_mov_b64 s[36:37], 0
	v_cndmask_b32_e64 v5, 0, 1, s[0:1]
	s_mov_b32 s66, 0xd2511f53
	s_mov_b32 s67, 0xf1bbcdc8
                                        ; implicit-def: $sgpr38_sgpr39
                                        ; implicit-def: $sgpr40_sgpr41
                                        ; implicit-def: $sgpr42_sgpr43
                                        ; implicit-def: $sgpr28_sgpr29
                                        ; implicit-def: $sgpr44_sgpr45
                                        ; implicit-def: $sgpr46_sgpr47
                                        ; implicit-def: $sgpr48_sgpr49
                                        ; implicit-def: $sgpr50_sgpr51
	s_branch .LBB87_3
.LBB87_2:                               ;   in Loop: Header=BB87_3 Depth=1
	s_or_b64 exec, exec, s[2:3]
	s_and_b64 s[0:1], exec, s[0:1]
	s_or_b64 s[36:37], s[0:1], s[36:37]
	s_andn2_b64 s[0:1], s[28:29], exec
	s_and_b64 s[2:3], s[50:51], exec
	s_or_b64 s[28:29], s[0:1], s[2:3]
	s_andn2_b64 s[0:1], s[42:43], exec
	s_and_b64 s[2:3], s[48:49], exec
	s_or_b64 s[42:43], s[0:1], s[2:3]
	s_andn2_b64 s[0:1], s[40:41], exec
	s_and_b64 s[2:3], s[46:47], exec
	s_or_b64 s[40:41], s[0:1], s[2:3]
	s_andn2_b64 s[0:1], s[38:39], exec
	s_and_b64 s[2:3], s[44:45], exec
	s_or_b64 s[38:39], s[0:1], s[2:3]
	s_andn2_b64 exec, exec, s[36:37]
	s_cbranch_execz .LBB87_110
.LBB87_3:                               ; =>This Loop Header: Depth=1
                                        ;     Child Loop BB87_5 Depth 2
                                        ;     Child Loop BB87_14 Depth 2
	;; [unrolled: 1-line block ×8, first 2 shown]
	v_sub_u32_e32 v38, s8, v0
	v_cmp_lt_i32_e64 s[4:5], 0, v38
	v_pk_mov_b32 v[8:9], 0, 0
	v_cmp_ne_u32_e64 s[0:1], 1, v5
	s_and_saveexec_b64 s[6:7], s[4:5]
	s_cbranch_execz .LBB87_12
; %bb.4:                                ;   in Loop: Header=BB87_3 Depth=1
	s_and_b64 vcc, exec, s[0:1]
	v_pk_mov_b32 v[8:9], 0, 0
	s_mov_b64 s[52:53], s[30:31]
	s_mov_b32 s58, s64
	v_pk_mov_b32 v[10:11], v[0:1], v[0:1] op_sel:[0,1]
	v_pk_mov_b32 v[12:13], v[0:1], v[0:1] op_sel:[0,1]
	s_cbranch_vccnz .LBB87_11
.LBB87_5:                               ;   Parent Loop BB87_3 Depth=1
                                        ; =>  This Inner Loop Header: Depth=2
	s_load_dwordx2 s[54:55], s[52:53], 0x0
                                        ; implicit-def: $vgpr12_vgpr13
	s_waitcnt lgkmcnt(0)
	v_or_b32_e32 v3, s55, v11
	v_cmp_ne_u64_e32 vcc, 0, v[2:3]
	s_and_saveexec_b64 s[2:3], vcc
	s_xor_b64 s[56:57], exec, s[2:3]
	s_cbranch_execz .LBB87_7
; %bb.6:                                ;   in Loop: Header=BB87_5 Depth=2
	v_cvt_f32_u32_e32 v3, s54
	v_cvt_f32_u32_e32 v12, s55
	s_sub_u32 s2, 0, s54
	s_subb_u32 s3, 0, s55
	v_mac_f32_e32 v3, 0x4f800000, v12
	v_rcp_f32_e32 v3, v3
	v_mul_f32_e32 v3, 0x5f7ffffc, v3
	v_mul_f32_e32 v12, 0x2f800000, v3
	v_trunc_f32_e32 v12, v12
	v_mac_f32_e32 v3, 0xcf800000, v12
	v_cvt_u32_f32_e32 v12, v12
	v_cvt_u32_f32_e32 v3, v3
	v_mul_lo_u32 v13, s2, v12
	v_mul_hi_u32 v15, s2, v3
	v_mul_lo_u32 v14, s3, v3
	v_add_u32_e32 v13, v15, v13
	v_mul_lo_u32 v16, s2, v3
	v_add_u32_e32 v13, v13, v14
	v_mul_hi_u32 v15, v3, v16
	v_mul_lo_u32 v17, v3, v13
	v_mul_hi_u32 v14, v3, v13
	v_add_co_u32_e32 v15, vcc, v15, v17
	v_addc_co_u32_e32 v14, vcc, 0, v14, vcc
	v_mul_hi_u32 v18, v12, v16
	v_mul_lo_u32 v16, v12, v16
	v_add_co_u32_e32 v15, vcc, v15, v16
	v_mul_hi_u32 v17, v12, v13
	v_addc_co_u32_e32 v14, vcc, v14, v18, vcc
	v_addc_co_u32_e32 v15, vcc, 0, v17, vcc
	v_mul_lo_u32 v13, v12, v13
	v_add_co_u32_e32 v13, vcc, v14, v13
	v_addc_co_u32_e32 v14, vcc, 0, v15, vcc
	v_add_co_u32_e32 v3, vcc, v3, v13
	v_addc_co_u32_e32 v12, vcc, v12, v14, vcc
	v_mul_lo_u32 v13, s2, v12
	v_mul_hi_u32 v14, s2, v3
	v_add_u32_e32 v13, v14, v13
	v_mul_lo_u32 v14, s3, v3
	v_add_u32_e32 v13, v13, v14
	v_mul_lo_u32 v15, s2, v3
	v_mul_hi_u32 v16, v12, v15
	v_mul_lo_u32 v17, v12, v15
	v_mul_lo_u32 v19, v3, v13
	v_mul_hi_u32 v15, v3, v15
	v_mul_hi_u32 v18, v3, v13
	v_add_co_u32_e32 v15, vcc, v15, v19
	v_addc_co_u32_e32 v18, vcc, 0, v18, vcc
	v_add_co_u32_e32 v15, vcc, v15, v17
	v_mul_hi_u32 v14, v12, v13
	v_addc_co_u32_e32 v15, vcc, v18, v16, vcc
	v_addc_co_u32_e32 v14, vcc, 0, v14, vcc
	v_mul_lo_u32 v13, v12, v13
	v_add_co_u32_e32 v13, vcc, v15, v13
	v_addc_co_u32_e32 v14, vcc, 0, v14, vcc
	v_add_co_u32_e32 v3, vcc, v3, v13
	v_addc_co_u32_e32 v14, vcc, v12, v14, vcc
	v_mad_u64_u32 v[12:13], s[2:3], v10, v14, 0
	v_mul_hi_u32 v15, v10, v3
	v_add_co_u32_e32 v16, vcc, v15, v12
	v_addc_co_u32_e32 v17, vcc, 0, v13, vcc
	v_mad_u64_u32 v[12:13], s[2:3], v11, v14, 0
	v_mad_u64_u32 v[14:15], s[2:3], v11, v3, 0
	v_add_co_u32_e32 v3, vcc, v16, v14
	v_addc_co_u32_e32 v3, vcc, v17, v15, vcc
	v_addc_co_u32_e32 v13, vcc, 0, v13, vcc
	v_add_co_u32_e32 v3, vcc, v3, v12
	v_addc_co_u32_e32 v14, vcc, 0, v13, vcc
	v_mul_lo_u32 v15, s55, v3
	v_mul_lo_u32 v16, s54, v14
	v_mad_u64_u32 v[12:13], s[2:3], s54, v3, 0
	v_add3_u32 v13, v13, v16, v15
	v_sub_u32_e32 v15, v11, v13
	v_mov_b32_e32 v16, s55
	v_sub_co_u32_e32 v12, vcc, v10, v12
	v_subb_co_u32_e64 v15, s[2:3], v15, v16, vcc
	v_subrev_co_u32_e64 v16, s[2:3], s54, v12
	v_subbrev_co_u32_e64 v15, s[2:3], 0, v15, s[2:3]
	v_cmp_le_u32_e64 s[2:3], s55, v15
	v_cndmask_b32_e64 v17, 0, -1, s[2:3]
	v_cmp_le_u32_e64 s[2:3], s54, v16
	v_cndmask_b32_e64 v16, 0, -1, s[2:3]
	v_cmp_eq_u32_e64 s[2:3], s55, v15
	v_cndmask_b32_e64 v15, v17, v16, s[2:3]
	v_add_co_u32_e64 v16, s[2:3], 2, v3
	v_addc_co_u32_e64 v17, s[2:3], 0, v14, s[2:3]
	v_add_co_u32_e64 v18, s[2:3], 1, v3
	v_addc_co_u32_e64 v19, s[2:3], 0, v14, s[2:3]
	v_subb_co_u32_e32 v13, vcc, v11, v13, vcc
	v_cmp_ne_u32_e64 s[2:3], 0, v15
	v_cmp_le_u32_e32 vcc, s55, v13
	v_cndmask_b32_e64 v15, v19, v17, s[2:3]
	v_cndmask_b32_e64 v17, 0, -1, vcc
	v_cmp_le_u32_e32 vcc, s54, v12
	v_cndmask_b32_e64 v12, 0, -1, vcc
	v_cmp_eq_u32_e32 vcc, s55, v13
	v_cndmask_b32_e32 v12, v17, v12, vcc
	v_cmp_ne_u32_e32 vcc, 0, v12
	v_cndmask_b32_e64 v12, v18, v16, s[2:3]
	v_cndmask_b32_e32 v13, v14, v15, vcc
	v_cndmask_b32_e32 v12, v3, v12, vcc
.LBB87_7:                               ;   in Loop: Header=BB87_5 Depth=2
	s_andn2_saveexec_b64 s[2:3], s[56:57]
	s_cbranch_execz .LBB87_9
; %bb.8:                                ;   in Loop: Header=BB87_5 Depth=2
	v_cvt_f32_u32_e32 v3, s54
	s_sub_i32 s56, 0, s54
	v_rcp_iflag_f32_e32 v3, v3
	v_mul_f32_e32 v3, 0x4f7ffffe, v3
	v_cvt_u32_f32_e32 v3, v3
	v_mul_lo_u32 v12, s56, v3
	v_mul_hi_u32 v12, v3, v12
	v_add_u32_e32 v3, v3, v12
	v_mul_hi_u32 v3, v10, v3
	v_mul_lo_u32 v12, v3, s54
	v_sub_u32_e32 v12, v10, v12
	v_add_u32_e32 v13, 1, v3
	v_subrev_u32_e32 v14, s54, v12
	v_cmp_le_u32_e32 vcc, s54, v12
	v_cndmask_b32_e32 v12, v12, v14, vcc
	v_cndmask_b32_e32 v3, v3, v13, vcc
	v_add_u32_e32 v13, 1, v3
	v_cmp_le_u32_e32 vcc, s54, v12
	v_cndmask_b32_e32 v12, v3, v13, vcc
	v_mov_b32_e32 v13, v2
.LBB87_9:                               ;   in Loop: Header=BB87_5 Depth=2
	s_or_b64 exec, exec, s[2:3]
	v_mad_u64_u32 v[14:15], s[2:3], v12, s54, 0
	s_load_dwordx2 s[2:3], s[52:53], 0xc8
	v_mul_lo_u32 v3, v13, s54
	v_mul_lo_u32 v16, v12, s55
	v_add3_u32 v3, v15, v16, v3
	v_sub_co_u32_e32 v10, vcc, v10, v14
	s_add_i32 s58, s58, -1
	v_subb_co_u32_e32 v3, vcc, v11, v3, vcc
	s_add_u32 s52, s52, -8
	s_waitcnt lgkmcnt(0)
	v_mul_lo_u32 v3, s2, v3
	v_mul_lo_u32 v11, s3, v10
	v_mad_u64_u32 v[8:9], s[2:3], s2, v10, v[8:9]
	s_addc_u32 s53, s53, -1
	s_cmp_gt_u32 s58, 2
	v_add3_u32 v9, v11, v9, v3
	s_cbranch_scc0 .LBB87_11
; %bb.10:                               ;   in Loop: Header=BB87_5 Depth=2
	v_pk_mov_b32 v[10:11], v[12:13], v[12:13] op_sel:[0,1]
	s_branch .LBB87_5
.LBB87_11:                              ;   in Loop: Header=BB87_3 Depth=1
	v_mad_u64_u32 v[8:9], s[2:3], s18, v12, v[8:9]
	v_mul_lo_u32 v3, s18, v13
	v_mul_lo_u32 v10, s19, v12
	v_add3_u32 v9, v10, v9, v3
.LBB87_12:                              ;   in Loop: Header=BB87_3 Depth=1
	s_or_b64 exec, exec, s[6:7]
	v_cndmask_b32_e64 v3, 0, 1, s[22:23]
	v_pk_mov_b32 v[10:11], 0, 0
	v_cmp_ne_u32_e64 s[2:3], 1, v3
	s_and_saveexec_b64 s[6:7], s[4:5]
	s_cbranch_execz .LBB87_21
; %bb.13:                               ;   in Loop: Header=BB87_3 Depth=1
	s_and_b64 vcc, exec, s[2:3]
	v_pk_mov_b32 v[10:11], 0, 0
	s_mov_b64 s[52:53], s[34:35]
	s_mov_b32 s58, s65
	v_pk_mov_b32 v[12:13], v[0:1], v[0:1] op_sel:[0,1]
	v_pk_mov_b32 v[14:15], v[0:1], v[0:1] op_sel:[0,1]
	s_cbranch_vccnz .LBB87_20
.LBB87_14:                              ;   Parent Loop BB87_3 Depth=1
                                        ; =>  This Inner Loop Header: Depth=2
	s_load_dwordx2 s[54:55], s[52:53], 0x0
                                        ; implicit-def: $vgpr14_vgpr15
	s_waitcnt lgkmcnt(0)
	v_or_b32_e32 v3, s55, v13
	v_cmp_ne_u64_e32 vcc, 0, v[2:3]
	s_and_saveexec_b64 s[4:5], vcc
	s_xor_b64 s[56:57], exec, s[4:5]
	s_cbranch_execz .LBB87_16
; %bb.15:                               ;   in Loop: Header=BB87_14 Depth=2
	v_cvt_f32_u32_e32 v3, s54
	v_cvt_f32_u32_e32 v14, s55
	s_sub_u32 s4, 0, s54
	s_subb_u32 s5, 0, s55
	v_mac_f32_e32 v3, 0x4f800000, v14
	v_rcp_f32_e32 v3, v3
	v_mul_f32_e32 v3, 0x5f7ffffc, v3
	v_mul_f32_e32 v14, 0x2f800000, v3
	v_trunc_f32_e32 v14, v14
	v_mac_f32_e32 v3, 0xcf800000, v14
	v_cvt_u32_f32_e32 v14, v14
	v_cvt_u32_f32_e32 v3, v3
	v_mul_lo_u32 v15, s4, v14
	v_mul_hi_u32 v17, s4, v3
	v_mul_lo_u32 v16, s5, v3
	v_add_u32_e32 v15, v17, v15
	v_mul_lo_u32 v18, s4, v3
	v_add_u32_e32 v15, v15, v16
	v_mul_hi_u32 v17, v3, v18
	v_mul_lo_u32 v19, v3, v15
	v_mul_hi_u32 v16, v3, v15
	v_add_co_u32_e32 v17, vcc, v17, v19
	v_addc_co_u32_e32 v16, vcc, 0, v16, vcc
	v_mul_hi_u32 v20, v14, v18
	v_mul_lo_u32 v18, v14, v18
	v_add_co_u32_e32 v17, vcc, v17, v18
	v_mul_hi_u32 v19, v14, v15
	v_addc_co_u32_e32 v16, vcc, v16, v20, vcc
	v_addc_co_u32_e32 v17, vcc, 0, v19, vcc
	v_mul_lo_u32 v15, v14, v15
	v_add_co_u32_e32 v15, vcc, v16, v15
	v_addc_co_u32_e32 v16, vcc, 0, v17, vcc
	v_add_co_u32_e32 v3, vcc, v3, v15
	v_addc_co_u32_e32 v14, vcc, v14, v16, vcc
	v_mul_lo_u32 v15, s4, v14
	v_mul_hi_u32 v16, s4, v3
	v_add_u32_e32 v15, v16, v15
	v_mul_lo_u32 v16, s5, v3
	v_add_u32_e32 v15, v15, v16
	v_mul_lo_u32 v17, s4, v3
	v_mul_hi_u32 v18, v14, v17
	v_mul_lo_u32 v19, v14, v17
	v_mul_lo_u32 v21, v3, v15
	v_mul_hi_u32 v17, v3, v17
	v_mul_hi_u32 v20, v3, v15
	v_add_co_u32_e32 v17, vcc, v17, v21
	v_addc_co_u32_e32 v20, vcc, 0, v20, vcc
	v_add_co_u32_e32 v17, vcc, v17, v19
	v_mul_hi_u32 v16, v14, v15
	v_addc_co_u32_e32 v17, vcc, v20, v18, vcc
	v_addc_co_u32_e32 v16, vcc, 0, v16, vcc
	v_mul_lo_u32 v15, v14, v15
	v_add_co_u32_e32 v15, vcc, v17, v15
	v_addc_co_u32_e32 v16, vcc, 0, v16, vcc
	v_add_co_u32_e32 v3, vcc, v3, v15
	v_addc_co_u32_e32 v16, vcc, v14, v16, vcc
	v_mad_u64_u32 v[14:15], s[4:5], v12, v16, 0
	v_mul_hi_u32 v17, v12, v3
	v_add_co_u32_e32 v18, vcc, v17, v14
	v_addc_co_u32_e32 v19, vcc, 0, v15, vcc
	v_mad_u64_u32 v[14:15], s[4:5], v13, v16, 0
	v_mad_u64_u32 v[16:17], s[4:5], v13, v3, 0
	v_add_co_u32_e32 v3, vcc, v18, v16
	v_addc_co_u32_e32 v3, vcc, v19, v17, vcc
	v_addc_co_u32_e32 v15, vcc, 0, v15, vcc
	v_add_co_u32_e32 v3, vcc, v3, v14
	v_addc_co_u32_e32 v16, vcc, 0, v15, vcc
	v_mul_lo_u32 v17, s55, v3
	v_mul_lo_u32 v18, s54, v16
	v_mad_u64_u32 v[14:15], s[4:5], s54, v3, 0
	v_add3_u32 v15, v15, v18, v17
	v_sub_u32_e32 v17, v13, v15
	v_mov_b32_e32 v18, s55
	v_sub_co_u32_e32 v14, vcc, v12, v14
	v_subb_co_u32_e64 v17, s[4:5], v17, v18, vcc
	v_subrev_co_u32_e64 v18, s[4:5], s54, v14
	v_subbrev_co_u32_e64 v17, s[4:5], 0, v17, s[4:5]
	v_cmp_le_u32_e64 s[4:5], s55, v17
	v_cndmask_b32_e64 v19, 0, -1, s[4:5]
	v_cmp_le_u32_e64 s[4:5], s54, v18
	v_cndmask_b32_e64 v18, 0, -1, s[4:5]
	v_cmp_eq_u32_e64 s[4:5], s55, v17
	v_cndmask_b32_e64 v17, v19, v18, s[4:5]
	v_add_co_u32_e64 v18, s[4:5], 2, v3
	v_addc_co_u32_e64 v19, s[4:5], 0, v16, s[4:5]
	v_add_co_u32_e64 v20, s[4:5], 1, v3
	v_addc_co_u32_e64 v21, s[4:5], 0, v16, s[4:5]
	v_subb_co_u32_e32 v15, vcc, v13, v15, vcc
	v_cmp_ne_u32_e64 s[4:5], 0, v17
	v_cmp_le_u32_e32 vcc, s55, v15
	v_cndmask_b32_e64 v17, v21, v19, s[4:5]
	v_cndmask_b32_e64 v19, 0, -1, vcc
	v_cmp_le_u32_e32 vcc, s54, v14
	v_cndmask_b32_e64 v14, 0, -1, vcc
	v_cmp_eq_u32_e32 vcc, s55, v15
	v_cndmask_b32_e32 v14, v19, v14, vcc
	v_cmp_ne_u32_e32 vcc, 0, v14
	v_cndmask_b32_e64 v14, v20, v18, s[4:5]
	v_cndmask_b32_e32 v15, v16, v17, vcc
	v_cndmask_b32_e32 v14, v3, v14, vcc
.LBB87_16:                              ;   in Loop: Header=BB87_14 Depth=2
	s_andn2_saveexec_b64 s[4:5], s[56:57]
	s_cbranch_execz .LBB87_18
; %bb.17:                               ;   in Loop: Header=BB87_14 Depth=2
	v_cvt_f32_u32_e32 v3, s54
	s_sub_i32 s56, 0, s54
	v_rcp_iflag_f32_e32 v3, v3
	v_mul_f32_e32 v3, 0x4f7ffffe, v3
	v_cvt_u32_f32_e32 v3, v3
	v_mul_lo_u32 v14, s56, v3
	v_mul_hi_u32 v14, v3, v14
	v_add_u32_e32 v3, v3, v14
	v_mul_hi_u32 v3, v12, v3
	v_mul_lo_u32 v14, v3, s54
	v_sub_u32_e32 v14, v12, v14
	v_add_u32_e32 v15, 1, v3
	v_subrev_u32_e32 v16, s54, v14
	v_cmp_le_u32_e32 vcc, s54, v14
	v_cndmask_b32_e32 v14, v14, v16, vcc
	v_cndmask_b32_e32 v3, v3, v15, vcc
	v_add_u32_e32 v15, 1, v3
	v_cmp_le_u32_e32 vcc, s54, v14
	v_cndmask_b32_e32 v14, v3, v15, vcc
	v_mov_b32_e32 v15, v2
.LBB87_18:                              ;   in Loop: Header=BB87_14 Depth=2
	s_or_b64 exec, exec, s[4:5]
	v_mad_u64_u32 v[16:17], s[4:5], v14, s54, 0
	s_load_dwordx2 s[4:5], s[52:53], 0xc8
	v_mul_lo_u32 v3, v15, s54
	v_mul_lo_u32 v18, v14, s55
	v_add3_u32 v3, v17, v18, v3
	v_sub_co_u32_e32 v12, vcc, v12, v16
	s_add_i32 s58, s58, -1
	v_subb_co_u32_e32 v3, vcc, v13, v3, vcc
	s_add_u32 s52, s52, -8
	s_waitcnt lgkmcnt(0)
	v_mul_lo_u32 v3, s4, v3
	v_mul_lo_u32 v13, s5, v12
	v_mad_u64_u32 v[10:11], s[4:5], s4, v12, v[10:11]
	s_addc_u32 s53, s53, -1
	s_cmp_gt_u32 s58, 2
	v_add3_u32 v11, v13, v11, v3
	s_cbranch_scc0 .LBB87_20
; %bb.19:                               ;   in Loop: Header=BB87_14 Depth=2
	v_pk_mov_b32 v[12:13], v[14:15], v[14:15] op_sel:[0,1]
	s_branch .LBB87_14
.LBB87_20:                              ;   in Loop: Header=BB87_3 Depth=1
	v_mad_u64_u32 v[10:11], s[4:5], s20, v14, v[10:11]
	v_mul_lo_u32 v3, s20, v15
	v_mul_lo_u32 v12, s21, v14
	v_add3_u32 v11, v12, v11, v3
.LBB87_21:                              ;   in Loop: Header=BB87_3 Depth=1
	s_or_b64 exec, exec, s[6:7]
	v_or_b32_e32 v16, 1, v0
	v_mov_b32_e32 v17, v1
	v_cmp_lt_i32_e64 s[4:5], 1, v38
	v_pk_mov_b32 v[12:13], 0, 0
	s_and_saveexec_b64 s[52:53], s[4:5]
	s_cbranch_execz .LBB87_30
; %bb.22:                               ;   in Loop: Header=BB87_3 Depth=1
	s_and_b64 vcc, exec, s[0:1]
	v_pk_mov_b32 v[12:13], 0, 0
	s_mov_b64 s[54:55], s[30:31]
	s_mov_b32 s60, s64
	v_pk_mov_b32 v[14:15], v[16:17], v[16:17] op_sel:[0,1]
	v_pk_mov_b32 v[18:19], v[16:17], v[16:17] op_sel:[0,1]
	s_cbranch_vccnz .LBB87_29
.LBB87_23:                              ;   Parent Loop BB87_3 Depth=1
                                        ; =>  This Inner Loop Header: Depth=2
	s_load_dwordx2 s[56:57], s[54:55], 0x0
                                        ; implicit-def: $vgpr18_vgpr19
	s_waitcnt lgkmcnt(0)
	v_or_b32_e32 v3, s57, v15
	v_cmp_ne_u64_e32 vcc, 0, v[2:3]
	s_and_saveexec_b64 s[6:7], vcc
	s_xor_b64 s[58:59], exec, s[6:7]
	s_cbranch_execz .LBB87_25
; %bb.24:                               ;   in Loop: Header=BB87_23 Depth=2
	v_cvt_f32_u32_e32 v3, s56
	v_cvt_f32_u32_e32 v18, s57
	s_sub_u32 s6, 0, s56
	s_subb_u32 s7, 0, s57
	v_mac_f32_e32 v3, 0x4f800000, v18
	v_rcp_f32_e32 v3, v3
	v_mul_f32_e32 v3, 0x5f7ffffc, v3
	v_mul_f32_e32 v18, 0x2f800000, v3
	v_trunc_f32_e32 v18, v18
	v_mac_f32_e32 v3, 0xcf800000, v18
	v_cvt_u32_f32_e32 v18, v18
	v_cvt_u32_f32_e32 v3, v3
	v_mul_lo_u32 v19, s6, v18
	v_mul_hi_u32 v21, s6, v3
	v_mul_lo_u32 v20, s7, v3
	v_add_u32_e32 v19, v21, v19
	v_mul_lo_u32 v22, s6, v3
	v_add_u32_e32 v19, v19, v20
	v_mul_hi_u32 v21, v3, v22
	v_mul_lo_u32 v23, v3, v19
	v_mul_hi_u32 v20, v3, v19
	v_add_co_u32_e32 v21, vcc, v21, v23
	v_addc_co_u32_e32 v20, vcc, 0, v20, vcc
	v_mul_hi_u32 v24, v18, v22
	v_mul_lo_u32 v22, v18, v22
	v_add_co_u32_e32 v21, vcc, v21, v22
	v_mul_hi_u32 v23, v18, v19
	v_addc_co_u32_e32 v20, vcc, v20, v24, vcc
	v_addc_co_u32_e32 v21, vcc, 0, v23, vcc
	v_mul_lo_u32 v19, v18, v19
	v_add_co_u32_e32 v19, vcc, v20, v19
	v_addc_co_u32_e32 v20, vcc, 0, v21, vcc
	v_add_co_u32_e32 v3, vcc, v3, v19
	v_addc_co_u32_e32 v18, vcc, v18, v20, vcc
	v_mul_lo_u32 v19, s6, v18
	v_mul_hi_u32 v20, s6, v3
	v_add_u32_e32 v19, v20, v19
	v_mul_lo_u32 v20, s7, v3
	v_add_u32_e32 v19, v19, v20
	v_mul_lo_u32 v21, s6, v3
	v_mul_hi_u32 v22, v18, v21
	v_mul_lo_u32 v23, v18, v21
	v_mul_lo_u32 v25, v3, v19
	v_mul_hi_u32 v21, v3, v21
	v_mul_hi_u32 v24, v3, v19
	v_add_co_u32_e32 v21, vcc, v21, v25
	v_addc_co_u32_e32 v24, vcc, 0, v24, vcc
	v_add_co_u32_e32 v21, vcc, v21, v23
	v_mul_hi_u32 v20, v18, v19
	v_addc_co_u32_e32 v21, vcc, v24, v22, vcc
	v_addc_co_u32_e32 v20, vcc, 0, v20, vcc
	v_mul_lo_u32 v19, v18, v19
	v_add_co_u32_e32 v19, vcc, v21, v19
	v_addc_co_u32_e32 v20, vcc, 0, v20, vcc
	v_add_co_u32_e32 v3, vcc, v3, v19
	v_addc_co_u32_e32 v20, vcc, v18, v20, vcc
	v_mad_u64_u32 v[18:19], s[6:7], v14, v20, 0
	v_mul_hi_u32 v21, v14, v3
	v_add_co_u32_e32 v22, vcc, v21, v18
	v_addc_co_u32_e32 v23, vcc, 0, v19, vcc
	v_mad_u64_u32 v[18:19], s[6:7], v15, v20, 0
	v_mad_u64_u32 v[20:21], s[6:7], v15, v3, 0
	v_add_co_u32_e32 v3, vcc, v22, v20
	v_addc_co_u32_e32 v3, vcc, v23, v21, vcc
	v_addc_co_u32_e32 v19, vcc, 0, v19, vcc
	v_add_co_u32_e32 v3, vcc, v3, v18
	v_addc_co_u32_e32 v20, vcc, 0, v19, vcc
	v_mul_lo_u32 v21, s57, v3
	v_mul_lo_u32 v22, s56, v20
	v_mad_u64_u32 v[18:19], s[6:7], s56, v3, 0
	v_add3_u32 v19, v19, v22, v21
	v_sub_u32_e32 v21, v15, v19
	v_mov_b32_e32 v22, s57
	v_sub_co_u32_e32 v18, vcc, v14, v18
	v_subb_co_u32_e64 v21, s[6:7], v21, v22, vcc
	v_subrev_co_u32_e64 v22, s[6:7], s56, v18
	v_subbrev_co_u32_e64 v21, s[6:7], 0, v21, s[6:7]
	v_cmp_le_u32_e64 s[6:7], s57, v21
	v_cndmask_b32_e64 v23, 0, -1, s[6:7]
	v_cmp_le_u32_e64 s[6:7], s56, v22
	v_cndmask_b32_e64 v22, 0, -1, s[6:7]
	v_cmp_eq_u32_e64 s[6:7], s57, v21
	v_cndmask_b32_e64 v21, v23, v22, s[6:7]
	v_add_co_u32_e64 v22, s[6:7], 2, v3
	v_addc_co_u32_e64 v23, s[6:7], 0, v20, s[6:7]
	v_add_co_u32_e64 v24, s[6:7], 1, v3
	v_addc_co_u32_e64 v25, s[6:7], 0, v20, s[6:7]
	v_subb_co_u32_e32 v19, vcc, v15, v19, vcc
	v_cmp_ne_u32_e64 s[6:7], 0, v21
	v_cmp_le_u32_e32 vcc, s57, v19
	v_cndmask_b32_e64 v21, v25, v23, s[6:7]
	v_cndmask_b32_e64 v23, 0, -1, vcc
	v_cmp_le_u32_e32 vcc, s56, v18
	v_cndmask_b32_e64 v18, 0, -1, vcc
	v_cmp_eq_u32_e32 vcc, s57, v19
	v_cndmask_b32_e32 v18, v23, v18, vcc
	v_cmp_ne_u32_e32 vcc, 0, v18
	v_cndmask_b32_e64 v18, v24, v22, s[6:7]
	v_cndmask_b32_e32 v19, v20, v21, vcc
	v_cndmask_b32_e32 v18, v3, v18, vcc
.LBB87_25:                              ;   in Loop: Header=BB87_23 Depth=2
	s_andn2_saveexec_b64 s[6:7], s[58:59]
	s_cbranch_execz .LBB87_27
; %bb.26:                               ;   in Loop: Header=BB87_23 Depth=2
	v_cvt_f32_u32_e32 v3, s56
	s_sub_i32 s58, 0, s56
	v_rcp_iflag_f32_e32 v3, v3
	v_mul_f32_e32 v3, 0x4f7ffffe, v3
	v_cvt_u32_f32_e32 v3, v3
	v_mul_lo_u32 v18, s58, v3
	v_mul_hi_u32 v18, v3, v18
	v_add_u32_e32 v3, v3, v18
	v_mul_hi_u32 v3, v14, v3
	v_mul_lo_u32 v18, v3, s56
	v_sub_u32_e32 v18, v14, v18
	v_add_u32_e32 v19, 1, v3
	v_subrev_u32_e32 v20, s56, v18
	v_cmp_le_u32_e32 vcc, s56, v18
	v_cndmask_b32_e32 v18, v18, v20, vcc
	v_cndmask_b32_e32 v3, v3, v19, vcc
	v_add_u32_e32 v19, 1, v3
	v_cmp_le_u32_e32 vcc, s56, v18
	v_cndmask_b32_e32 v18, v3, v19, vcc
	v_mov_b32_e32 v19, v2
.LBB87_27:                              ;   in Loop: Header=BB87_23 Depth=2
	s_or_b64 exec, exec, s[6:7]
	v_mad_u64_u32 v[20:21], s[6:7], v18, s56, 0
	s_load_dwordx2 s[6:7], s[54:55], 0xc8
	v_mul_lo_u32 v3, v19, s56
	v_mul_lo_u32 v22, v18, s57
	v_add3_u32 v3, v21, v22, v3
	v_sub_co_u32_e32 v14, vcc, v14, v20
	s_add_i32 s60, s60, -1
	v_subb_co_u32_e32 v3, vcc, v15, v3, vcc
	s_add_u32 s54, s54, -8
	s_waitcnt lgkmcnt(0)
	v_mul_lo_u32 v3, s6, v3
	v_mul_lo_u32 v15, s7, v14
	v_mad_u64_u32 v[12:13], s[6:7], s6, v14, v[12:13]
	s_addc_u32 s55, s55, -1
	s_cmp_gt_u32 s60, 2
	v_add3_u32 v13, v15, v13, v3
	s_cbranch_scc0 .LBB87_29
; %bb.28:                               ;   in Loop: Header=BB87_23 Depth=2
	v_pk_mov_b32 v[14:15], v[18:19], v[18:19] op_sel:[0,1]
	s_branch .LBB87_23
.LBB87_29:                              ;   in Loop: Header=BB87_3 Depth=1
	v_mad_u64_u32 v[12:13], s[6:7], s18, v18, v[12:13]
	v_mul_lo_u32 v3, s18, v19
	v_mul_lo_u32 v14, s19, v18
	v_add3_u32 v13, v14, v13, v3
.LBB87_30:                              ;   in Loop: Header=BB87_3 Depth=1
	s_or_b64 exec, exec, s[52:53]
	v_pk_mov_b32 v[14:15], 0, 0
	s_and_saveexec_b64 s[6:7], s[4:5]
	s_cbranch_execz .LBB87_33
; %bb.31:                               ;   in Loop: Header=BB87_3 Depth=1
	s_and_b64 vcc, exec, s[2:3]
	v_pk_mov_b32 v[14:15], 0, 0
	s_mov_b64 s[52:53], s[34:35]
	s_mov_b32 s58, s65
	s_cbranch_vccz .LBB87_42
.LBB87_32:                              ;   in Loop: Header=BB87_3 Depth=1
	v_mad_u64_u32 v[14:15], s[4:5], s20, v16, v[14:15]
	v_mul_lo_u32 v3, s20, v17
	v_mul_lo_u32 v16, s21, v16
	v_add3_u32 v15, v16, v15, v3
.LBB87_33:                              ;   in Loop: Header=BB87_3 Depth=1
	s_or_b64 exec, exec, s[6:7]
	v_or_b32_e32 v20, 2, v0
	v_mov_b32_e32 v21, v1
	v_cmp_lt_i32_e64 s[4:5], 2, v38
	v_pk_mov_b32 v[16:17], 0, 0
	s_and_saveexec_b64 s[52:53], s[4:5]
	s_cbranch_execz .LBB87_47
; %bb.34:                               ;   in Loop: Header=BB87_3 Depth=1
	s_and_b64 vcc, exec, s[0:1]
	v_pk_mov_b32 v[16:17], 0, 0
	s_mov_b64 s[54:55], s[30:31]
	s_mov_b32 s60, s64
	v_pk_mov_b32 v[18:19], v[20:21], v[20:21] op_sel:[0,1]
	v_pk_mov_b32 v[22:23], v[20:21], v[20:21] op_sel:[0,1]
	s_cbranch_vccnz .LBB87_46
.LBB87_35:                              ;   Parent Loop BB87_3 Depth=1
                                        ; =>  This Inner Loop Header: Depth=2
	s_load_dwordx2 s[56:57], s[54:55], 0x0
                                        ; implicit-def: $vgpr22_vgpr23
	s_waitcnt lgkmcnt(0)
	v_or_b32_e32 v3, s57, v19
	v_cmp_ne_u64_e32 vcc, 0, v[2:3]
	s_and_saveexec_b64 s[6:7], vcc
	s_xor_b64 s[58:59], exec, s[6:7]
	s_cbranch_execz .LBB87_37
; %bb.36:                               ;   in Loop: Header=BB87_35 Depth=2
	v_cvt_f32_u32_e32 v3, s56
	v_cvt_f32_u32_e32 v22, s57
	s_sub_u32 s6, 0, s56
	s_subb_u32 s7, 0, s57
	v_mac_f32_e32 v3, 0x4f800000, v22
	v_rcp_f32_e32 v3, v3
	v_mul_f32_e32 v3, 0x5f7ffffc, v3
	v_mul_f32_e32 v22, 0x2f800000, v3
	v_trunc_f32_e32 v22, v22
	v_mac_f32_e32 v3, 0xcf800000, v22
	v_cvt_u32_f32_e32 v22, v22
	v_cvt_u32_f32_e32 v3, v3
	v_mul_lo_u32 v23, s6, v22
	v_mul_hi_u32 v25, s6, v3
	v_mul_lo_u32 v24, s7, v3
	v_add_u32_e32 v23, v25, v23
	v_mul_lo_u32 v26, s6, v3
	v_add_u32_e32 v23, v23, v24
	v_mul_hi_u32 v25, v3, v26
	v_mul_lo_u32 v27, v3, v23
	v_mul_hi_u32 v24, v3, v23
	v_add_co_u32_e32 v25, vcc, v25, v27
	v_addc_co_u32_e32 v24, vcc, 0, v24, vcc
	v_mul_hi_u32 v28, v22, v26
	v_mul_lo_u32 v26, v22, v26
	v_add_co_u32_e32 v25, vcc, v25, v26
	v_mul_hi_u32 v27, v22, v23
	v_addc_co_u32_e32 v24, vcc, v24, v28, vcc
	v_addc_co_u32_e32 v25, vcc, 0, v27, vcc
	v_mul_lo_u32 v23, v22, v23
	v_add_co_u32_e32 v23, vcc, v24, v23
	v_addc_co_u32_e32 v24, vcc, 0, v25, vcc
	v_add_co_u32_e32 v3, vcc, v3, v23
	v_addc_co_u32_e32 v22, vcc, v22, v24, vcc
	v_mul_lo_u32 v23, s6, v22
	v_mul_hi_u32 v24, s6, v3
	v_add_u32_e32 v23, v24, v23
	v_mul_lo_u32 v24, s7, v3
	v_add_u32_e32 v23, v23, v24
	v_mul_lo_u32 v25, s6, v3
	v_mul_hi_u32 v26, v22, v25
	v_mul_lo_u32 v27, v22, v25
	v_mul_lo_u32 v29, v3, v23
	v_mul_hi_u32 v25, v3, v25
	v_mul_hi_u32 v28, v3, v23
	v_add_co_u32_e32 v25, vcc, v25, v29
	v_addc_co_u32_e32 v28, vcc, 0, v28, vcc
	v_add_co_u32_e32 v25, vcc, v25, v27
	v_mul_hi_u32 v24, v22, v23
	v_addc_co_u32_e32 v25, vcc, v28, v26, vcc
	v_addc_co_u32_e32 v24, vcc, 0, v24, vcc
	v_mul_lo_u32 v23, v22, v23
	v_add_co_u32_e32 v23, vcc, v25, v23
	v_addc_co_u32_e32 v24, vcc, 0, v24, vcc
	v_add_co_u32_e32 v3, vcc, v3, v23
	v_addc_co_u32_e32 v24, vcc, v22, v24, vcc
	v_mad_u64_u32 v[22:23], s[6:7], v18, v24, 0
	v_mul_hi_u32 v25, v18, v3
	v_add_co_u32_e32 v26, vcc, v25, v22
	v_addc_co_u32_e32 v27, vcc, 0, v23, vcc
	v_mad_u64_u32 v[22:23], s[6:7], v19, v24, 0
	v_mad_u64_u32 v[24:25], s[6:7], v19, v3, 0
	v_add_co_u32_e32 v3, vcc, v26, v24
	v_addc_co_u32_e32 v3, vcc, v27, v25, vcc
	v_addc_co_u32_e32 v23, vcc, 0, v23, vcc
	v_add_co_u32_e32 v3, vcc, v3, v22
	v_addc_co_u32_e32 v24, vcc, 0, v23, vcc
	v_mul_lo_u32 v25, s57, v3
	v_mul_lo_u32 v26, s56, v24
	v_mad_u64_u32 v[22:23], s[6:7], s56, v3, 0
	v_add3_u32 v23, v23, v26, v25
	v_sub_u32_e32 v25, v19, v23
	v_mov_b32_e32 v26, s57
	v_sub_co_u32_e32 v22, vcc, v18, v22
	v_subb_co_u32_e64 v25, s[6:7], v25, v26, vcc
	v_subrev_co_u32_e64 v26, s[6:7], s56, v22
	v_subbrev_co_u32_e64 v25, s[6:7], 0, v25, s[6:7]
	v_cmp_le_u32_e64 s[6:7], s57, v25
	v_cndmask_b32_e64 v27, 0, -1, s[6:7]
	v_cmp_le_u32_e64 s[6:7], s56, v26
	v_cndmask_b32_e64 v26, 0, -1, s[6:7]
	v_cmp_eq_u32_e64 s[6:7], s57, v25
	v_cndmask_b32_e64 v25, v27, v26, s[6:7]
	v_add_co_u32_e64 v26, s[6:7], 2, v3
	v_addc_co_u32_e64 v27, s[6:7], 0, v24, s[6:7]
	v_add_co_u32_e64 v28, s[6:7], 1, v3
	v_addc_co_u32_e64 v29, s[6:7], 0, v24, s[6:7]
	v_subb_co_u32_e32 v23, vcc, v19, v23, vcc
	v_cmp_ne_u32_e64 s[6:7], 0, v25
	v_cmp_le_u32_e32 vcc, s57, v23
	v_cndmask_b32_e64 v25, v29, v27, s[6:7]
	v_cndmask_b32_e64 v27, 0, -1, vcc
	v_cmp_le_u32_e32 vcc, s56, v22
	v_cndmask_b32_e64 v22, 0, -1, vcc
	v_cmp_eq_u32_e32 vcc, s57, v23
	v_cndmask_b32_e32 v22, v27, v22, vcc
	v_cmp_ne_u32_e32 vcc, 0, v22
	v_cndmask_b32_e64 v22, v28, v26, s[6:7]
	v_cndmask_b32_e32 v23, v24, v25, vcc
	v_cndmask_b32_e32 v22, v3, v22, vcc
.LBB87_37:                              ;   in Loop: Header=BB87_35 Depth=2
	s_andn2_saveexec_b64 s[6:7], s[58:59]
	s_cbranch_execz .LBB87_39
; %bb.38:                               ;   in Loop: Header=BB87_35 Depth=2
	v_cvt_f32_u32_e32 v3, s56
	s_sub_i32 s58, 0, s56
	v_rcp_iflag_f32_e32 v3, v3
	v_mul_f32_e32 v3, 0x4f7ffffe, v3
	v_cvt_u32_f32_e32 v3, v3
	v_mul_lo_u32 v22, s58, v3
	v_mul_hi_u32 v22, v3, v22
	v_add_u32_e32 v3, v3, v22
	v_mul_hi_u32 v3, v18, v3
	v_mul_lo_u32 v22, v3, s56
	v_sub_u32_e32 v22, v18, v22
	v_add_u32_e32 v23, 1, v3
	v_subrev_u32_e32 v24, s56, v22
	v_cmp_le_u32_e32 vcc, s56, v22
	v_cndmask_b32_e32 v22, v22, v24, vcc
	v_cndmask_b32_e32 v3, v3, v23, vcc
	v_add_u32_e32 v23, 1, v3
	v_cmp_le_u32_e32 vcc, s56, v22
	v_cndmask_b32_e32 v22, v3, v23, vcc
	v_mov_b32_e32 v23, v2
.LBB87_39:                              ;   in Loop: Header=BB87_35 Depth=2
	s_or_b64 exec, exec, s[6:7]
	v_mad_u64_u32 v[24:25], s[6:7], v22, s56, 0
	s_load_dwordx2 s[6:7], s[54:55], 0xc8
	v_mul_lo_u32 v3, v23, s56
	v_mul_lo_u32 v26, v22, s57
	v_add3_u32 v3, v25, v26, v3
	v_sub_co_u32_e32 v18, vcc, v18, v24
	s_add_i32 s60, s60, -1
	v_subb_co_u32_e32 v3, vcc, v19, v3, vcc
	s_add_u32 s54, s54, -8
	s_waitcnt lgkmcnt(0)
	v_mul_lo_u32 v3, s6, v3
	v_mul_lo_u32 v19, s7, v18
	v_mad_u64_u32 v[16:17], s[6:7], s6, v18, v[16:17]
	s_addc_u32 s55, s55, -1
	s_cmp_gt_u32 s60, 2
	v_add3_u32 v17, v19, v17, v3
	s_cbranch_scc0 .LBB87_46
; %bb.40:                               ;   in Loop: Header=BB87_35 Depth=2
	v_pk_mov_b32 v[18:19], v[22:23], v[22:23] op_sel:[0,1]
	s_branch .LBB87_35
.LBB87_41:                              ;   in Loop: Header=BB87_42 Depth=2
	s_or_b64 exec, exec, s[4:5]
	v_mad_u64_u32 v[20:21], s[4:5], v18, s54, 0
	s_load_dwordx2 s[4:5], s[52:53], 0xc8
	v_mul_lo_u32 v3, v19, s54
	v_mul_lo_u32 v22, v18, s55
	v_add3_u32 v3, v21, v22, v3
	v_sub_co_u32_e32 v16, vcc, v16, v20
	s_add_i32 s58, s58, -1
	v_subb_co_u32_e32 v3, vcc, v17, v3, vcc
	s_add_u32 s52, s52, -8
	s_waitcnt lgkmcnt(0)
	v_mul_lo_u32 v3, s4, v3
	v_mul_lo_u32 v17, s5, v16
	v_mad_u64_u32 v[14:15], s[4:5], s4, v16, v[14:15]
	s_addc_u32 s53, s53, -1
	s_cmp_gt_u32 s58, 2
	v_add3_u32 v15, v17, v15, v3
	v_pk_mov_b32 v[16:17], v[18:19], v[18:19] op_sel:[0,1]
	s_cbranch_scc0 .LBB87_32
.LBB87_42:                              ;   Parent Loop BB87_3 Depth=1
                                        ; =>  This Inner Loop Header: Depth=2
	s_load_dwordx2 s[54:55], s[52:53], 0x0
                                        ; implicit-def: $vgpr18_vgpr19
	s_waitcnt lgkmcnt(0)
	v_or_b32_e32 v3, s55, v17
	v_cmp_ne_u64_e32 vcc, 0, v[2:3]
	s_and_saveexec_b64 s[4:5], vcc
	s_xor_b64 s[56:57], exec, s[4:5]
	s_cbranch_execz .LBB87_44
; %bb.43:                               ;   in Loop: Header=BB87_42 Depth=2
	v_cvt_f32_u32_e32 v3, s54
	v_cvt_f32_u32_e32 v18, s55
	s_sub_u32 s4, 0, s54
	s_subb_u32 s5, 0, s55
	v_mac_f32_e32 v3, 0x4f800000, v18
	v_rcp_f32_e32 v3, v3
	v_mul_f32_e32 v3, 0x5f7ffffc, v3
	v_mul_f32_e32 v18, 0x2f800000, v3
	v_trunc_f32_e32 v18, v18
	v_mac_f32_e32 v3, 0xcf800000, v18
	v_cvt_u32_f32_e32 v18, v18
	v_cvt_u32_f32_e32 v3, v3
	v_mul_lo_u32 v19, s4, v18
	v_mul_hi_u32 v21, s4, v3
	v_mul_lo_u32 v20, s5, v3
	v_add_u32_e32 v19, v21, v19
	v_mul_lo_u32 v22, s4, v3
	v_add_u32_e32 v19, v19, v20
	v_mul_hi_u32 v21, v3, v22
	v_mul_lo_u32 v23, v3, v19
	v_mul_hi_u32 v20, v3, v19
	v_add_co_u32_e32 v21, vcc, v21, v23
	v_addc_co_u32_e32 v20, vcc, 0, v20, vcc
	v_mul_hi_u32 v24, v18, v22
	v_mul_lo_u32 v22, v18, v22
	v_add_co_u32_e32 v21, vcc, v21, v22
	v_mul_hi_u32 v23, v18, v19
	v_addc_co_u32_e32 v20, vcc, v20, v24, vcc
	v_addc_co_u32_e32 v21, vcc, 0, v23, vcc
	v_mul_lo_u32 v19, v18, v19
	v_add_co_u32_e32 v19, vcc, v20, v19
	v_addc_co_u32_e32 v20, vcc, 0, v21, vcc
	v_add_co_u32_e32 v3, vcc, v3, v19
	v_addc_co_u32_e32 v18, vcc, v18, v20, vcc
	v_mul_lo_u32 v19, s4, v18
	v_mul_hi_u32 v20, s4, v3
	v_add_u32_e32 v19, v20, v19
	v_mul_lo_u32 v20, s5, v3
	v_add_u32_e32 v19, v19, v20
	v_mul_lo_u32 v21, s4, v3
	v_mul_hi_u32 v22, v18, v21
	v_mul_lo_u32 v23, v18, v21
	v_mul_lo_u32 v25, v3, v19
	v_mul_hi_u32 v21, v3, v21
	v_mul_hi_u32 v24, v3, v19
	v_add_co_u32_e32 v21, vcc, v21, v25
	v_addc_co_u32_e32 v24, vcc, 0, v24, vcc
	v_add_co_u32_e32 v21, vcc, v21, v23
	v_mul_hi_u32 v20, v18, v19
	v_addc_co_u32_e32 v21, vcc, v24, v22, vcc
	v_addc_co_u32_e32 v20, vcc, 0, v20, vcc
	v_mul_lo_u32 v19, v18, v19
	v_add_co_u32_e32 v19, vcc, v21, v19
	v_addc_co_u32_e32 v20, vcc, 0, v20, vcc
	v_add_co_u32_e32 v3, vcc, v3, v19
	v_addc_co_u32_e32 v20, vcc, v18, v20, vcc
	v_mad_u64_u32 v[18:19], s[4:5], v16, v20, 0
	v_mul_hi_u32 v21, v16, v3
	v_add_co_u32_e32 v22, vcc, v21, v18
	v_addc_co_u32_e32 v23, vcc, 0, v19, vcc
	v_mad_u64_u32 v[18:19], s[4:5], v17, v20, 0
	v_mad_u64_u32 v[20:21], s[4:5], v17, v3, 0
	v_add_co_u32_e32 v3, vcc, v22, v20
	v_addc_co_u32_e32 v3, vcc, v23, v21, vcc
	v_addc_co_u32_e32 v19, vcc, 0, v19, vcc
	v_add_co_u32_e32 v3, vcc, v3, v18
	v_addc_co_u32_e32 v20, vcc, 0, v19, vcc
	v_mul_lo_u32 v21, s55, v3
	v_mul_lo_u32 v22, s54, v20
	v_mad_u64_u32 v[18:19], s[4:5], s54, v3, 0
	v_add3_u32 v19, v19, v22, v21
	v_sub_u32_e32 v21, v17, v19
	v_mov_b32_e32 v22, s55
	v_sub_co_u32_e32 v18, vcc, v16, v18
	v_subb_co_u32_e64 v21, s[4:5], v21, v22, vcc
	v_subrev_co_u32_e64 v22, s[4:5], s54, v18
	v_subbrev_co_u32_e64 v21, s[4:5], 0, v21, s[4:5]
	v_cmp_le_u32_e64 s[4:5], s55, v21
	v_cndmask_b32_e64 v23, 0, -1, s[4:5]
	v_cmp_le_u32_e64 s[4:5], s54, v22
	v_cndmask_b32_e64 v22, 0, -1, s[4:5]
	v_cmp_eq_u32_e64 s[4:5], s55, v21
	v_cndmask_b32_e64 v21, v23, v22, s[4:5]
	v_add_co_u32_e64 v22, s[4:5], 2, v3
	v_addc_co_u32_e64 v23, s[4:5], 0, v20, s[4:5]
	v_add_co_u32_e64 v24, s[4:5], 1, v3
	v_addc_co_u32_e64 v25, s[4:5], 0, v20, s[4:5]
	v_subb_co_u32_e32 v19, vcc, v17, v19, vcc
	v_cmp_ne_u32_e64 s[4:5], 0, v21
	v_cmp_le_u32_e32 vcc, s55, v19
	v_cndmask_b32_e64 v21, v25, v23, s[4:5]
	v_cndmask_b32_e64 v23, 0, -1, vcc
	v_cmp_le_u32_e32 vcc, s54, v18
	v_cndmask_b32_e64 v18, 0, -1, vcc
	v_cmp_eq_u32_e32 vcc, s55, v19
	v_cndmask_b32_e32 v18, v23, v18, vcc
	v_cmp_ne_u32_e32 vcc, 0, v18
	v_cndmask_b32_e64 v18, v24, v22, s[4:5]
	v_cndmask_b32_e32 v19, v20, v21, vcc
	v_cndmask_b32_e32 v18, v3, v18, vcc
.LBB87_44:                              ;   in Loop: Header=BB87_42 Depth=2
	s_andn2_saveexec_b64 s[4:5], s[56:57]
	s_cbranch_execz .LBB87_41
; %bb.45:                               ;   in Loop: Header=BB87_42 Depth=2
	v_cvt_f32_u32_e32 v3, s54
	s_sub_i32 s56, 0, s54
	v_rcp_iflag_f32_e32 v3, v3
	v_mul_f32_e32 v3, 0x4f7ffffe, v3
	v_cvt_u32_f32_e32 v3, v3
	v_mul_lo_u32 v18, s56, v3
	v_mul_hi_u32 v18, v3, v18
	v_add_u32_e32 v3, v3, v18
	v_mul_hi_u32 v3, v16, v3
	v_mul_lo_u32 v18, v3, s54
	v_sub_u32_e32 v18, v16, v18
	v_add_u32_e32 v19, 1, v3
	v_subrev_u32_e32 v20, s54, v18
	v_cmp_le_u32_e32 vcc, s54, v18
	v_cndmask_b32_e32 v18, v18, v20, vcc
	v_cndmask_b32_e32 v3, v3, v19, vcc
	v_add_u32_e32 v19, 1, v3
	v_cmp_le_u32_e32 vcc, s54, v18
	v_cndmask_b32_e32 v18, v3, v19, vcc
	v_mov_b32_e32 v19, v2
	s_branch .LBB87_41
.LBB87_46:                              ;   in Loop: Header=BB87_3 Depth=1
	v_mad_u64_u32 v[16:17], s[6:7], s18, v22, v[16:17]
	v_mul_lo_u32 v3, s18, v23
	v_mul_lo_u32 v18, s19, v22
	v_add3_u32 v17, v18, v17, v3
.LBB87_47:                              ;   in Loop: Header=BB87_3 Depth=1
	s_or_b64 exec, exec, s[52:53]
	v_pk_mov_b32 v[18:19], 0, 0
	s_and_saveexec_b64 s[6:7], s[4:5]
	s_cbranch_execz .LBB87_50
; %bb.48:                               ;   in Loop: Header=BB87_3 Depth=1
	s_and_b64 vcc, exec, s[2:3]
	v_pk_mov_b32 v[18:19], 0, 0
	s_mov_b64 s[52:53], s[34:35]
	s_mov_b32 s58, s65
	s_cbranch_vccz .LBB87_59
.LBB87_49:                              ;   in Loop: Header=BB87_3 Depth=1
	v_mad_u64_u32 v[18:19], s[4:5], s20, v20, v[18:19]
	v_mul_lo_u32 v3, s20, v21
	v_mul_lo_u32 v20, s21, v20
	v_add3_u32 v19, v20, v19, v3
.LBB87_50:                              ;   in Loop: Header=BB87_3 Depth=1
	s_or_b64 exec, exec, s[6:7]
	v_or_b32_e32 v22, 3, v0
	v_mov_b32_e32 v23, v1
	v_cmp_lt_i32_e64 s[4:5], 3, v38
	v_pk_mov_b32 v[20:21], 0, 0
	s_and_saveexec_b64 s[6:7], s[4:5]
	s_cbranch_execz .LBB87_64
; %bb.51:                               ;   in Loop: Header=BB87_3 Depth=1
	s_and_b64 vcc, exec, s[0:1]
	v_pk_mov_b32 v[20:21], 0, 0
	s_mov_b64 s[52:53], s[30:31]
	s_mov_b32 s58, s64
	v_pk_mov_b32 v[24:25], v[22:23], v[22:23] op_sel:[0,1]
	v_pk_mov_b32 v[26:27], v[22:23], v[22:23] op_sel:[0,1]
	s_cbranch_vccnz .LBB87_63
.LBB87_52:                              ;   Parent Loop BB87_3 Depth=1
                                        ; =>  This Inner Loop Header: Depth=2
	s_load_dwordx2 s[54:55], s[52:53], 0x0
                                        ; implicit-def: $vgpr26_vgpr27
	s_waitcnt lgkmcnt(0)
	v_or_b32_e32 v3, s55, v25
	v_cmp_ne_u64_e32 vcc, 0, v[2:3]
	s_and_saveexec_b64 s[0:1], vcc
	s_xor_b64 s[56:57], exec, s[0:1]
	s_cbranch_execz .LBB87_54
; %bb.53:                               ;   in Loop: Header=BB87_52 Depth=2
	v_cvt_f32_u32_e32 v3, s54
	v_cvt_f32_u32_e32 v26, s55
	s_sub_u32 s0, 0, s54
	s_subb_u32 s1, 0, s55
	v_mac_f32_e32 v3, 0x4f800000, v26
	v_rcp_f32_e32 v3, v3
	v_mul_f32_e32 v3, 0x5f7ffffc, v3
	v_mul_f32_e32 v26, 0x2f800000, v3
	v_trunc_f32_e32 v26, v26
	v_mac_f32_e32 v3, 0xcf800000, v26
	v_cvt_u32_f32_e32 v26, v26
	v_cvt_u32_f32_e32 v3, v3
	v_mul_lo_u32 v27, s0, v26
	v_mul_hi_u32 v29, s0, v3
	v_mul_lo_u32 v28, s1, v3
	v_add_u32_e32 v27, v29, v27
	v_mul_lo_u32 v30, s0, v3
	v_add_u32_e32 v27, v27, v28
	v_mul_hi_u32 v29, v3, v30
	v_mul_lo_u32 v31, v3, v27
	v_mul_hi_u32 v28, v3, v27
	v_add_co_u32_e32 v29, vcc, v29, v31
	v_addc_co_u32_e32 v28, vcc, 0, v28, vcc
	v_mul_hi_u32 v32, v26, v30
	v_mul_lo_u32 v30, v26, v30
	v_add_co_u32_e32 v29, vcc, v29, v30
	v_mul_hi_u32 v31, v26, v27
	v_addc_co_u32_e32 v28, vcc, v28, v32, vcc
	v_addc_co_u32_e32 v29, vcc, 0, v31, vcc
	v_mul_lo_u32 v27, v26, v27
	v_add_co_u32_e32 v27, vcc, v28, v27
	v_addc_co_u32_e32 v28, vcc, 0, v29, vcc
	v_add_co_u32_e32 v3, vcc, v3, v27
	v_addc_co_u32_e32 v26, vcc, v26, v28, vcc
	v_mul_lo_u32 v27, s0, v26
	v_mul_hi_u32 v28, s0, v3
	v_add_u32_e32 v27, v28, v27
	v_mul_lo_u32 v28, s1, v3
	v_add_u32_e32 v27, v27, v28
	v_mul_lo_u32 v29, s0, v3
	v_mul_hi_u32 v30, v26, v29
	v_mul_lo_u32 v31, v26, v29
	v_mul_lo_u32 v33, v3, v27
	v_mul_hi_u32 v29, v3, v29
	v_mul_hi_u32 v32, v3, v27
	v_add_co_u32_e32 v29, vcc, v29, v33
	v_addc_co_u32_e32 v32, vcc, 0, v32, vcc
	v_add_co_u32_e32 v29, vcc, v29, v31
	v_mul_hi_u32 v28, v26, v27
	v_addc_co_u32_e32 v29, vcc, v32, v30, vcc
	v_addc_co_u32_e32 v28, vcc, 0, v28, vcc
	v_mul_lo_u32 v27, v26, v27
	v_add_co_u32_e32 v27, vcc, v29, v27
	v_addc_co_u32_e32 v28, vcc, 0, v28, vcc
	v_add_co_u32_e32 v3, vcc, v3, v27
	v_addc_co_u32_e32 v28, vcc, v26, v28, vcc
	v_mad_u64_u32 v[26:27], s[0:1], v24, v28, 0
	v_mul_hi_u32 v29, v24, v3
	v_add_co_u32_e32 v30, vcc, v29, v26
	v_addc_co_u32_e32 v31, vcc, 0, v27, vcc
	v_mad_u64_u32 v[26:27], s[0:1], v25, v28, 0
	v_mad_u64_u32 v[28:29], s[0:1], v25, v3, 0
	v_add_co_u32_e32 v3, vcc, v30, v28
	v_addc_co_u32_e32 v3, vcc, v31, v29, vcc
	v_addc_co_u32_e32 v27, vcc, 0, v27, vcc
	v_add_co_u32_e32 v3, vcc, v3, v26
	v_addc_co_u32_e32 v28, vcc, 0, v27, vcc
	v_mul_lo_u32 v29, s55, v3
	v_mul_lo_u32 v30, s54, v28
	v_mad_u64_u32 v[26:27], s[0:1], s54, v3, 0
	v_add3_u32 v27, v27, v30, v29
	v_sub_u32_e32 v29, v25, v27
	v_mov_b32_e32 v30, s55
	v_sub_co_u32_e32 v26, vcc, v24, v26
	v_subb_co_u32_e64 v29, s[0:1], v29, v30, vcc
	v_subrev_co_u32_e64 v30, s[0:1], s54, v26
	v_subbrev_co_u32_e64 v29, s[0:1], 0, v29, s[0:1]
	v_cmp_le_u32_e64 s[0:1], s55, v29
	v_cndmask_b32_e64 v31, 0, -1, s[0:1]
	v_cmp_le_u32_e64 s[0:1], s54, v30
	v_cndmask_b32_e64 v30, 0, -1, s[0:1]
	v_cmp_eq_u32_e64 s[0:1], s55, v29
	v_cndmask_b32_e64 v29, v31, v30, s[0:1]
	v_add_co_u32_e64 v30, s[0:1], 2, v3
	v_addc_co_u32_e64 v31, s[0:1], 0, v28, s[0:1]
	v_add_co_u32_e64 v32, s[0:1], 1, v3
	v_addc_co_u32_e64 v33, s[0:1], 0, v28, s[0:1]
	v_subb_co_u32_e32 v27, vcc, v25, v27, vcc
	v_cmp_ne_u32_e64 s[0:1], 0, v29
	v_cmp_le_u32_e32 vcc, s55, v27
	v_cndmask_b32_e64 v29, v33, v31, s[0:1]
	v_cndmask_b32_e64 v31, 0, -1, vcc
	v_cmp_le_u32_e32 vcc, s54, v26
	v_cndmask_b32_e64 v26, 0, -1, vcc
	v_cmp_eq_u32_e32 vcc, s55, v27
	v_cndmask_b32_e32 v26, v31, v26, vcc
	v_cmp_ne_u32_e32 vcc, 0, v26
	v_cndmask_b32_e64 v26, v32, v30, s[0:1]
	v_cndmask_b32_e32 v27, v28, v29, vcc
	v_cndmask_b32_e32 v26, v3, v26, vcc
.LBB87_54:                              ;   in Loop: Header=BB87_52 Depth=2
	s_andn2_saveexec_b64 s[0:1], s[56:57]
	s_cbranch_execz .LBB87_56
; %bb.55:                               ;   in Loop: Header=BB87_52 Depth=2
	v_cvt_f32_u32_e32 v3, s54
	s_sub_i32 s56, 0, s54
	v_rcp_iflag_f32_e32 v3, v3
	v_mul_f32_e32 v3, 0x4f7ffffe, v3
	v_cvt_u32_f32_e32 v3, v3
	v_mul_lo_u32 v26, s56, v3
	v_mul_hi_u32 v26, v3, v26
	v_add_u32_e32 v3, v3, v26
	v_mul_hi_u32 v3, v24, v3
	v_mul_lo_u32 v26, v3, s54
	v_sub_u32_e32 v26, v24, v26
	v_add_u32_e32 v27, 1, v3
	v_subrev_u32_e32 v28, s54, v26
	v_cmp_le_u32_e32 vcc, s54, v26
	v_cndmask_b32_e32 v26, v26, v28, vcc
	v_cndmask_b32_e32 v3, v3, v27, vcc
	v_add_u32_e32 v27, 1, v3
	v_cmp_le_u32_e32 vcc, s54, v26
	v_cndmask_b32_e32 v26, v3, v27, vcc
	v_mov_b32_e32 v27, v2
.LBB87_56:                              ;   in Loop: Header=BB87_52 Depth=2
	s_or_b64 exec, exec, s[0:1]
	v_mad_u64_u32 v[28:29], s[0:1], v26, s54, 0
	s_load_dwordx2 s[0:1], s[52:53], 0xc8
	v_mul_lo_u32 v3, v27, s54
	v_mul_lo_u32 v30, v26, s55
	v_add3_u32 v3, v29, v30, v3
	v_sub_co_u32_e32 v24, vcc, v24, v28
	s_add_i32 s58, s58, -1
	v_subb_co_u32_e32 v3, vcc, v25, v3, vcc
	s_add_u32 s52, s52, -8
	s_waitcnt lgkmcnt(0)
	v_mul_lo_u32 v3, s0, v3
	v_mul_lo_u32 v25, s1, v24
	v_mad_u64_u32 v[20:21], s[0:1], s0, v24, v[20:21]
	s_addc_u32 s53, s53, -1
	s_cmp_gt_u32 s58, 2
	v_add3_u32 v21, v25, v21, v3
	s_cbranch_scc0 .LBB87_63
; %bb.57:                               ;   in Loop: Header=BB87_52 Depth=2
	v_pk_mov_b32 v[24:25], v[26:27], v[26:27] op_sel:[0,1]
	s_branch .LBB87_52
.LBB87_58:                              ;   in Loop: Header=BB87_59 Depth=2
	s_or_b64 exec, exec, s[4:5]
	v_mad_u64_u32 v[24:25], s[4:5], v22, s54, 0
	s_load_dwordx2 s[4:5], s[52:53], 0xc8
	v_mul_lo_u32 v3, v23, s54
	v_mul_lo_u32 v26, v22, s55
	v_add3_u32 v3, v25, v26, v3
	v_sub_co_u32_e32 v20, vcc, v20, v24
	s_add_i32 s58, s58, -1
	v_subb_co_u32_e32 v3, vcc, v21, v3, vcc
	s_add_u32 s52, s52, -8
	s_waitcnt lgkmcnt(0)
	v_mul_lo_u32 v3, s4, v3
	v_mul_lo_u32 v21, s5, v20
	v_mad_u64_u32 v[18:19], s[4:5], s4, v20, v[18:19]
	s_addc_u32 s53, s53, -1
	s_cmp_gt_u32 s58, 2
	v_add3_u32 v19, v21, v19, v3
	v_pk_mov_b32 v[20:21], v[22:23], v[22:23] op_sel:[0,1]
	s_cbranch_scc0 .LBB87_49
.LBB87_59:                              ;   Parent Loop BB87_3 Depth=1
                                        ; =>  This Inner Loop Header: Depth=2
	s_load_dwordx2 s[54:55], s[52:53], 0x0
                                        ; implicit-def: $vgpr22_vgpr23
	s_waitcnt lgkmcnt(0)
	v_or_b32_e32 v3, s55, v21
	v_cmp_ne_u64_e32 vcc, 0, v[2:3]
	s_and_saveexec_b64 s[4:5], vcc
	s_xor_b64 s[56:57], exec, s[4:5]
	s_cbranch_execz .LBB87_61
; %bb.60:                               ;   in Loop: Header=BB87_59 Depth=2
	v_cvt_f32_u32_e32 v3, s54
	v_cvt_f32_u32_e32 v22, s55
	s_sub_u32 s4, 0, s54
	s_subb_u32 s5, 0, s55
	v_mac_f32_e32 v3, 0x4f800000, v22
	v_rcp_f32_e32 v3, v3
	v_mul_f32_e32 v3, 0x5f7ffffc, v3
	v_mul_f32_e32 v22, 0x2f800000, v3
	v_trunc_f32_e32 v22, v22
	v_mac_f32_e32 v3, 0xcf800000, v22
	v_cvt_u32_f32_e32 v22, v22
	v_cvt_u32_f32_e32 v3, v3
	v_mul_lo_u32 v23, s4, v22
	v_mul_hi_u32 v25, s4, v3
	v_mul_lo_u32 v24, s5, v3
	v_add_u32_e32 v23, v25, v23
	v_mul_lo_u32 v26, s4, v3
	v_add_u32_e32 v23, v23, v24
	v_mul_hi_u32 v25, v3, v26
	v_mul_lo_u32 v27, v3, v23
	v_mul_hi_u32 v24, v3, v23
	v_add_co_u32_e32 v25, vcc, v25, v27
	v_addc_co_u32_e32 v24, vcc, 0, v24, vcc
	v_mul_hi_u32 v28, v22, v26
	v_mul_lo_u32 v26, v22, v26
	v_add_co_u32_e32 v25, vcc, v25, v26
	v_mul_hi_u32 v27, v22, v23
	v_addc_co_u32_e32 v24, vcc, v24, v28, vcc
	v_addc_co_u32_e32 v25, vcc, 0, v27, vcc
	v_mul_lo_u32 v23, v22, v23
	v_add_co_u32_e32 v23, vcc, v24, v23
	v_addc_co_u32_e32 v24, vcc, 0, v25, vcc
	v_add_co_u32_e32 v3, vcc, v3, v23
	v_addc_co_u32_e32 v22, vcc, v22, v24, vcc
	v_mul_lo_u32 v23, s4, v22
	v_mul_hi_u32 v24, s4, v3
	v_add_u32_e32 v23, v24, v23
	v_mul_lo_u32 v24, s5, v3
	v_add_u32_e32 v23, v23, v24
	v_mul_lo_u32 v25, s4, v3
	v_mul_hi_u32 v26, v22, v25
	v_mul_lo_u32 v27, v22, v25
	v_mul_lo_u32 v29, v3, v23
	v_mul_hi_u32 v25, v3, v25
	v_mul_hi_u32 v28, v3, v23
	v_add_co_u32_e32 v25, vcc, v25, v29
	v_addc_co_u32_e32 v28, vcc, 0, v28, vcc
	v_add_co_u32_e32 v25, vcc, v25, v27
	v_mul_hi_u32 v24, v22, v23
	v_addc_co_u32_e32 v25, vcc, v28, v26, vcc
	v_addc_co_u32_e32 v24, vcc, 0, v24, vcc
	v_mul_lo_u32 v23, v22, v23
	v_add_co_u32_e32 v23, vcc, v25, v23
	v_addc_co_u32_e32 v24, vcc, 0, v24, vcc
	v_add_co_u32_e32 v3, vcc, v3, v23
	v_addc_co_u32_e32 v24, vcc, v22, v24, vcc
	v_mad_u64_u32 v[22:23], s[4:5], v20, v24, 0
	v_mul_hi_u32 v25, v20, v3
	v_add_co_u32_e32 v26, vcc, v25, v22
	v_addc_co_u32_e32 v27, vcc, 0, v23, vcc
	v_mad_u64_u32 v[22:23], s[4:5], v21, v24, 0
	v_mad_u64_u32 v[24:25], s[4:5], v21, v3, 0
	v_add_co_u32_e32 v3, vcc, v26, v24
	v_addc_co_u32_e32 v3, vcc, v27, v25, vcc
	v_addc_co_u32_e32 v23, vcc, 0, v23, vcc
	v_add_co_u32_e32 v3, vcc, v3, v22
	v_addc_co_u32_e32 v24, vcc, 0, v23, vcc
	v_mul_lo_u32 v25, s55, v3
	v_mul_lo_u32 v26, s54, v24
	v_mad_u64_u32 v[22:23], s[4:5], s54, v3, 0
	v_add3_u32 v23, v23, v26, v25
	v_sub_u32_e32 v25, v21, v23
	v_mov_b32_e32 v26, s55
	v_sub_co_u32_e32 v22, vcc, v20, v22
	v_subb_co_u32_e64 v25, s[4:5], v25, v26, vcc
	v_subrev_co_u32_e64 v26, s[4:5], s54, v22
	v_subbrev_co_u32_e64 v25, s[4:5], 0, v25, s[4:5]
	v_cmp_le_u32_e64 s[4:5], s55, v25
	v_cndmask_b32_e64 v27, 0, -1, s[4:5]
	v_cmp_le_u32_e64 s[4:5], s54, v26
	v_cndmask_b32_e64 v26, 0, -1, s[4:5]
	v_cmp_eq_u32_e64 s[4:5], s55, v25
	v_cndmask_b32_e64 v25, v27, v26, s[4:5]
	v_add_co_u32_e64 v26, s[4:5], 2, v3
	v_addc_co_u32_e64 v27, s[4:5], 0, v24, s[4:5]
	v_add_co_u32_e64 v28, s[4:5], 1, v3
	v_addc_co_u32_e64 v29, s[4:5], 0, v24, s[4:5]
	v_subb_co_u32_e32 v23, vcc, v21, v23, vcc
	v_cmp_ne_u32_e64 s[4:5], 0, v25
	v_cmp_le_u32_e32 vcc, s55, v23
	v_cndmask_b32_e64 v25, v29, v27, s[4:5]
	v_cndmask_b32_e64 v27, 0, -1, vcc
	v_cmp_le_u32_e32 vcc, s54, v22
	v_cndmask_b32_e64 v22, 0, -1, vcc
	v_cmp_eq_u32_e32 vcc, s55, v23
	v_cndmask_b32_e32 v22, v27, v22, vcc
	v_cmp_ne_u32_e32 vcc, 0, v22
	v_cndmask_b32_e64 v22, v28, v26, s[4:5]
	v_cndmask_b32_e32 v23, v24, v25, vcc
	v_cndmask_b32_e32 v22, v3, v22, vcc
.LBB87_61:                              ;   in Loop: Header=BB87_59 Depth=2
	s_andn2_saveexec_b64 s[4:5], s[56:57]
	s_cbranch_execz .LBB87_58
; %bb.62:                               ;   in Loop: Header=BB87_59 Depth=2
	v_cvt_f32_u32_e32 v3, s54
	s_sub_i32 s56, 0, s54
	v_rcp_iflag_f32_e32 v3, v3
	v_mul_f32_e32 v3, 0x4f7ffffe, v3
	v_cvt_u32_f32_e32 v3, v3
	v_mul_lo_u32 v22, s56, v3
	v_mul_hi_u32 v22, v3, v22
	v_add_u32_e32 v3, v3, v22
	v_mul_hi_u32 v3, v20, v3
	v_mul_lo_u32 v22, v3, s54
	v_sub_u32_e32 v22, v20, v22
	v_add_u32_e32 v23, 1, v3
	v_subrev_u32_e32 v24, s54, v22
	v_cmp_le_u32_e32 vcc, s54, v22
	v_cndmask_b32_e32 v22, v22, v24, vcc
	v_cndmask_b32_e32 v3, v3, v23, vcc
	v_add_u32_e32 v23, 1, v3
	v_cmp_le_u32_e32 vcc, s54, v22
	v_cndmask_b32_e32 v22, v3, v23, vcc
	v_mov_b32_e32 v23, v2
	s_branch .LBB87_58
.LBB87_63:                              ;   in Loop: Header=BB87_3 Depth=1
	v_mad_u64_u32 v[20:21], s[0:1], s18, v26, v[20:21]
	v_mul_lo_u32 v3, s18, v27
	v_mul_lo_u32 v24, s19, v26
	v_add3_u32 v21, v24, v21, v3
.LBB87_64:                              ;   in Loop: Header=BB87_3 Depth=1
	s_or_b64 exec, exec, s[6:7]
	v_pk_mov_b32 v[24:25], 0, 0
	s_and_saveexec_b64 s[6:7], s[4:5]
	s_cbranch_execz .LBB87_67
; %bb.65:                               ;   in Loop: Header=BB87_3 Depth=1
	s_and_b64 vcc, exec, s[2:3]
	v_pk_mov_b32 v[24:25], 0, 0
	s_mov_b64 s[2:3], s[34:35]
	s_mov_b32 s54, s65
	s_cbranch_vccz .LBB87_97
.LBB87_66:                              ;   in Loop: Header=BB87_3 Depth=1
	v_mad_u64_u32 v[24:25], s[0:1], s20, v22, v[24:25]
	v_mul_lo_u32 v3, s20, v23
	v_mul_lo_u32 v22, s21, v22
	v_add3_u32 v25, v22, v25, v3
.LBB87_67:                              ;   in Loop: Header=BB87_3 Depth=1
	s_or_b64 exec, exec, s[6:7]
	v_lshlrev_b64 v[22:23], 2, v[24:25]
	v_mov_b32_e32 v3, s17
	v_add_co_u32_e32 v22, vcc, s16, v22
	v_addc_co_u32_e32 v23, vcc, v3, v23, vcc
	global_load_dword v39, v[22:23], off
	s_andn2_b64 vcc, exec, s[26:27]
	v_pk_mov_b32 v[22:23], s[12:13], s[12:13] op_sel:[0,1]
	v_pk_mov_b32 v[24:25], s[10:11], s[10:11] op_sel:[0,1]
	s_cbranch_vccnz .LBB87_69
; %bb.68:                               ;   in Loop: Header=BB87_3 Depth=1
	v_pk_mov_b32 v[22:23], s[12:13], s[12:13] op_sel:[0,1]
	flat_load_dwordx2 v[22:23], v[22:23]
	v_pk_mov_b32 v[24:25], s[10:11], s[10:11] op_sel:[0,1]
	flat_load_dwordx2 v[24:25], v[24:25]
	v_mov_b32_e32 v3, s15
	s_waitcnt vmcnt(0) lgkmcnt(0)
	v_add_co_u32_e32 v22, vcc, s14, v22
	v_addc_co_u32_e32 v23, vcc, v23, v3, vcc
.LBB87_69:                              ;   in Loop: Header=BB87_3 Depth=1
	v_alignbit_b32 v3, v23, v22, 2
	v_lshrrev_b32_e32 v34, 2, v23
	v_xor_b32_e32 v26, v6, v24
	v_and_b32_e32 v40, 3, v22
	v_mad_u64_u32 v[22:23], s[0:1], v3, s66, 0
	v_xor_b32_e32 v26, v26, v34
	v_xor_b32_e32 v23, v23, v25
	v_add_u32_e32 v44, 0xbb67ae85, v25
	v_mad_u64_u32 v[26:27], s[0:1], v26, s66, 0
	v_mad_u64_u32 v[28:29], s[0:1], v23, s33, 0
	v_xor_b32_e32 v27, v44, v27
	v_add_u32_e32 v43, 0x9e3779b9, v24
	v_xor_b32_e32 v23, v4, v29
	v_xor_b32_e32 v27, v27, v22
	v_xor_b32_e32 v23, v23, v43
	v_add_u32_e32 v45, 0x3c6ef372, v24
	v_mad_u64_u32 v[30:31], s[0:1], v27, s33, 0
	v_add_u32_e32 v46, 0x76cf5d0a, v25
	v_mad_u64_u32 v[22:23], s[0:1], v23, s66, 0
	v_xor_b32_e32 v27, v45, v31
	v_xor_b32_e32 v27, v27, v28
	v_xor_b32_e32 v23, v46, v23
	v_xor_b32_e32 v23, v23, v26
	v_add_u32_e32 v48, 0x32370b8f, v25
	v_mad_u64_u32 v[26:27], s[0:1], v27, s66, 0
	v_add_u32_e32 v47, 0xdaa66d2b, v24
	v_mad_u64_u32 v[28:29], s[0:1], v23, s33, 0
	v_xor_b32_e32 v27, v48, v27
	;; [unrolled: 8-line block ×5, first 2 shown]
	v_xor_b32_e32 v27, v27, v28
	v_xor_b32_e32 v23, v54, v23
	;; [unrolled: 1-line block ×3, first 2 shown]
	v_add_u32_e32 v56, 0x1fd5c5a3, v25
	v_mad_u64_u32 v[26:27], s[0:1], v27, s66, 0
	v_xor_b32_e32 v27, v56, v27
	v_xor_b32_e32 v22, v27, v22
	v_add_u32_e32 v55, 0x5384540f, v24
	v_mad_u64_u32 v[32:33], s[0:1], v23, s33, 0
	v_add_co_u32_e32 v41, vcc, s67, v24
	v_mad_u64_u32 v[28:29], s[0:1], v22, s33, 0
	v_xor_b32_e32 v23, v55, v33
	v_xor_b32_e32 v22, v41, v29
	;; [unrolled: 1-line block ×4, first 2 shown]
	v_mad_u64_u32 v[30:31], s[0:1], v23, s66, 0
	v_mad_u64_u32 v[22:23], s[0:1], v22, s66, 0
	v_add_co_u32_e32 v3, vcc, 1, v3
	v_xor_b32_e32 v23, v23, v30
	v_cndmask_b32_e64 v30, 0, 1, vcc
	v_addc_co_u32_e32 v36, vcc, 0, v34, vcc
	v_cmp_eq_u32_e32 vcc, 0, v36
	v_cndmask_b32_e32 v30, 0, v30, vcc
	v_add_u32_e32 v34, v30, v7
	v_cmp_eq_u32_e32 vcc, 0, v34
	v_mad_u64_u32 v[32:33], s[0:1], v3, s66, 0
	v_mad_u64_u32 v[34:35], s[0:1], v34, s33, 0
	v_add_u32_e32 v29, 0x8ff34781, v24
	v_cndmask_b32_e32 v30, 0, v30, vcc
	v_xor_b32_e32 v3, v35, v24
	v_xor_b32_e32 v24, v33, v25
	;; [unrolled: 1-line block ×4, first 2 shown]
	v_mad_u64_u32 v[36:37], s[0:1], v30, s33, 0
	v_add_u32_e32 v27, 0xdb3d7428, v25
	v_add_u32_e32 v42, 0x96a522ad, v25
	v_mad_u64_u32 v[24:25], s[0:1], v3, s66, 0
	v_xor_b32_e32 v3, v43, v37
	v_xor_b32_e32 v3, v3, v34
	v_xor_b32_e32 v25, v44, v25
	v_xor_b32_e32 v25, v25, v32
	v_mad_u64_u32 v[32:33], s[0:1], v3, s66, 0
	v_mad_u64_u32 v[34:35], s[0:1], v25, s33, 0
	v_xor_b32_e32 v25, v46, v33
	v_xor_b32_e32 v3, v45, v35
	v_xor_b32_e32 v30, v25, v24
	v_xor_b32_e32 v3, v3, v36
	v_mad_u64_u32 v[36:37], s[0:1], v30, s33, 0
	;; [unrolled: 6-line block ×7, first 2 shown]
	v_xor_b32_e32 v3, v27, v35
	v_xor_b32_e32 v3, v3, v24
	v_mad_u64_u32 v[36:37], s[0:1], v25, s33, 0
	v_mad_u64_u32 v[24:25], s[0:1], v3, s33, 0
	v_xor_b32_e32 v3, v25, v36
	v_xor_b32_e32 v23, v42, v23
	;; [unrolled: 1-line block ×3, first 2 shown]
	v_cmp_lt_i32_e32 vcc, 1, v40
                                        ; implicit-def: $vgpr25
	s_and_saveexec_b64 s[0:1], vcc
	s_xor_b64 s[0:1], exec, s[0:1]
	s_cbranch_execz .LBB87_75
; %bb.70:                               ;   in Loop: Header=BB87_3 Depth=1
	v_cmp_lt_i32_e32 vcc, 2, v40
                                        ; implicit-def: $vgpr25
	s_and_saveexec_b64 s[2:3], vcc
	s_xor_b64 s[2:3], exec, s[2:3]
; %bb.71:                               ;   in Loop: Header=BB87_3 Depth=1
	v_xor_b32_e32 v23, v41, v37
	v_xor_b32_e32 v23, v23, v32
	v_mul_hi_u32 v23, v23, s66
	v_xor_b32_e32 v23, v23, v34
	v_xor_b32_e32 v25, v42, v23
                                        ; implicit-def: $vgpr23
; %bb.72:                               ;   in Loop: Header=BB87_3 Depth=1
	s_andn2_saveexec_b64 s[2:3], s[2:3]
; %bb.73:                               ;   in Loop: Header=BB87_3 Depth=1
	v_mov_b32_e32 v25, v24
	v_mov_b32_e32 v24, v3
	;; [unrolled: 1-line block ×4, first 2 shown]
; %bb.74:                               ;   in Loop: Header=BB87_3 Depth=1
	s_or_b64 exec, exec, s[2:3]
                                        ; implicit-def: $vgpr26_vgpr27
                                        ; implicit-def: $vgpr28_vgpr29
                                        ; implicit-def: $vgpr40
                                        ; implicit-def: $vgpr23
                                        ; implicit-def: $vgpr30_vgpr31
                                        ; implicit-def: $vgpr27
                                        ; implicit-def: $vgpr29
.LBB87_75:                              ;   in Loop: Header=BB87_3 Depth=1
	s_andn2_saveexec_b64 s[0:1], s[0:1]
	s_cbranch_execz .LBB87_79
; %bb.76:                               ;   in Loop: Header=BB87_3 Depth=1
	v_xor_b32_e32 v24, v27, v31
	v_xor_b32_e32 v24, v24, v26
	v_mad_u64_u32 v[26:27], s[2:3], v24, s33, 0
	v_xor_b32_e32 v24, v27, v28
	v_xor_b32_e32 v27, v29, v24
	v_cmp_eq_u32_e32 vcc, 1, v40
	v_mov_b32_e32 v25, v22
	v_mov_b32_e32 v24, v23
	;; [unrolled: 1-line block ×3, first 2 shown]
	s_and_saveexec_b64 s[2:3], vcc
; %bb.77:                               ;   in Loop: Header=BB87_3 Depth=1
	v_mov_b32_e32 v25, v3
	v_mov_b32_e32 v24, v22
	;; [unrolled: 1-line block ×4, first 2 shown]
; %bb.78:                               ;   in Loop: Header=BB87_3 Depth=1
	s_or_b64 exec, exec, s[2:3]
	v_mov_b32_e32 v22, v27
	v_mov_b32_e32 v3, v28
.LBB87_79:                              ;   in Loop: Header=BB87_3 Depth=1
	s_or_b64 exec, exec, s[0:1]
	v_min_i32_e32 v23, 4, v38
	v_cmp_lt_i32_e32 vcc, 2, v23
	s_mov_b64 s[2:3], 0
	s_mov_b64 s[58:59], 0
	;; [unrolled: 1-line block ×3, first 2 shown]
                                        ; implicit-def: $sgpr6_sgpr7
                                        ; implicit-def: $sgpr52_sgpr53
                                        ; implicit-def: $sgpr54_sgpr55
	s_and_saveexec_b64 s[0:1], vcc
	s_xor_b64 s[56:57], exec, s[0:1]
	s_cbranch_execz .LBB87_91
; %bb.80:                               ;   in Loop: Header=BB87_3 Depth=1
	v_cmp_lt_i32_e32 vcc, 3, v23
	s_mov_b64 s[0:1], -1
	s_mov_b64 s[60:61], 0
                                        ; implicit-def: $sgpr4_sgpr5
                                        ; implicit-def: $sgpr6_sgpr7
	s_and_saveexec_b64 s[52:53], vcc
	s_cbranch_execz .LBB87_86
; %bb.81:                               ;   in Loop: Header=BB87_3 Depth=1
	v_cmp_eq_u32_e32 vcc, 4, v23
	s_mov_b64 s[0:1], 0
	s_mov_b64 s[60:61], -1
                                        ; implicit-def: $sgpr4_sgpr5
                                        ; implicit-def: $sgpr6_sgpr7
	s_and_saveexec_b64 s[54:55], vcc
	s_cbranch_execz .LBB87_85
; %bb.82:                               ;   in Loop: Header=BB87_3 Depth=1
	s_waitcnt vmcnt(0)
	v_cmp_le_f32_e32 vcc, 0, v39
	v_cmp_ge_f32_e64 s[0:1], 1.0, v39
	s_and_b64 s[60:61], vcc, s[0:1]
	s_mov_b64 s[4:5], 0
	s_mov_b64 s[0:1], 0
	s_and_saveexec_b64 s[6:7], s[60:61]
	s_cbranch_execz .LBB87_84
; %bb.83:                               ;   in Loop: Header=BB87_3 Depth=1
	v_cvt_f32_u32_e32 v25, v25
	v_mov_b32_e32 v26, 0x2f800000
	v_lshlrev_b64 v[20:21], 2, v[20:21]
	v_add_co_u32_e32 v20, vcc, s24, v20
	v_fmac_f32_e32 v26, 0x2f800000, v25
	v_mov_b32_e32 v25, s25
	v_addc_co_u32_e32 v21, vcc, v25, v21, vcc
	v_cmp_le_f32_e32 vcc, v26, v39
	s_mov_b64 s[0:1], exec
	v_cndmask_b32_e64 v25, 0, 1.0, vcc
	global_store_dword v[20:21], v25, off
.LBB87_84:                              ;   in Loop: Header=BB87_3 Depth=1
	s_or_b64 exec, exec, s[6:7]
	s_mov_b64 s[6:7], -1
	s_xor_b64 s[60:61], exec, -1
	s_and_b64 s[0:1], s[0:1], exec
.LBB87_85:                              ;   in Loop: Header=BB87_3 Depth=1
	s_or_b64 exec, exec, s[54:55]
	s_and_b64 s[60:61], s[60:61], exec
	s_orn2_b64 s[0:1], s[0:1], exec
.LBB87_86:                              ;   in Loop: Header=BB87_3 Depth=1
	s_or_b64 exec, exec, s[52:53]
	s_mov_b64 s[54:55], s[4:5]
	s_and_saveexec_b64 s[52:53], s[0:1]
	s_cbranch_execz .LBB87_90
; %bb.87:                               ;   in Loop: Header=BB87_3 Depth=1
	v_lshlrev_b64 v[18:19], 2, v[18:19]
	v_mov_b32_e32 v20, s17
	v_add_co_u32_e32 v18, vcc, s16, v18
	v_addc_co_u32_e32 v19, vcc, v20, v19, vcc
	global_load_dword v18, v[18:19], off
	s_waitcnt vmcnt(0)
	v_cmp_le_f32_e32 vcc, 0, v18
	v_cmp_ge_f32_e64 s[0:1], 1.0, v18
	s_and_b64 s[54:55], vcc, s[0:1]
	s_mov_b64 s[0:1], 0
	s_and_saveexec_b64 s[58:59], s[54:55]
	s_xor_b64 s[54:55], exec, s[58:59]
	s_cbranch_execz .LBB87_89
; %bb.88:                               ;   in Loop: Header=BB87_3 Depth=1
	v_cvt_f32_u32_e32 v19, v24
	v_mov_b32_e32 v20, 0x2f800000
	v_lshlrev_b64 v[16:17], 2, v[16:17]
	v_add_co_u32_e32 v16, vcc, s24, v16
	v_fmac_f32_e32 v20, 0x2f800000, v19
	v_mov_b32_e32 v19, s25
	v_addc_co_u32_e32 v17, vcc, v19, v17, vcc
	v_cmp_le_f32_e32 vcc, v20, v18
	v_cndmask_b32_e64 v18, 0, 1.0, vcc
	s_mov_b64 s[0:1], exec
	global_store_dword v[16:17], v18, off
.LBB87_89:                              ;   in Loop: Header=BB87_3 Depth=1
	s_or_b64 exec, exec, s[54:55]
	s_andn2_b64 s[54:55], s[4:5], exec
	s_or_b64 s[4:5], s[4:5], exec
	s_andn2_b64 s[6:7], s[6:7], exec
	s_and_b64 s[58:59], s[0:1], exec
.LBB87_90:                              ;   in Loop: Header=BB87_3 Depth=1
	s_or_b64 exec, exec, s[52:53]
	s_and_b64 s[54:55], s[54:55], exec
	s_and_b64 s[52:53], s[4:5], exec
	;; [unrolled: 1-line block ×5, first 2 shown]
.LBB87_91:                              ;   in Loop: Header=BB87_3 Depth=1
	s_andn2_saveexec_b64 s[0:1], s[56:57]
; %bb.92:                               ;   in Loop: Header=BB87_3 Depth=1
	v_cmp_lt_i32_e32 vcc, 1, v23
	s_andn2_b64 s[56:57], s[58:59], exec
	s_and_b64 s[58:59], vcc, exec
	s_mov_b64 s[2:3], exec
	s_andn2_b64 s[54:55], s[54:55], exec
	s_andn2_b64 s[52:53], s[52:53], exec
	;; [unrolled: 1-line block ×3, first 2 shown]
	s_or_b64 s[58:59], s[56:57], s[58:59]
; %bb.93:                               ;   in Loop: Header=BB87_3 Depth=1
	s_or_b64 exec, exec, s[0:1]
	s_mov_b64 s[0:1], 0
	s_mov_b64 s[56:57], s[54:55]
	s_and_saveexec_b64 s[60:61], s[58:59]
	s_cbranch_execnz .LBB87_101
; %bb.94:                               ;   in Loop: Header=BB87_3 Depth=1
	s_or_b64 exec, exec, s[60:61]
	s_and_saveexec_b64 s[58:59], s[2:3]
	s_cbranch_execnz .LBB87_104
.LBB87_95:                              ;   in Loop: Header=BB87_3 Depth=1
	s_or_b64 exec, exec, s[58:59]
	s_and_saveexec_b64 s[2:3], s[0:1]
	s_cbranch_execnz .LBB87_105
	s_branch .LBB87_108
.LBB87_96:                              ;   in Loop: Header=BB87_97 Depth=2
	s_or_b64 exec, exec, s[0:1]
	v_mad_u64_u32 v[28:29], s[0:1], v26, s4, 0
	s_load_dwordx2 s[0:1], s[2:3], 0xc8
	v_mul_lo_u32 v3, v27, s4
	v_mul_lo_u32 v30, v26, s5
	v_add3_u32 v3, v29, v30, v3
	v_sub_co_u32_e32 v22, vcc, v22, v28
	s_add_i32 s54, s54, -1
	v_subb_co_u32_e32 v3, vcc, v23, v3, vcc
	s_add_u32 s2, s2, -8
	s_waitcnt lgkmcnt(0)
	v_mul_lo_u32 v3, s0, v3
	v_mul_lo_u32 v23, s1, v22
	v_mad_u64_u32 v[24:25], s[0:1], s0, v22, v[24:25]
	s_addc_u32 s3, s3, -1
	s_cmp_gt_u32 s54, 2
	v_add3_u32 v25, v23, v25, v3
	v_pk_mov_b32 v[22:23], v[26:27], v[26:27] op_sel:[0,1]
	s_cbranch_scc0 .LBB87_66
.LBB87_97:                              ;   Parent Loop BB87_3 Depth=1
                                        ; =>  This Inner Loop Header: Depth=2
	s_load_dwordx2 s[4:5], s[2:3], 0x0
                                        ; implicit-def: $vgpr26_vgpr27
	s_waitcnt lgkmcnt(0)
	v_or_b32_e32 v3, s5, v23
	v_cmp_ne_u64_e32 vcc, 0, v[2:3]
	s_and_saveexec_b64 s[0:1], vcc
	s_xor_b64 s[52:53], exec, s[0:1]
	s_cbranch_execz .LBB87_99
; %bb.98:                               ;   in Loop: Header=BB87_97 Depth=2
	v_cvt_f32_u32_e32 v3, s4
	v_cvt_f32_u32_e32 v26, s5
	s_sub_u32 s0, 0, s4
	s_subb_u32 s1, 0, s5
	v_mac_f32_e32 v3, 0x4f800000, v26
	v_rcp_f32_e32 v3, v3
	v_mul_f32_e32 v3, 0x5f7ffffc, v3
	v_mul_f32_e32 v26, 0x2f800000, v3
	v_trunc_f32_e32 v26, v26
	v_mac_f32_e32 v3, 0xcf800000, v26
	v_cvt_u32_f32_e32 v26, v26
	v_cvt_u32_f32_e32 v3, v3
	v_mul_lo_u32 v27, s0, v26
	v_mul_hi_u32 v29, s0, v3
	v_mul_lo_u32 v28, s1, v3
	v_add_u32_e32 v27, v29, v27
	v_mul_lo_u32 v30, s0, v3
	v_add_u32_e32 v27, v27, v28
	v_mul_hi_u32 v29, v3, v30
	v_mul_lo_u32 v31, v3, v27
	v_mul_hi_u32 v28, v3, v27
	v_add_co_u32_e32 v29, vcc, v29, v31
	v_addc_co_u32_e32 v28, vcc, 0, v28, vcc
	v_mul_hi_u32 v32, v26, v30
	v_mul_lo_u32 v30, v26, v30
	v_add_co_u32_e32 v29, vcc, v29, v30
	v_mul_hi_u32 v31, v26, v27
	v_addc_co_u32_e32 v28, vcc, v28, v32, vcc
	v_addc_co_u32_e32 v29, vcc, 0, v31, vcc
	v_mul_lo_u32 v27, v26, v27
	v_add_co_u32_e32 v27, vcc, v28, v27
	v_addc_co_u32_e32 v28, vcc, 0, v29, vcc
	v_add_co_u32_e32 v3, vcc, v3, v27
	v_addc_co_u32_e32 v26, vcc, v26, v28, vcc
	v_mul_lo_u32 v27, s0, v26
	v_mul_hi_u32 v28, s0, v3
	v_add_u32_e32 v27, v28, v27
	v_mul_lo_u32 v28, s1, v3
	v_add_u32_e32 v27, v27, v28
	v_mul_lo_u32 v29, s0, v3
	v_mul_hi_u32 v30, v26, v29
	v_mul_lo_u32 v31, v26, v29
	v_mul_lo_u32 v33, v3, v27
	v_mul_hi_u32 v29, v3, v29
	v_mul_hi_u32 v32, v3, v27
	v_add_co_u32_e32 v29, vcc, v29, v33
	v_addc_co_u32_e32 v32, vcc, 0, v32, vcc
	v_add_co_u32_e32 v29, vcc, v29, v31
	v_mul_hi_u32 v28, v26, v27
	v_addc_co_u32_e32 v29, vcc, v32, v30, vcc
	v_addc_co_u32_e32 v28, vcc, 0, v28, vcc
	v_mul_lo_u32 v27, v26, v27
	v_add_co_u32_e32 v27, vcc, v29, v27
	v_addc_co_u32_e32 v28, vcc, 0, v28, vcc
	v_add_co_u32_e32 v3, vcc, v3, v27
	v_addc_co_u32_e32 v28, vcc, v26, v28, vcc
	v_mad_u64_u32 v[26:27], s[0:1], v22, v28, 0
	v_mul_hi_u32 v29, v22, v3
	v_add_co_u32_e32 v30, vcc, v29, v26
	v_addc_co_u32_e32 v31, vcc, 0, v27, vcc
	v_mad_u64_u32 v[26:27], s[0:1], v23, v28, 0
	v_mad_u64_u32 v[28:29], s[0:1], v23, v3, 0
	v_add_co_u32_e32 v3, vcc, v30, v28
	v_addc_co_u32_e32 v3, vcc, v31, v29, vcc
	v_addc_co_u32_e32 v27, vcc, 0, v27, vcc
	v_add_co_u32_e32 v3, vcc, v3, v26
	v_addc_co_u32_e32 v28, vcc, 0, v27, vcc
	v_mul_lo_u32 v29, s5, v3
	v_mul_lo_u32 v30, s4, v28
	v_mad_u64_u32 v[26:27], s[0:1], s4, v3, 0
	v_add3_u32 v27, v27, v30, v29
	v_sub_u32_e32 v29, v23, v27
	v_mov_b32_e32 v30, s5
	v_sub_co_u32_e32 v26, vcc, v22, v26
	v_subb_co_u32_e64 v29, s[0:1], v29, v30, vcc
	v_subrev_co_u32_e64 v30, s[0:1], s4, v26
	v_subbrev_co_u32_e64 v29, s[0:1], 0, v29, s[0:1]
	v_cmp_le_u32_e64 s[0:1], s5, v29
	v_cndmask_b32_e64 v31, 0, -1, s[0:1]
	v_cmp_le_u32_e64 s[0:1], s4, v30
	v_cndmask_b32_e64 v30, 0, -1, s[0:1]
	v_cmp_eq_u32_e64 s[0:1], s5, v29
	v_cndmask_b32_e64 v29, v31, v30, s[0:1]
	v_add_co_u32_e64 v30, s[0:1], 2, v3
	v_addc_co_u32_e64 v31, s[0:1], 0, v28, s[0:1]
	v_add_co_u32_e64 v32, s[0:1], 1, v3
	v_addc_co_u32_e64 v33, s[0:1], 0, v28, s[0:1]
	v_subb_co_u32_e32 v27, vcc, v23, v27, vcc
	v_cmp_ne_u32_e64 s[0:1], 0, v29
	v_cmp_le_u32_e32 vcc, s5, v27
	v_cndmask_b32_e64 v29, v33, v31, s[0:1]
	v_cndmask_b32_e64 v31, 0, -1, vcc
	v_cmp_le_u32_e32 vcc, s4, v26
	v_cndmask_b32_e64 v26, 0, -1, vcc
	v_cmp_eq_u32_e32 vcc, s5, v27
	v_cndmask_b32_e32 v26, v31, v26, vcc
	v_cmp_ne_u32_e32 vcc, 0, v26
	v_cndmask_b32_e64 v26, v32, v30, s[0:1]
	v_cndmask_b32_e32 v27, v28, v29, vcc
	v_cndmask_b32_e32 v26, v3, v26, vcc
.LBB87_99:                              ;   in Loop: Header=BB87_97 Depth=2
	s_andn2_saveexec_b64 s[0:1], s[52:53]
	s_cbranch_execz .LBB87_96
; %bb.100:                              ;   in Loop: Header=BB87_97 Depth=2
	v_cvt_f32_u32_e32 v3, s4
	s_sub_i32 s52, 0, s4
	v_rcp_iflag_f32_e32 v3, v3
	v_mul_f32_e32 v3, 0x4f7ffffe, v3
	v_cvt_u32_f32_e32 v3, v3
	v_mul_lo_u32 v26, s52, v3
	v_mul_hi_u32 v26, v3, v26
	v_add_u32_e32 v3, v3, v26
	v_mul_hi_u32 v3, v22, v3
	v_mul_lo_u32 v26, v3, s4
	v_sub_u32_e32 v26, v22, v26
	v_add_u32_e32 v27, 1, v3
	v_subrev_u32_e32 v28, s4, v26
	v_cmp_le_u32_e32 vcc, s4, v26
	v_cndmask_b32_e32 v26, v26, v28, vcc
	v_cndmask_b32_e32 v3, v3, v27, vcc
	v_add_u32_e32 v27, 1, v3
	v_cmp_le_u32_e32 vcc, s4, v26
	v_cndmask_b32_e32 v26, v3, v27, vcc
	v_mov_b32_e32 v27, v2
	s_branch .LBB87_96
.LBB87_101:                             ;   in Loop: Header=BB87_3 Depth=1
	v_lshlrev_b64 v[14:15], 2, v[14:15]
	v_mov_b32_e32 v16, s17
	v_add_co_u32_e32 v14, vcc, s16, v14
	v_addc_co_u32_e32 v15, vcc, v16, v15, vcc
	global_load_dword v14, v[14:15], off
	s_waitcnt vmcnt(0)
	v_cmp_le_f32_e32 vcc, 0, v14
	v_cmp_ge_f32_e64 s[0:1], 1.0, v14
	s_and_b64 s[56:57], vcc, s[0:1]
	s_mov_b64 s[0:1], 0
	s_and_saveexec_b64 s[58:59], s[56:57]
	s_xor_b64 s[56:57], exec, s[58:59]
	s_cbranch_execz .LBB87_103
; %bb.102:                              ;   in Loop: Header=BB87_3 Depth=1
	v_cvt_f32_u32_e32 v3, v3
	v_mov_b32_e32 v15, 0x2f800000
	v_lshlrev_b64 v[12:13], 2, v[12:13]
	v_add_co_u32_e32 v12, vcc, s24, v12
	v_fmac_f32_e32 v15, 0x2f800000, v3
	v_mov_b32_e32 v3, s25
	v_addc_co_u32_e32 v13, vcc, v3, v13, vcc
	v_cmp_le_f32_e32 vcc, v15, v14
	v_cndmask_b32_e64 v3, 0, 1.0, vcc
	s_mov_b64 s[0:1], exec
	global_store_dword v[12:13], v3, off
.LBB87_103:                             ;   in Loop: Header=BB87_3 Depth=1
	s_or_b64 exec, exec, s[56:57]
	s_andn2_b64 s[56:57], s[54:55], exec
	s_or_b64 s[54:55], s[54:55], exec
	s_andn2_b64 s[52:53], s[52:53], exec
	s_andn2_b64 s[6:7], s[6:7], exec
	s_and_b64 s[0:1], s[0:1], exec
	s_andn2_b64 s[2:3], s[2:3], exec
	s_or_b64 exec, exec, s[60:61]
	s_and_saveexec_b64 s[58:59], s[2:3]
	s_cbranch_execz .LBB87_95
.LBB87_104:                             ;   in Loop: Header=BB87_3 Depth=1
	v_cmp_eq_u32_e32 vcc, 1, v23
	s_andn2_b64 s[0:1], s[0:1], exec
	s_and_b64 s[2:3], vcc, exec
	s_andn2_b64 s[56:57], s[56:57], exec
	s_andn2_b64 s[54:55], s[54:55], exec
	;; [unrolled: 1-line block ×4, first 2 shown]
	s_or_b64 s[4:5], s[4:5], exec
	s_or_b64 s[0:1], s[0:1], s[2:3]
	s_or_b64 exec, exec, s[58:59]
	s_and_saveexec_b64 s[2:3], s[0:1]
	s_cbranch_execz .LBB87_108
.LBB87_105:                             ;   in Loop: Header=BB87_3 Depth=1
	v_lshlrev_b64 v[10:11], 2, v[10:11]
	v_mov_b32_e32 v3, s17
	v_add_co_u32_e32 v10, vcc, s16, v10
	v_addc_co_u32_e32 v11, vcc, v3, v11, vcc
	global_load_dword v3, v[10:11], off
	s_waitcnt vmcnt(0)
	v_cmp_le_f32_e32 vcc, 0, v3
	v_cmp_ge_f32_e64 s[0:1], 1.0, v3
	s_and_b64 s[60:61], vcc, s[0:1]
	s_mov_b64 s[0:1], 0
	s_and_saveexec_b64 s[58:59], s[60:61]
	s_cbranch_execz .LBB87_107
; %bb.106:                              ;   in Loop: Header=BB87_3 Depth=1
	v_cvt_f32_u32_e32 v10, v22
	v_mov_b32_e32 v11, 0x2f800000
	v_lshlrev_b64 v[8:9], 2, v[8:9]
	v_add_co_u32_e32 v8, vcc, s24, v8
	v_fmac_f32_e32 v11, 0x2f800000, v10
	v_mov_b32_e32 v10, s25
	v_addc_co_u32_e32 v9, vcc, v10, v9, vcc
	v_cmp_le_f32_e32 vcc, v11, v3
	s_mov_b64 s[0:1], exec
	v_cndmask_b32_e64 v3, 0, 1.0, vcc
	global_store_dword v[8:9], v3, off
.LBB87_107:                             ;   in Loop: Header=BB87_3 Depth=1
	s_or_b64 exec, exec, s[58:59]
	s_andn2_b64 s[4:5], s[4:5], exec
	s_and_b64 s[0:1], s[0:1], exec
	s_or_b64 s[56:57], s[56:57], exec
	s_andn2_b64 s[54:55], s[54:55], exec
	s_andn2_b64 s[52:53], s[52:53], exec
	;; [unrolled: 1-line block ×3, first 2 shown]
	s_or_b64 s[4:5], s[4:5], s[0:1]
.LBB87_108:                             ;   in Loop: Header=BB87_3 Depth=1
	s_or_b64 exec, exec, s[2:3]
	s_andn2_b64 s[2:3], s[50:51], exec
	s_and_b64 s[50:51], s[56:57], exec
	s_or_b64 s[50:51], s[2:3], s[50:51]
	s_andn2_b64 s[2:3], s[48:49], exec
	s_and_b64 s[48:49], s[54:55], exec
	s_or_b64 s[48:49], s[2:3], s[48:49]
	;; [unrolled: 3-line block ×3, first 2 shown]
	s_andn2_b64 s[2:3], s[44:45], exec
	s_and_b64 s[6:7], s[6:7], exec
	s_mov_b64 s[0:1], -1
	s_or_b64 s[44:45], s[2:3], s[6:7]
	s_and_saveexec_b64 s[2:3], s[4:5]
	s_cbranch_execz .LBB87_2
; %bb.109:                              ;   in Loop: Header=BB87_3 Depth=1
	v_mov_b32_e32 v3, s63
	v_add_co_u32_e32 v0, vcc, s62, v0
	v_addc_co_u32_e32 v1, vcc, v1, v3, vcc
	v_cmp_le_u64_e32 vcc, s[8:9], v[0:1]
	s_andn2_b64 s[50:51], s[50:51], exec
	s_andn2_b64 s[48:49], s[48:49], exec
	;; [unrolled: 1-line block ×4, first 2 shown]
	s_orn2_b64 s[0:1], vcc, exec
	s_branch .LBB87_2
.LBB87_110:
	s_or_b64 exec, exec, s[36:37]
	s_xor_b64 s[6:7], s[42:43], -1
	s_xor_b64 s[8:9], s[40:41], -1
	;; [unrolled: 1-line block ×3, first 2 shown]
	s_mov_b64 s[2:3], 0
	s_and_saveexec_b64 s[4:5], s[0:1]
	s_xor_b64 s[0:1], exec, s[4:5]
	s_cbranch_execnz .LBB87_115
; %bb.111:
	s_andn2_saveexec_b64 s[0:1], s[0:1]
	s_cbranch_execnz .LBB87_123
.LBB87_112:
	s_or_b64 exec, exec, s[0:1]
	s_and_b64 exec, exec, s[2:3]
.LBB87_113:
	; divergent unreachable
.LBB87_114:
	s_endpgm
.LBB87_115:
	s_mov_b64 s[4:5], 0
	s_and_saveexec_b64 s[2:3], s[8:9]
	s_xor_b64 s[2:3], exec, s[2:3]
	s_cbranch_execz .LBB87_121
; %bb.116:
	s_and_saveexec_b64 s[8:9], s[6:7]
	s_xor_b64 s[6:7], exec, s[8:9]
	s_cbranch_execz .LBB87_119
; %bb.117:
	s_and_saveexec_b64 s[8:9], s[28:29]
	s_xor_b64 s[8:9], exec, s[8:9]
	s_cbranch_execnz .LBB87_126
.LBB87_118:
	s_or_b64 exec, exec, s[8:9]
	s_and_b64 s[4:5], s[4:5], exec
.LBB87_119:
	s_andn2_saveexec_b64 s[6:7], s[6:7]
	s_cbranch_execnz .LBB87_125
.LBB87_120:
	s_or_b64 exec, exec, s[6:7]
	s_and_b64 s[4:5], s[4:5], exec
.LBB87_121:
	s_andn2_saveexec_b64 s[2:3], s[2:3]
	s_cbranch_execnz .LBB87_124
.LBB87_122:
	s_or_b64 exec, exec, s[2:3]
	s_and_b64 s[2:3], s[4:5], exec
	s_andn2_saveexec_b64 s[0:1], s[0:1]
	s_cbranch_execz .LBB87_112
.LBB87_123:
	s_or_b64 s[2:3], s[2:3], exec
	s_trap 2
	s_or_b64 exec, exec, s[0:1]
	s_and_b64 exec, exec, s[2:3]
	s_cbranch_execnz .LBB87_113
	s_branch .LBB87_114
.LBB87_124:
	s_or_b64 s[4:5], s[4:5], exec
	s_trap 2
	s_branch .LBB87_122
.LBB87_125:
	s_trap 2
	s_or_b64 s[4:5], s[4:5], exec
	s_branch .LBB87_120
.LBB87_126:
	s_mov_b64 s[4:5], exec
	s_trap 2
	s_branch .LBB87_118
	.section	.rodata,"a",@progbits
	.p2align	6, 0x0
	.amdhsa_kernel _ZN2at4cuda12_GLOBAL__N_121kernelPointwiseApply2IZNS_6native9templates4cuda28bernoulli_tensor_cuda_kernelIffEEvRKNS_10TensorBaseES9_NS_15PhiloxCudaStateEEUliRfSB_SB_SB_RKfSD_SD_SD_E_fSC_mLin1ELin1ELi4ELi512ELi2EEEvNS0_6detail10TensorInfoIT0_T2_EENSG_IT1_SI_EESI_T_
		.amdhsa_group_segment_fixed_size 0
		.amdhsa_private_segment_fixed_size 0
		.amdhsa_kernarg_size 1128
		.amdhsa_user_sgpr_count 6
		.amdhsa_user_sgpr_private_segment_buffer 1
		.amdhsa_user_sgpr_dispatch_ptr 0
		.amdhsa_user_sgpr_queue_ptr 0
		.amdhsa_user_sgpr_kernarg_segment_ptr 1
		.amdhsa_user_sgpr_dispatch_id 0
		.amdhsa_user_sgpr_flat_scratch_init 0
		.amdhsa_user_sgpr_kernarg_preload_length 0
		.amdhsa_user_sgpr_kernarg_preload_offset 0
		.amdhsa_user_sgpr_private_segment_size 0
		.amdhsa_uses_dynamic_stack 0
		.amdhsa_system_sgpr_private_segment_wavefront_offset 0
		.amdhsa_system_sgpr_workgroup_id_x 1
		.amdhsa_system_sgpr_workgroup_id_y 0
		.amdhsa_system_sgpr_workgroup_id_z 0
		.amdhsa_system_sgpr_workgroup_info 0
		.amdhsa_system_vgpr_workitem_id 0
		.amdhsa_next_free_vgpr 57
		.amdhsa_next_free_sgpr 68
		.amdhsa_accum_offset 60
		.amdhsa_reserve_vcc 1
		.amdhsa_reserve_flat_scratch 0
		.amdhsa_float_round_mode_32 0
		.amdhsa_float_round_mode_16_64 0
		.amdhsa_float_denorm_mode_32 3
		.amdhsa_float_denorm_mode_16_64 3
		.amdhsa_dx10_clamp 1
		.amdhsa_ieee_mode 1
		.amdhsa_fp16_overflow 0
		.amdhsa_tg_split 0
		.amdhsa_exception_fp_ieee_invalid_op 0
		.amdhsa_exception_fp_denorm_src 0
		.amdhsa_exception_fp_ieee_div_zero 0
		.amdhsa_exception_fp_ieee_overflow 0
		.amdhsa_exception_fp_ieee_underflow 0
		.amdhsa_exception_fp_ieee_inexact 0
		.amdhsa_exception_int_div_zero 0
	.end_amdhsa_kernel
	.section	.text._ZN2at4cuda12_GLOBAL__N_121kernelPointwiseApply2IZNS_6native9templates4cuda28bernoulli_tensor_cuda_kernelIffEEvRKNS_10TensorBaseES9_NS_15PhiloxCudaStateEEUliRfSB_SB_SB_RKfSD_SD_SD_E_fSC_mLin1ELin1ELi4ELi512ELi2EEEvNS0_6detail10TensorInfoIT0_T2_EENSG_IT1_SI_EESI_T_,"axG",@progbits,_ZN2at4cuda12_GLOBAL__N_121kernelPointwiseApply2IZNS_6native9templates4cuda28bernoulli_tensor_cuda_kernelIffEEvRKNS_10TensorBaseES9_NS_15PhiloxCudaStateEEUliRfSB_SB_SB_RKfSD_SD_SD_E_fSC_mLin1ELin1ELi4ELi512ELi2EEEvNS0_6detail10TensorInfoIT0_T2_EENSG_IT1_SI_EESI_T_,comdat
.Lfunc_end87:
	.size	_ZN2at4cuda12_GLOBAL__N_121kernelPointwiseApply2IZNS_6native9templates4cuda28bernoulli_tensor_cuda_kernelIffEEvRKNS_10TensorBaseES9_NS_15PhiloxCudaStateEEUliRfSB_SB_SB_RKfSD_SD_SD_E_fSC_mLin1ELin1ELi4ELi512ELi2EEEvNS0_6detail10TensorInfoIT0_T2_EENSG_IT1_SI_EESI_T_, .Lfunc_end87-_ZN2at4cuda12_GLOBAL__N_121kernelPointwiseApply2IZNS_6native9templates4cuda28bernoulli_tensor_cuda_kernelIffEEvRKNS_10TensorBaseES9_NS_15PhiloxCudaStateEEUliRfSB_SB_SB_RKfSD_SD_SD_E_fSC_mLin1ELin1ELi4ELi512ELi2EEEvNS0_6detail10TensorInfoIT0_T2_EENSG_IT1_SI_EESI_T_
                                        ; -- End function
	.section	.AMDGPU.csdata,"",@progbits
; Kernel info:
; codeLenInByte = 10272
; NumSgprs: 72
; NumVgprs: 57
; NumAgprs: 0
; TotalNumVgprs: 57
; ScratchSize: 0
; MemoryBound: 0
; FloatMode: 240
; IeeeMode: 1
; LDSByteSize: 0 bytes/workgroup (compile time only)
; SGPRBlocks: 8
; VGPRBlocks: 7
; NumSGPRsForWavesPerEU: 72
; NumVGPRsForWavesPerEU: 57
; AccumOffset: 60
; Occupancy: 8
; WaveLimiterHint : 1
; COMPUTE_PGM_RSRC2:SCRATCH_EN: 0
; COMPUTE_PGM_RSRC2:USER_SGPR: 6
; COMPUTE_PGM_RSRC2:TRAP_HANDLER: 0
; COMPUTE_PGM_RSRC2:TGID_X_EN: 1
; COMPUTE_PGM_RSRC2:TGID_Y_EN: 0
; COMPUTE_PGM_RSRC2:TGID_Z_EN: 0
; COMPUTE_PGM_RSRC2:TIDIG_COMP_CNT: 0
; COMPUTE_PGM_RSRC3_GFX90A:ACCUM_OFFSET: 14
; COMPUTE_PGM_RSRC3_GFX90A:TG_SPLIT: 0
	.section	.text._ZN2at4cuda12_GLOBAL__N_121kernelPointwiseApply2IZNS_6native9templates4cuda28bernoulli_tensor_cuda_kernelIN3c104HalfEfEEvRKNS_10TensorBaseESB_NS_15PhiloxCudaStateEEUliRS8_SD_SD_SD_RKfSF_SF_SF_E_S8_SE_jLi1ELi1ELi4ELi512ELi2EEEvNS0_6detail10TensorInfoIT0_T2_EENSI_IT1_SK_EESK_T_,"axG",@progbits,_ZN2at4cuda12_GLOBAL__N_121kernelPointwiseApply2IZNS_6native9templates4cuda28bernoulli_tensor_cuda_kernelIN3c104HalfEfEEvRKNS_10TensorBaseESB_NS_15PhiloxCudaStateEEUliRS8_SD_SD_SD_RKfSF_SF_SF_E_S8_SE_jLi1ELi1ELi4ELi512ELi2EEEvNS0_6detail10TensorInfoIT0_T2_EENSI_IT1_SK_EESK_T_,comdat
	.globl	_ZN2at4cuda12_GLOBAL__N_121kernelPointwiseApply2IZNS_6native9templates4cuda28bernoulli_tensor_cuda_kernelIN3c104HalfEfEEvRKNS_10TensorBaseESB_NS_15PhiloxCudaStateEEUliRS8_SD_SD_SD_RKfSF_SF_SF_E_S8_SE_jLi1ELi1ELi4ELi512ELi2EEEvNS0_6detail10TensorInfoIT0_T2_EENSI_IT1_SK_EESK_T_ ; -- Begin function _ZN2at4cuda12_GLOBAL__N_121kernelPointwiseApply2IZNS_6native9templates4cuda28bernoulli_tensor_cuda_kernelIN3c104HalfEfEEvRKNS_10TensorBaseESB_NS_15PhiloxCudaStateEEUliRS8_SD_SD_SD_RKfSF_SF_SF_E_S8_SE_jLi1ELi1ELi4ELi512ELi2EEEvNS0_6detail10TensorInfoIT0_T2_EENSI_IT1_SK_EESK_T_
	.p2align	8
	.type	_ZN2at4cuda12_GLOBAL__N_121kernelPointwiseApply2IZNS_6native9templates4cuda28bernoulli_tensor_cuda_kernelIN3c104HalfEfEEvRKNS_10TensorBaseESB_NS_15PhiloxCudaStateEEUliRS8_SD_SD_SD_RKfSF_SF_SF_E_S8_SE_jLi1ELi1ELi4ELi512ELi2EEEvNS0_6detail10TensorInfoIT0_T2_EENSI_IT1_SK_EESK_T_,@function
_ZN2at4cuda12_GLOBAL__N_121kernelPointwiseApply2IZNS_6native9templates4cuda28bernoulli_tensor_cuda_kernelIN3c104HalfEfEEvRKNS_10TensorBaseESB_NS_15PhiloxCudaStateEEUliRS8_SD_SD_SD_RKfSF_SF_SF_E_S8_SE_jLi1ELi1ELi4ELi512ELi2EEEvNS0_6detail10TensorInfoIT0_T2_EENSI_IT1_SK_EESK_T_: ; @_ZN2at4cuda12_GLOBAL__N_121kernelPointwiseApply2IZNS_6native9templates4cuda28bernoulli_tensor_cuda_kernelIN3c104HalfEfEEvRKNS_10TensorBaseESB_NS_15PhiloxCudaStateEEUliRS8_SD_SD_SD_RKfSF_SF_SF_E_S8_SE_jLi1ELi1ELi4ELi512ELi2EEEvNS0_6detail10TensorInfoIT0_T2_EENSI_IT1_SK_EESK_T_
; %bb.0:
	s_load_dword s2, s[4:5], 0x1e4
	s_load_dword s33, s[4:5], 0x1b0
	s_add_u32 s0, s4, 0x1d8
	s_addc_u32 s1, s5, 0
	s_waitcnt lgkmcnt(0)
	s_and_b32 s2, s2, 0xffff
	s_mul_i32 s6, s6, s2
	v_add_u32_e32 v5, s6, v0
	v_lshlrev_b32_e32 v22, 2, v5
	v_cmp_gt_u32_e32 vcc, s33, v22
	s_and_saveexec_b64 s[6:7], vcc
	s_cbranch_execz .LBB88_43
; %bb.1:
	s_load_dword s3, s[0:1], 0x0
	s_load_dword s6, s[4:5], 0x1d0
	s_load_dwordx2 s[16:17], s[4:5], 0x0
	s_load_dword s7, s[4:5], 0x6c
	s_load_dwordx2 s[18:19], s[4:5], 0xd8
	;; [unrolled: 2-line block ×3, first 2 shown]
	s_load_dwordx4 s[12:15], s[4:5], 0x1b8
	s_mov_b32 s54, 0xcd9e8d57
	s_waitcnt lgkmcnt(0)
	v_mul_lo_u32 v2, s7, v22
	s_bitcmp1_b32 s6, 0
	v_mad_u64_u32 v[0:1], s[0:1], v5, s54, 0
	v_add_u32_e32 v23, s7, v2
	v_add_u32_e32 v2, 2, v22
	s_mul_i32 s2, s3, s2
	s_cselect_b64 s[0:1], -1, 0
	v_mul_lo_u32 v24, s7, v2
	v_mul_lo_u32 v7, s7, v5
	;; [unrolled: 1-line block ×4, first 2 shown]
	s_lshl_b32 s56, s2, 2
	s_mul_i32 s3, s2, s7
	v_add_u32_e32 v6, 3, v22
	v_lshlrev_b32_e32 v26, 2, v7
	v_mul_lo_u32 v7, s8, v22
	s_mul_i32 s2, s2, s8
	v_lshlrev_b32_e32 v30, 2, v2
	v_cndmask_b32_e64 v2, 0, 1, s[0:1]
	s_mov_b32 s55, 0
	v_mov_b32_e32 v3, 0
	v_mov_b32_e32 v4, v1
	v_sub_u32_e32 v1, s33, v22
	s_lshl_b32 s57, s3, 2
	v_mul_lo_u32 v25, s7, v6
	v_add_u32_e32 v27, s8, v7
	s_lshl_b32 s58, s2, 2
	v_mul_lo_u32 v29, s8, v6
	s_mov_b64 s[24:25], 0
	v_mov_b32_e32 v31, s19
	v_cmp_ne_u32_e64 s[0:1], 1, v2
	s_mov_b32 s19, 0xd2511f53
	s_mov_b32 s59, 0xf1bbcdc8
	v_mov_b32_e32 v32, 0x3c00
	s_mov_b32 s60, 0
                                        ; implicit-def: $sgpr26_sgpr27
                                        ; implicit-def: $sgpr28_sgpr29
                                        ; implicit-def: $sgpr30_sgpr31
                                        ; implicit-def: $sgpr22_sgpr23
                                        ; implicit-def: $sgpr34_sgpr35
                                        ; implicit-def: $sgpr36_sgpr37
                                        ; implicit-def: $sgpr38_sgpr39
                                        ; implicit-def: $sgpr40_sgpr41
	s_branch .LBB88_3
.LBB88_2:                               ;   in Loop: Header=BB88_3 Depth=1
	s_or_b64 exec, exec, s[4:5]
	s_and_b64 s[2:3], exec, s[2:3]
	s_or_b64 s[24:25], s[2:3], s[24:25]
	s_andn2_b64 s[2:3], s[22:23], exec
	s_and_b64 s[4:5], s[40:41], exec
	s_or_b64 s[22:23], s[2:3], s[4:5]
	s_andn2_b64 s[2:3], s[30:31], exec
	s_and_b64 s[4:5], s[38:39], exec
	;; [unrolled: 3-line block ×4, first 2 shown]
	s_or_b64 s[26:27], s[2:3], s[4:5]
	s_andn2_b64 exec, exec, s[24:25]
	s_cbranch_execz .LBB88_39
.LBB88_3:                               ; =>This Inner Loop Header: Depth=1
	v_add_u32_e32 v2, s55, v30
	v_cmp_lt_i32_e64 s[2:3], 0, v1
	v_cndmask_b32_e64 v2, 0, v2, s[2:3]
	v_add_u32_e32 v8, s55, v27
	v_lshlrev_b64 v[6:7], 2, v[2:3]
	v_cmp_lt_i32_e64 s[4:5], 1, v1
	v_add_co_u32_e32 v6, vcc, s18, v6
	v_cndmask_b32_e64 v2, 0, v8, s[4:5]
	v_add_u32_e32 v10, s55, v28
	v_addc_co_u32_e32 v7, vcc, v31, v7, vcc
	v_lshlrev_b64 v[8:9], 2, v[2:3]
	v_cmp_lt_i32_e64 s[6:7], 2, v1
	v_add_co_u32_e32 v8, vcc, s18, v8
	v_cndmask_b32_e64 v2, 0, v10, s[6:7]
	v_add_u32_e32 v12, s55, v29
	v_addc_co_u32_e32 v9, vcc, v31, v9, vcc
	v_lshlrev_b64 v[10:11], 2, v[2:3]
	v_cmp_lt_i32_e64 s[8:9], 3, v1
	v_add_co_u32_e32 v10, vcc, s18, v10
	v_cndmask_b32_e64 v2, 0, v12, s[8:9]
	v_addc_co_u32_e32 v11, vcc, v31, v11, vcc
	v_lshlrev_b64 v[12:13], 2, v[2:3]
	v_add_co_u32_e32 v12, vcc, s18, v12
	v_addc_co_u32_e32 v13, vcc, v31, v13, vcc
	global_load_dword v33, v[6:7], off
	global_load_dword v34, v[8:9], off
	;; [unrolled: 1-line block ×4, first 2 shown]
	s_and_b64 vcc, exec, s[0:1]
	v_pk_mov_b32 v[6:7], s[14:15], s[14:15] op_sel:[0,1]
	v_pk_mov_b32 v[8:9], s[12:13], s[12:13] op_sel:[0,1]
	s_cbranch_vccnz .LBB88_5
; %bb.4:                                ;   in Loop: Header=BB88_3 Depth=1
	v_pk_mov_b32 v[6:7], s[14:15], s[14:15] op_sel:[0,1]
	flat_load_dwordx2 v[6:7], v[6:7]
	v_pk_mov_b32 v[8:9], s[12:13], s[12:13] op_sel:[0,1]
	flat_load_dwordx2 v[8:9], v[8:9]
	v_mov_b32_e32 v2, s21
	s_waitcnt vmcnt(0) lgkmcnt(0)
	v_add_co_u32_e32 v6, vcc, s20, v6
	v_addc_co_u32_e32 v7, vcc, v7, v2, vcc
.LBB88_5:                               ;   in Loop: Header=BB88_3 Depth=1
	v_alignbit_b32 v18, v7, v6, 2
	v_lshrrev_b32_e32 v19, 2, v7
	v_xor_b32_e32 v10, v4, v8
	v_and_b32_e32 v2, 3, v6
	v_mad_u64_u32 v[6:7], s[10:11], v18, s19, 0
	v_xor_b32_e32 v10, v10, v19
	v_xor_b32_e32 v7, v7, v9
	v_add_u32_e32 v41, 0xbb67ae85, v9
	v_mad_u64_u32 v[10:11], s[10:11], v10, s19, 0
	v_mad_u64_u32 v[12:13], s[10:11], v7, s54, 0
	v_xor_b32_e32 v11, v41, v11
	v_add_u32_e32 v40, 0x9e3779b9, v8
	v_xor_b32_e32 v7, v0, v13
	v_xor_b32_e32 v11, v11, v6
	v_xor_b32_e32 v7, v7, v40
	v_add_u32_e32 v42, 0x3c6ef372, v8
	v_mad_u64_u32 v[14:15], s[10:11], v11, s54, 0
	v_add_u32_e32 v43, 0x76cf5d0a, v9
	v_mad_u64_u32 v[6:7], s[10:11], v7, s19, 0
	v_xor_b32_e32 v11, v42, v15
	v_xor_b32_e32 v11, v11, v12
	v_xor_b32_e32 v7, v43, v7
	v_xor_b32_e32 v7, v7, v10
	v_add_u32_e32 v45, 0x32370b8f, v9
	v_mad_u64_u32 v[10:11], s[10:11], v11, s19, 0
	v_add_u32_e32 v44, 0xdaa66d2b, v8
	v_mad_u64_u32 v[12:13], s[10:11], v7, s54, 0
	v_xor_b32_e32 v11, v45, v11
	;; [unrolled: 8-line block ×5, first 2 shown]
	v_xor_b32_e32 v11, v11, v12
	v_xor_b32_e32 v7, v51, v7
	;; [unrolled: 1-line block ×3, first 2 shown]
	v_add_u32_e32 v53, 0x1fd5c5a3, v9
	v_mad_u64_u32 v[10:11], s[10:11], v11, s19, 0
	v_xor_b32_e32 v11, v53, v11
	v_xor_b32_e32 v6, v11, v6
	v_add_u32_e32 v52, 0x5384540f, v8
	v_mad_u64_u32 v[16:17], s[10:11], v7, s54, 0
	v_add_co_u32_e32 v38, vcc, s59, v8
	v_mad_u64_u32 v[12:13], s[10:11], v6, s54, 0
	v_xor_b32_e32 v7, v52, v17
	v_xor_b32_e32 v6, v38, v13
	;; [unrolled: 1-line block ×4, first 2 shown]
	v_mad_u64_u32 v[14:15], s[10:11], v7, s19, 0
	v_mad_u64_u32 v[6:7], s[10:11], v6, s19, 0
	v_add_u32_e32 v39, 0x96a522ad, v9
	v_xor_b32_e32 v7, v7, v14
	v_xor_b32_e32 v37, v39, v7
	v_add_co_u32_e32 v7, vcc, 1, v18
	v_cndmask_b32_e64 v14, 0, 1, vcc
	v_addc_co_u32_e32 v20, vcc, 0, v19, vcc
	v_cmp_eq_u32_e32 vcc, 0, v20
	v_cndmask_b32_e32 v14, 0, v14, vcc
	v_add_u32_e32 v18, v14, v5
	v_cmp_eq_u32_e32 vcc, 0, v18
	v_mad_u64_u32 v[16:17], s[10:11], v7, s19, 0
	v_mad_u64_u32 v[18:19], s[10:11], v18, s54, 0
	v_add_u32_e32 v13, 0x8ff34781, v8
	v_cndmask_b32_e32 v14, 0, v14, vcc
	v_xor_b32_e32 v7, v19, v8
	v_xor_b32_e32 v8, v17, v9
	v_xor_b32_e32 v14, v14, v8
	v_xor_b32_e32 v7, v20, v7
	v_mad_u64_u32 v[20:21], s[10:11], v14, s54, 0
	v_add_u32_e32 v11, 0xdb3d7428, v9
	v_mad_u64_u32 v[8:9], s[10:11], v7, s19, 0
	v_xor_b32_e32 v7, v40, v21
	v_xor_b32_e32 v7, v7, v18
	v_xor_b32_e32 v9, v41, v9
	v_xor_b32_e32 v9, v9, v16
	v_mad_u64_u32 v[16:17], s[10:11], v7, s19, 0
	v_mad_u64_u32 v[18:19], s[10:11], v9, s54, 0
	v_xor_b32_e32 v9, v43, v17
	v_xor_b32_e32 v7, v42, v19
	v_xor_b32_e32 v14, v9, v8
	v_xor_b32_e32 v7, v7, v20
	v_mad_u64_u32 v[20:21], s[10:11], v14, s54, 0
	;; [unrolled: 6-line block ×7, first 2 shown]
	v_xor_b32_e32 v7, v11, v19
	v_xor_b32_e32 v7, v7, v8
	v_mad_u64_u32 v[20:21], s[10:11], v9, s54, 0
	v_mad_u64_u32 v[8:9], s[10:11], v7, s54, 0
	v_xor_b32_e32 v7, v9, v20
	v_xor_b32_e32 v7, v13, v7
	v_cmp_lt_i32_e32 vcc, 1, v2
                                        ; implicit-def: $vgpr17
	s_and_saveexec_b64 s[10:11], vcc
	s_xor_b64 s[10:11], exec, s[10:11]
	s_cbranch_execz .LBB88_11
; %bb.6:                                ;   in Loop: Header=BB88_3 Depth=1
	v_cmp_lt_i32_e32 vcc, 2, v2
                                        ; implicit-def: $vgpr17
	s_and_saveexec_b64 s[42:43], vcc
	s_xor_b64 s[42:43], exec, s[42:43]
; %bb.7:                                ;   in Loop: Header=BB88_3 Depth=1
	v_xor_b32_e32 v2, v38, v21
	v_xor_b32_e32 v2, v2, v16
	v_mul_hi_u32 v2, v2, s19
	v_xor_b32_e32 v2, v2, v18
	v_xor_b32_e32 v17, v39, v2
                                        ; implicit-def: $vgpr37
; %bb.8:                                ;   in Loop: Header=BB88_3 Depth=1
	s_andn2_saveexec_b64 s[42:43], s[42:43]
; %bb.9:                                ;   in Loop: Header=BB88_3 Depth=1
	v_mov_b32_e32 v17, v8
	v_mov_b32_e32 v8, v7
	;; [unrolled: 1-line block ×4, first 2 shown]
; %bb.10:                               ;   in Loop: Header=BB88_3 Depth=1
	s_or_b64 exec, exec, s[42:43]
                                        ; implicit-def: $vgpr10_vgpr11
                                        ; implicit-def: $vgpr12_vgpr13
                                        ; implicit-def: $vgpr2
                                        ; implicit-def: $vgpr37
                                        ; implicit-def: $vgpr14_vgpr15
                                        ; implicit-def: $vgpr11
                                        ; implicit-def: $vgpr13
.LBB88_11:                              ;   in Loop: Header=BB88_3 Depth=1
	s_andn2_saveexec_b64 s[10:11], s[10:11]
	s_cbranch_execz .LBB88_15
; %bb.12:                               ;   in Loop: Header=BB88_3 Depth=1
	v_xor_b32_e32 v8, v11, v15
	v_xor_b32_e32 v8, v8, v10
	v_mad_u64_u32 v[10:11], s[42:43], v8, s54, 0
	v_xor_b32_e32 v8, v11, v12
	v_xor_b32_e32 v9, v13, v8
	v_cmp_eq_u32_e32 vcc, 1, v2
	v_mov_b32_e32 v17, v6
	v_mov_b32_e32 v8, v37
	;; [unrolled: 1-line block ×3, first 2 shown]
	s_and_saveexec_b64 s[42:43], vcc
; %bb.13:                               ;   in Loop: Header=BB88_3 Depth=1
	v_mov_b32_e32 v17, v7
	v_mov_b32_e32 v8, v6
	v_mov_b32_e32 v2, v37
	v_mov_b32_e32 v9, v10
; %bb.14:                               ;   in Loop: Header=BB88_3 Depth=1
	s_or_b64 exec, exec, s[42:43]
	v_mov_b32_e32 v6, v9
	v_mov_b32_e32 v7, v2
.LBB88_15:                              ;   in Loop: Header=BB88_3 Depth=1
	s_or_b64 exec, exec, s[10:11]
	v_min_i32_e32 v9, 4, v1
	v_cmp_lt_i32_e32 vcc, 2, v9
	s_mov_b64 s[42:43], 0
	s_mov_b64 s[50:51], 0
                                        ; implicit-def: $sgpr10_sgpr11
                                        ; implicit-def: $sgpr44_sgpr45
                                        ; implicit-def: $sgpr46_sgpr47
	s_and_saveexec_b64 s[48:49], vcc
	s_xor_b64 s[48:49], exec, s[48:49]
	s_cbranch_execz .LBB88_25
; %bb.16:                               ;   in Loop: Header=BB88_3 Depth=1
	v_cmp_lt_i32_e32 vcc, 3, v9
	s_mov_b64 s[46:47], -1
                                        ; implicit-def: $sgpr10_sgpr11
                                        ; implicit-def: $sgpr50_sgpr51
	s_and_saveexec_b64 s[44:45], vcc
	s_cbranch_execz .LBB88_20
; %bb.17:                               ;   in Loop: Header=BB88_3 Depth=1
	s_waitcnt vmcnt(0)
	v_cmp_le_f32_e32 vcc, 0, v36
	v_cmp_ge_f32_e64 s[10:11], 1.0, v36
	s_and_b64 s[52:53], vcc, s[10:11]
	s_mov_b64 s[10:11], 0
	s_mov_b64 s[46:47], 0
	s_and_saveexec_b64 s[50:51], s[52:53]
	s_cbranch_execz .LBB88_19
; %bb.18:                               ;   in Loop: Header=BB88_3 Depth=1
	v_cvt_f32_u32_e32 v2, v17
	v_mov_b32_e32 v12, 0x2f800000
	v_add_u32_e32 v10, s60, v25
	s_mov_b64 s[46:47], exec
	v_fmac_f32_e32 v12, 0x2f800000, v2
	v_cndmask_b32_e64 v2, 0, v10, s[8:9]
	v_lshlrev_b64 v[10:11], 1, v[2:3]
	v_mov_b32_e32 v2, s17
	v_add_co_u32_e32 v10, vcc, s16, v10
	v_addc_co_u32_e32 v11, vcc, v2, v11, vcc
	v_cmp_le_f32_e32 vcc, v12, v36
	v_cndmask_b32_e32 v2, 0, v32, vcc
	global_store_short v[10:11], v2, off
.LBB88_19:                              ;   in Loop: Header=BB88_3 Depth=1
	s_or_b64 exec, exec, s[50:51]
	s_mov_b64 s[50:51], -1
	s_orn2_b64 s[46:47], s[46:47], exec
.LBB88_20:                              ;   in Loop: Header=BB88_3 Depth=1
	s_or_b64 exec, exec, s[44:45]
	s_mov_b64 s[8:9], 0
	s_mov_b64 s[52:53], s[10:11]
	s_and_saveexec_b64 s[44:45], s[46:47]
	s_cbranch_execz .LBB88_24
; %bb.21:                               ;   in Loop: Header=BB88_3 Depth=1
	s_waitcnt vmcnt(1)
	v_cmp_le_f32_e32 vcc, 0, v35
	v_cmp_ge_f32_e64 s[8:9], 1.0, v35
	s_and_b64 s[46:47], vcc, s[8:9]
	s_mov_b64 s[8:9], 0
	s_and_saveexec_b64 s[52:53], s[46:47]
	s_xor_b64 s[46:47], exec, s[52:53]
	s_cbranch_execz .LBB88_23
; %bb.22:                               ;   in Loop: Header=BB88_3 Depth=1
	v_cvt_f32_u32_e32 v2, v8
	v_mov_b32_e32 v8, 0x2f800000
	v_add_u32_e32 v10, s60, v24
	s_mov_b64 s[8:9], exec
	v_fmac_f32_e32 v8, 0x2f800000, v2
	v_cndmask_b32_e64 v2, 0, v10, s[6:7]
	v_lshlrev_b64 v[10:11], 1, v[2:3]
	v_mov_b32_e32 v2, s17
	v_add_co_u32_e32 v10, vcc, s16, v10
	v_addc_co_u32_e32 v11, vcc, v2, v11, vcc
	v_cmp_le_f32_e32 vcc, v8, v35
	v_cndmask_b32_e32 v2, 0, v32, vcc
	global_store_short v[10:11], v2, off
.LBB88_23:                              ;   in Loop: Header=BB88_3 Depth=1
	s_or_b64 exec, exec, s[46:47]
	s_andn2_b64 s[52:53], s[10:11], exec
	s_or_b64 s[10:11], s[10:11], exec
	s_andn2_b64 s[50:51], s[50:51], exec
	s_and_b64 s[8:9], s[8:9], exec
.LBB88_24:                              ;   in Loop: Header=BB88_3 Depth=1
	s_or_b64 exec, exec, s[44:45]
	s_and_b64 s[46:47], s[52:53], exec
	s_and_b64 s[44:45], s[10:11], exec
	;; [unrolled: 1-line block ×4, first 2 shown]
.LBB88_25:                              ;   in Loop: Header=BB88_3 Depth=1
	s_andn2_saveexec_b64 s[6:7], s[48:49]
; %bb.26:                               ;   in Loop: Header=BB88_3 Depth=1
	v_cmp_lt_i32_e32 vcc, 1, v9
	s_andn2_b64 s[8:9], s[50:51], exec
	s_and_b64 s[48:49], vcc, exec
	s_mov_b64 s[42:43], exec
	s_andn2_b64 s[46:47], s[46:47], exec
	s_andn2_b64 s[44:45], s[44:45], exec
	;; [unrolled: 1-line block ×3, first 2 shown]
	s_or_b64 s[50:51], s[8:9], s[48:49]
; %bb.27:                               ;   in Loop: Header=BB88_3 Depth=1
	s_or_b64 exec, exec, s[6:7]
	s_mov_b64 s[8:9], 0
	s_mov_b64 s[48:49], 0
	;; [unrolled: 1-line block ×3, first 2 shown]
	s_and_saveexec_b64 s[52:53], s[50:51]
	s_cbranch_execnz .LBB88_30
; %bb.28:                               ;   in Loop: Header=BB88_3 Depth=1
	s_or_b64 exec, exec, s[52:53]
	s_and_saveexec_b64 s[4:5], s[42:43]
	s_cbranch_execnz .LBB88_33
.LBB88_29:                              ;   in Loop: Header=BB88_3 Depth=1
	s_or_b64 exec, exec, s[4:5]
	s_and_saveexec_b64 s[42:43], s[48:49]
	s_cbranch_execnz .LBB88_34
	s_branch .LBB88_37
.LBB88_30:                              ;   in Loop: Header=BB88_3 Depth=1
	s_waitcnt vmcnt(2)
	v_cmp_le_f32_e32 vcc, 0, v34
	v_cmp_ge_f32_e64 s[6:7], 1.0, v34
	s_and_b64 s[6:7], vcc, s[6:7]
	s_and_saveexec_b64 s[50:51], s[6:7]
	s_xor_b64 s[6:7], exec, s[50:51]
	s_cbranch_execz .LBB88_32
; %bb.31:                               ;   in Loop: Header=BB88_3 Depth=1
	v_cvt_f32_u32_e32 v2, v7
	v_mov_b32_e32 v7, 0x2f800000
	v_add_u32_e32 v8, s60, v23
	s_mov_b64 s[48:49], exec
	v_fmac_f32_e32 v7, 0x2f800000, v2
	v_cndmask_b32_e64 v2, 0, v8, s[4:5]
	v_lshlrev_b64 v[10:11], 1, v[2:3]
	v_mov_b32_e32 v2, s17
	v_add_co_u32_e32 v10, vcc, s16, v10
	v_addc_co_u32_e32 v11, vcc, v2, v11, vcc
	v_cmp_le_f32_e32 vcc, v7, v34
	v_cndmask_b32_e32 v2, 0, v32, vcc
	global_store_short v[10:11], v2, off
.LBB88_32:                              ;   in Loop: Header=BB88_3 Depth=1
	s_or_b64 exec, exec, s[6:7]
	s_andn2_b64 s[6:7], s[46:47], exec
	s_or_b64 s[46:47], s[46:47], exec
	s_andn2_b64 s[44:45], s[44:45], exec
	s_andn2_b64 s[10:11], s[10:11], exec
	s_and_b64 s[48:49], s[48:49], exec
	s_andn2_b64 s[42:43], s[42:43], exec
	s_or_b64 exec, exec, s[52:53]
	s_and_saveexec_b64 s[4:5], s[42:43]
	s_cbranch_execz .LBB88_29
.LBB88_33:                              ;   in Loop: Header=BB88_3 Depth=1
	v_cmp_eq_u32_e32 vcc, 1, v9
	s_andn2_b64 s[42:43], s[48:49], exec
	s_and_b64 s[48:49], vcc, exec
	s_mov_b64 s[8:9], exec
	s_andn2_b64 s[6:7], s[6:7], exec
	s_andn2_b64 s[46:47], s[46:47], exec
	s_andn2_b64 s[44:45], s[44:45], exec
	s_andn2_b64 s[10:11], s[10:11], exec
	s_or_b64 s[48:49], s[42:43], s[48:49]
	s_or_b64 exec, exec, s[4:5]
	s_and_saveexec_b64 s[42:43], s[48:49]
	s_cbranch_execz .LBB88_37
.LBB88_34:                              ;   in Loop: Header=BB88_3 Depth=1
	s_waitcnt vmcnt(3)
	v_cmp_le_f32_e32 vcc, 0, v33
	v_cmp_ge_f32_e64 s[4:5], 1.0, v33
	s_and_b64 s[50:51], vcc, s[4:5]
	s_mov_b64 s[4:5], 0
	s_and_saveexec_b64 s[48:49], s[50:51]
	s_cbranch_execz .LBB88_36
; %bb.35:                               ;   in Loop: Header=BB88_3 Depth=1
	v_cvt_f32_u32_e32 v2, v6
	v_mov_b32_e32 v8, 0x2f800000
	v_add_u32_e32 v6, s60, v26
	s_mov_b64 s[4:5], exec
	v_fmac_f32_e32 v8, 0x2f800000, v2
	v_cndmask_b32_e64 v2, 0, v6, s[2:3]
	v_lshlrev_b64 v[6:7], 1, v[2:3]
	v_mov_b32_e32 v2, s17
	v_add_co_u32_e32 v6, vcc, s16, v6
	v_addc_co_u32_e32 v7, vcc, v2, v7, vcc
	v_cmp_le_f32_e32 vcc, v8, v33
	v_cndmask_b32_e32 v2, 0, v32, vcc
	global_store_short v[6:7], v2, off
.LBB88_36:                              ;   in Loop: Header=BB88_3 Depth=1
	s_or_b64 exec, exec, s[48:49]
	s_andn2_b64 s[2:3], s[8:9], exec
	s_and_b64 s[4:5], s[4:5], exec
	s_or_b64 s[6:7], s[6:7], exec
	s_andn2_b64 s[46:47], s[46:47], exec
	s_andn2_b64 s[44:45], s[44:45], exec
	;; [unrolled: 1-line block ×3, first 2 shown]
	s_or_b64 s[8:9], s[2:3], s[4:5]
.LBB88_37:                              ;   in Loop: Header=BB88_3 Depth=1
	s_or_b64 exec, exec, s[42:43]
	s_andn2_b64 s[4:5], s[40:41], exec
	s_and_b64 s[6:7], s[6:7], exec
	s_or_b64 s[40:41], s[4:5], s[6:7]
	s_andn2_b64 s[4:5], s[38:39], exec
	s_and_b64 s[6:7], s[46:47], exec
	s_or_b64 s[38:39], s[4:5], s[6:7]
	;; [unrolled: 3-line block ×3, first 2 shown]
	s_andn2_b64 s[4:5], s[34:35], exec
	s_and_b64 s[6:7], s[10:11], exec
	s_mov_b64 s[2:3], -1
	s_or_b64 s[34:35], s[4:5], s[6:7]
	s_and_saveexec_b64 s[4:5], s[8:9]
	s_cbranch_execz .LBB88_2
; %bb.38:                               ;   in Loop: Header=BB88_3 Depth=1
	v_add_u32_e32 v22, s56, v22
	v_cmp_le_u32_e32 vcc, s33, v22
	v_subrev_u32_e32 v1, s56, v1
	s_add_i32 s60, s60, s57
	s_add_i32 s55, s55, s58
	s_andn2_b64 s[40:41], s[40:41], exec
	s_andn2_b64 s[38:39], s[38:39], exec
	;; [unrolled: 1-line block ×4, first 2 shown]
	s_orn2_b64 s[2:3], vcc, exec
	s_branch .LBB88_2
.LBB88_39:
	s_or_b64 exec, exec, s[24:25]
	s_xor_b64 s[6:7], s[30:31], -1
	s_xor_b64 s[8:9], s[28:29], -1
	;; [unrolled: 1-line block ×3, first 2 shown]
	s_mov_b64 s[2:3], 0
	s_and_saveexec_b64 s[4:5], s[0:1]
	s_xor_b64 s[0:1], exec, s[4:5]
	s_cbranch_execnz .LBB88_44
; %bb.40:
	s_andn2_saveexec_b64 s[0:1], s[0:1]
	s_cbranch_execnz .LBB88_52
.LBB88_41:
	s_or_b64 exec, exec, s[0:1]
	s_and_b64 exec, exec, s[2:3]
.LBB88_42:
	; divergent unreachable
.LBB88_43:
	s_endpgm
.LBB88_44:
	s_mov_b64 s[4:5], 0
	s_and_saveexec_b64 s[2:3], s[8:9]
	s_xor_b64 s[2:3], exec, s[2:3]
	s_cbranch_execz .LBB88_50
; %bb.45:
	s_and_saveexec_b64 s[8:9], s[6:7]
	s_xor_b64 s[6:7], exec, s[8:9]
	s_cbranch_execz .LBB88_48
; %bb.46:
	s_and_saveexec_b64 s[8:9], s[22:23]
	s_xor_b64 s[8:9], exec, s[8:9]
	s_cbranch_execnz .LBB88_55
.LBB88_47:
	s_or_b64 exec, exec, s[8:9]
	s_and_b64 s[4:5], s[4:5], exec
.LBB88_48:
	s_andn2_saveexec_b64 s[6:7], s[6:7]
	s_cbranch_execnz .LBB88_54
.LBB88_49:
	s_or_b64 exec, exec, s[6:7]
	s_and_b64 s[4:5], s[4:5], exec
.LBB88_50:
	s_andn2_saveexec_b64 s[2:3], s[2:3]
	s_cbranch_execnz .LBB88_53
.LBB88_51:
	s_or_b64 exec, exec, s[2:3]
	s_and_b64 s[2:3], s[4:5], exec
	s_andn2_saveexec_b64 s[0:1], s[0:1]
	s_cbranch_execz .LBB88_41
.LBB88_52:
	s_or_b64 s[2:3], s[2:3], exec
	s_trap 2
	s_or_b64 exec, exec, s[0:1]
	s_and_b64 exec, exec, s[2:3]
	s_cbranch_execnz .LBB88_42
	s_branch .LBB88_43
.LBB88_53:
	s_or_b64 s[4:5], s[4:5], exec
	s_trap 2
	s_branch .LBB88_51
.LBB88_54:
	s_trap 2
	s_or_b64 s[4:5], s[4:5], exec
	s_branch .LBB88_49
.LBB88_55:
	s_mov_b64 s[4:5], exec
	s_trap 2
	s_branch .LBB88_47
	.section	.rodata,"a",@progbits
	.p2align	6, 0x0
	.amdhsa_kernel _ZN2at4cuda12_GLOBAL__N_121kernelPointwiseApply2IZNS_6native9templates4cuda28bernoulli_tensor_cuda_kernelIN3c104HalfEfEEvRKNS_10TensorBaseESB_NS_15PhiloxCudaStateEEUliRS8_SD_SD_SD_RKfSF_SF_SF_E_S8_SE_jLi1ELi1ELi4ELi512ELi2EEEvNS0_6detail10TensorInfoIT0_T2_EENSI_IT1_SK_EESK_T_
		.amdhsa_group_segment_fixed_size 0
		.amdhsa_private_segment_fixed_size 0
		.amdhsa_kernarg_size 728
		.amdhsa_user_sgpr_count 6
		.amdhsa_user_sgpr_private_segment_buffer 1
		.amdhsa_user_sgpr_dispatch_ptr 0
		.amdhsa_user_sgpr_queue_ptr 0
		.amdhsa_user_sgpr_kernarg_segment_ptr 1
		.amdhsa_user_sgpr_dispatch_id 0
		.amdhsa_user_sgpr_flat_scratch_init 0
		.amdhsa_user_sgpr_kernarg_preload_length 0
		.amdhsa_user_sgpr_kernarg_preload_offset 0
		.amdhsa_user_sgpr_private_segment_size 0
		.amdhsa_uses_dynamic_stack 0
		.amdhsa_system_sgpr_private_segment_wavefront_offset 0
		.amdhsa_system_sgpr_workgroup_id_x 1
		.amdhsa_system_sgpr_workgroup_id_y 0
		.amdhsa_system_sgpr_workgroup_id_z 0
		.amdhsa_system_sgpr_workgroup_info 0
		.amdhsa_system_vgpr_workitem_id 0
		.amdhsa_next_free_vgpr 54
		.amdhsa_next_free_sgpr 61
		.amdhsa_accum_offset 56
		.amdhsa_reserve_vcc 1
		.amdhsa_reserve_flat_scratch 0
		.amdhsa_float_round_mode_32 0
		.amdhsa_float_round_mode_16_64 0
		.amdhsa_float_denorm_mode_32 3
		.amdhsa_float_denorm_mode_16_64 3
		.amdhsa_dx10_clamp 1
		.amdhsa_ieee_mode 1
		.amdhsa_fp16_overflow 0
		.amdhsa_tg_split 0
		.amdhsa_exception_fp_ieee_invalid_op 0
		.amdhsa_exception_fp_denorm_src 0
		.amdhsa_exception_fp_ieee_div_zero 0
		.amdhsa_exception_fp_ieee_overflow 0
		.amdhsa_exception_fp_ieee_underflow 0
		.amdhsa_exception_fp_ieee_inexact 0
		.amdhsa_exception_int_div_zero 0
	.end_amdhsa_kernel
	.section	.text._ZN2at4cuda12_GLOBAL__N_121kernelPointwiseApply2IZNS_6native9templates4cuda28bernoulli_tensor_cuda_kernelIN3c104HalfEfEEvRKNS_10TensorBaseESB_NS_15PhiloxCudaStateEEUliRS8_SD_SD_SD_RKfSF_SF_SF_E_S8_SE_jLi1ELi1ELi4ELi512ELi2EEEvNS0_6detail10TensorInfoIT0_T2_EENSI_IT1_SK_EESK_T_,"axG",@progbits,_ZN2at4cuda12_GLOBAL__N_121kernelPointwiseApply2IZNS_6native9templates4cuda28bernoulli_tensor_cuda_kernelIN3c104HalfEfEEvRKNS_10TensorBaseESB_NS_15PhiloxCudaStateEEUliRS8_SD_SD_SD_RKfSF_SF_SF_E_S8_SE_jLi1ELi1ELi4ELi512ELi2EEEvNS0_6detail10TensorInfoIT0_T2_EENSI_IT1_SK_EESK_T_,comdat
.Lfunc_end88:
	.size	_ZN2at4cuda12_GLOBAL__N_121kernelPointwiseApply2IZNS_6native9templates4cuda28bernoulli_tensor_cuda_kernelIN3c104HalfEfEEvRKNS_10TensorBaseESB_NS_15PhiloxCudaStateEEUliRS8_SD_SD_SD_RKfSF_SF_SF_E_S8_SE_jLi1ELi1ELi4ELi512ELi2EEEvNS0_6detail10TensorInfoIT0_T2_EENSI_IT1_SK_EESK_T_, .Lfunc_end88-_ZN2at4cuda12_GLOBAL__N_121kernelPointwiseApply2IZNS_6native9templates4cuda28bernoulli_tensor_cuda_kernelIN3c104HalfEfEEvRKNS_10TensorBaseESB_NS_15PhiloxCudaStateEEUliRS8_SD_SD_SD_RKfSF_SF_SF_E_S8_SE_jLi1ELi1ELi4ELi512ELi2EEEvNS0_6detail10TensorInfoIT0_T2_EENSI_IT1_SK_EESK_T_
                                        ; -- End function
	.section	.AMDGPU.csdata,"",@progbits
; Kernel info:
; codeLenInByte = 2644
; NumSgprs: 65
; NumVgprs: 54
; NumAgprs: 0
; TotalNumVgprs: 54
; ScratchSize: 0
; MemoryBound: 0
; FloatMode: 240
; IeeeMode: 1
; LDSByteSize: 0 bytes/workgroup (compile time only)
; SGPRBlocks: 8
; VGPRBlocks: 6
; NumSGPRsForWavesPerEU: 65
; NumVGPRsForWavesPerEU: 54
; AccumOffset: 56
; Occupancy: 8
; WaveLimiterHint : 1
; COMPUTE_PGM_RSRC2:SCRATCH_EN: 0
; COMPUTE_PGM_RSRC2:USER_SGPR: 6
; COMPUTE_PGM_RSRC2:TRAP_HANDLER: 0
; COMPUTE_PGM_RSRC2:TGID_X_EN: 1
; COMPUTE_PGM_RSRC2:TGID_Y_EN: 0
; COMPUTE_PGM_RSRC2:TGID_Z_EN: 0
; COMPUTE_PGM_RSRC2:TIDIG_COMP_CNT: 0
; COMPUTE_PGM_RSRC3_GFX90A:ACCUM_OFFSET: 13
; COMPUTE_PGM_RSRC3_GFX90A:TG_SPLIT: 0
	.section	.text._ZN2at4cuda12_GLOBAL__N_121kernelPointwiseApply2IZNS_6native9templates4cuda28bernoulli_tensor_cuda_kernelIN3c104HalfEfEEvRKNS_10TensorBaseESB_NS_15PhiloxCudaStateEEUliRS8_SD_SD_SD_RKfSF_SF_SF_E_S8_SE_jLi1ELi2ELi4ELi512ELi2EEEvNS0_6detail10TensorInfoIT0_T2_EENSI_IT1_SK_EESK_T_,"axG",@progbits,_ZN2at4cuda12_GLOBAL__N_121kernelPointwiseApply2IZNS_6native9templates4cuda28bernoulli_tensor_cuda_kernelIN3c104HalfEfEEvRKNS_10TensorBaseESB_NS_15PhiloxCudaStateEEUliRS8_SD_SD_SD_RKfSF_SF_SF_E_S8_SE_jLi1ELi2ELi4ELi512ELi2EEEvNS0_6detail10TensorInfoIT0_T2_EENSI_IT1_SK_EESK_T_,comdat
	.globl	_ZN2at4cuda12_GLOBAL__N_121kernelPointwiseApply2IZNS_6native9templates4cuda28bernoulli_tensor_cuda_kernelIN3c104HalfEfEEvRKNS_10TensorBaseESB_NS_15PhiloxCudaStateEEUliRS8_SD_SD_SD_RKfSF_SF_SF_E_S8_SE_jLi1ELi2ELi4ELi512ELi2EEEvNS0_6detail10TensorInfoIT0_T2_EENSI_IT1_SK_EESK_T_ ; -- Begin function _ZN2at4cuda12_GLOBAL__N_121kernelPointwiseApply2IZNS_6native9templates4cuda28bernoulli_tensor_cuda_kernelIN3c104HalfEfEEvRKNS_10TensorBaseESB_NS_15PhiloxCudaStateEEUliRS8_SD_SD_SD_RKfSF_SF_SF_E_S8_SE_jLi1ELi2ELi4ELi512ELi2EEEvNS0_6detail10TensorInfoIT0_T2_EENSI_IT1_SK_EESK_T_
	.p2align	8
	.type	_ZN2at4cuda12_GLOBAL__N_121kernelPointwiseApply2IZNS_6native9templates4cuda28bernoulli_tensor_cuda_kernelIN3c104HalfEfEEvRKNS_10TensorBaseESB_NS_15PhiloxCudaStateEEUliRS8_SD_SD_SD_RKfSF_SF_SF_E_S8_SE_jLi1ELi2ELi4ELi512ELi2EEEvNS0_6detail10TensorInfoIT0_T2_EENSI_IT1_SK_EESK_T_,@function
_ZN2at4cuda12_GLOBAL__N_121kernelPointwiseApply2IZNS_6native9templates4cuda28bernoulli_tensor_cuda_kernelIN3c104HalfEfEEvRKNS_10TensorBaseESB_NS_15PhiloxCudaStateEEUliRS8_SD_SD_SD_RKfSF_SF_SF_E_S8_SE_jLi1ELi2ELi4ELi512ELi2EEEvNS0_6detail10TensorInfoIT0_T2_EENSI_IT1_SK_EESK_T_: ; @_ZN2at4cuda12_GLOBAL__N_121kernelPointwiseApply2IZNS_6native9templates4cuda28bernoulli_tensor_cuda_kernelIN3c104HalfEfEEvRKNS_10TensorBaseESB_NS_15PhiloxCudaStateEEUliRS8_SD_SD_SD_RKfSF_SF_SF_E_S8_SE_jLi1ELi2ELi4ELi512ELi2EEEvNS0_6detail10TensorInfoIT0_T2_EENSI_IT1_SK_EESK_T_
; %bb.0:
	s_load_dword s2, s[4:5], 0x1e4
	s_load_dword s33, s[4:5], 0x1b0
	s_add_u32 s0, s4, 0x1d8
	s_addc_u32 s1, s5, 0
	s_waitcnt lgkmcnt(0)
	s_and_b32 s2, s2, 0xffff
	s_mul_i32 s6, s6, s2
	v_add_u32_e32 v1, s6, v0
	v_lshlrev_b32_e32 v0, 2, v1
	v_cmp_gt_u32_e32 vcc, s33, v0
	s_and_saveexec_b64 s[6:7], vcc
	s_cbranch_execz .LBB89_51
; %bb.1:
	s_load_dwordx2 s[12:13], s[4:5], 0x0
	s_load_dword s3, s[4:5], 0x6c
	s_load_dwordx2 s[14:15], s[4:5], 0xd8
	s_load_dword s56, s[4:5], 0xe4
	s_load_dword s6, s[0:1], 0x0
	s_load_dwordx2 s[16:17], s[4:5], 0x1c8
	s_load_dword s7, s[4:5], 0x1d0
	s_load_dwordx2 s[18:19], s[4:5], 0x144
	s_load_dwordx4 s[8:11], s[4:5], 0x1b8
	s_waitcnt lgkmcnt(0)
	v_cvt_f32_u32_e32 v2, s56
	s_mov_b32 s57, 0xcd9e8d57
	s_bitcmp1_b32 s7, 0
	s_cselect_b64 s[22:23], -1, 0
	v_rcp_iflag_f32_e32 v4, v2
	v_mad_u64_u32 v[2:3], s[0:1], v1, s57, 0
	s_sub_i32 s60, 0, s56
	v_mul_f32_e32 v4, 0x4f7ffffe, v4
	v_cvt_u32_f32_e32 v4, v4
	v_mov_b32_e32 v6, v3
	s_mul_i32 s6, s6, s2
	s_lshl_b32 s59, s6, 2
	v_mul_lo_u32 v3, s60, v4
	v_mul_hi_u32 v3, v4, v3
	v_add_u32_e32 v3, v4, v3
	v_add_u32_e32 v4, 2, v0
	v_mul_lo_u32 v26, v0, s3
	v_mul_lo_u32 v28, s3, v4
	v_add_u32_e32 v4, 3, v0
	s_mov_b32 s58, 0
	v_mov_b32_e32 v5, 0
	v_sub_u32_e32 v7, s33, v0
	v_add_u32_e32 v27, s3, v26
	s_mul_i32 s61, s59, s3
	v_mul_lo_u32 v29, s3, v4
	s_mov_b64 s[24:25], 0
	s_mov_b32 s62, 0xd2511f53
	s_mov_b32 s63, 0xf1bbcdc8
	v_mov_b32_e32 v30, 0x3c00
                                        ; implicit-def: $sgpr26_sgpr27
                                        ; implicit-def: $sgpr28_sgpr29
                                        ; implicit-def: $sgpr30_sgpr31
                                        ; implicit-def: $sgpr20_sgpr21
                                        ; implicit-def: $sgpr34_sgpr35
                                        ; implicit-def: $sgpr36_sgpr37
                                        ; implicit-def: $sgpr38_sgpr39
                                        ; implicit-def: $sgpr40_sgpr41
	s_branch .LBB89_3
.LBB89_2:                               ;   in Loop: Header=BB89_3 Depth=1
	s_or_b64 exec, exec, s[2:3]
	s_and_b64 s[0:1], exec, s[0:1]
	s_or_b64 s[24:25], s[0:1], s[24:25]
	s_andn2_b64 s[0:1], s[20:21], exec
	s_and_b64 s[2:3], s[40:41], exec
	s_or_b64 s[20:21], s[0:1], s[2:3]
	s_andn2_b64 s[0:1], s[30:31], exec
	s_and_b64 s[2:3], s[38:39], exec
	;; [unrolled: 3-line block ×4, first 2 shown]
	s_or_b64 s[26:27], s[0:1], s[2:3]
	s_andn2_b64 exec, exec, s[24:25]
	s_cbranch_execz .LBB89_47
.LBB89_3:                               ; =>This Inner Loop Header: Depth=1
	v_pk_mov_b32 v[8:9], 0, 0
	v_cmp_lt_i32_e64 s[0:1], 0, v7
	v_pk_mov_b32 v[12:13], v[8:9], v[8:9] op_sel:[0,1]
	s_and_saveexec_b64 s[2:3], s[0:1]
	s_cbranch_execz .LBB89_5
; %bb.4:                                ;   in Loop: Header=BB89_3 Depth=1
	s_waitcnt vmcnt(0)
	v_mul_hi_u32 v4, v3, v0
	v_not_b32_e32 v12, v4
	v_mad_u64_u32 v[10:11], s[4:5], s60, v4, v[0:1]
	v_add_u32_e32 v11, 1, v4
	v_cmp_le_u32_e32 vcc, s56, v10
	v_mad_u64_u32 v[12:13], s[4:5], s56, v12, v[0:1]
	v_cndmask_b32_e32 v4, v4, v11, vcc
	v_cndmask_b32_e32 v10, v10, v12, vcc
	v_add_u32_e32 v11, 1, v4
	v_cmp_le_u32_e32 vcc, s56, v10
	v_cndmask_b32_e32 v12, v4, v11, vcc
	v_mad_u64_u32 v[10:11], s[4:5], s60, v12, v[0:1]
	v_mul_lo_u32 v4, v10, s19
	v_mad_u64_u32 v[12:13], s[4:5], v12, s18, v[4:5]
	v_mov_b32_e32 v13, v5
.LBB89_5:                               ;   in Loop: Header=BB89_3 Depth=1
	s_or_b64 exec, exec, s[2:3]
	v_cmp_lt_i32_e64 s[2:3], 1, v7
	s_and_saveexec_b64 s[4:5], s[2:3]
	s_cbranch_execz .LBB89_7
; %bb.6:                                ;   in Loop: Header=BB89_3 Depth=1
	s_waitcnt vmcnt(0)
	v_add_u32_e32 v4, 1, v0
	v_mul_hi_u32 v8, v4, v3
	v_mul_lo_u32 v9, v8, s56
	v_sub_u32_e32 v9, v4, v9
	v_add_u32_e32 v10, 1, v8
	v_cmp_le_u32_e32 vcc, s56, v9
	v_cndmask_b32_e32 v8, v8, v10, vcc
	v_subrev_u32_e32 v10, s56, v9
	v_cndmask_b32_e32 v9, v9, v10, vcc
	v_add_u32_e32 v10, 1, v8
	v_cmp_le_u32_e32 vcc, s56, v9
	v_cndmask_b32_e32 v8, v8, v10, vcc
	v_mul_lo_u32 v9, v8, s56
	v_sub_u32_e32 v4, v4, v9
	v_mul_lo_u32 v4, v4, s19
	v_mad_u64_u32 v[8:9], s[6:7], v8, s18, v[4:5]
	v_mov_b32_e32 v9, v5
.LBB89_7:                               ;   in Loop: Header=BB89_3 Depth=1
	s_or_b64 exec, exec, s[4:5]
	v_pk_mov_b32 v[10:11], 0, 0
	v_cmp_lt_i32_e64 s[4:5], 2, v7
	v_pk_mov_b32 v[14:15], v[10:11], v[10:11] op_sel:[0,1]
	s_and_saveexec_b64 s[6:7], s[4:5]
	s_cbranch_execz .LBB89_9
; %bb.8:                                ;   in Loop: Header=BB89_3 Depth=1
	s_waitcnt vmcnt(0)
	v_add_u32_e32 v4, 2, v0
	v_mul_hi_u32 v14, v4, v3
	v_mul_lo_u32 v15, v14, s56
	v_sub_u32_e32 v15, v4, v15
	v_add_u32_e32 v16, 1, v14
	v_cmp_le_u32_e32 vcc, s56, v15
	v_cndmask_b32_e32 v14, v14, v16, vcc
	v_subrev_u32_e32 v16, s56, v15
	v_cndmask_b32_e32 v15, v15, v16, vcc
	v_add_u32_e32 v16, 1, v14
	v_cmp_le_u32_e32 vcc, s56, v15
	v_cndmask_b32_e32 v14, v14, v16, vcc
	v_mul_lo_u32 v15, v14, s56
	v_sub_u32_e32 v4, v4, v15
	v_mul_lo_u32 v4, v4, s19
	v_mad_u64_u32 v[14:15], s[42:43], v14, s18, v[4:5]
	v_mov_b32_e32 v15, v5
.LBB89_9:                               ;   in Loop: Header=BB89_3 Depth=1
	s_or_b64 exec, exec, s[6:7]
	v_cmp_lt_i32_e32 vcc, 3, v7
	v_pk_mov_b32 v[16:17], v[10:11], v[10:11] op_sel:[0,1]
	s_and_saveexec_b64 s[6:7], vcc
	s_cbranch_execz .LBB89_11
; %bb.10:                               ;   in Loop: Header=BB89_3 Depth=1
	v_add_u32_e32 v10, 3, v0
	v_mul_hi_u32 v11, v10, v3
	v_mul_lo_u32 v16, v11, s56
	v_sub_u32_e32 v16, v10, v16
	v_add_u32_e32 v17, 1, v11
	v_cmp_le_u32_e32 vcc, s56, v16
	v_cndmask_b32_e32 v11, v11, v17, vcc
	v_subrev_u32_e32 v17, s56, v16
	v_cndmask_b32_e32 v16, v16, v17, vcc
	v_add_u32_e32 v17, 1, v11
	v_cmp_le_u32_e32 vcc, s56, v16
	v_cndmask_b32_e32 v11, v11, v17, vcc
	v_mul_lo_u32 v16, v11, s56
	v_sub_u32_e32 v10, v10, v16
	v_mul_lo_u32 v10, v10, s19
	s_waitcnt vmcnt(0)
	v_add_u32_e32 v4, s58, v29
	v_mad_u64_u32 v[16:17], s[42:43], v11, s18, v[10:11]
	v_mov_b32_e32 v17, v5
	v_pk_mov_b32 v[10:11], v[4:5], v[4:5] op_sel:[0,1]
.LBB89_11:                              ;   in Loop: Header=BB89_3 Depth=1
	s_or_b64 exec, exec, s[6:7]
	v_lshlrev_b64 v[12:13], 2, v[12:13]
	s_waitcnt vmcnt(0)
	v_mov_b32_e32 v4, s15
	v_add_co_u32_e32 v12, vcc, s14, v12
	v_addc_co_u32_e32 v13, vcc, v4, v13, vcc
	v_lshlrev_b64 v[8:9], 2, v[8:9]
	v_add_co_u32_e32 v8, vcc, s14, v8
	v_addc_co_u32_e32 v9, vcc, v4, v9, vcc
	v_lshlrev_b64 v[14:15], 2, v[14:15]
	;; [unrolled: 3-line block ×3, first 2 shown]
	v_add_co_u32_e32 v16, vcc, s14, v16
	v_addc_co_u32_e32 v17, vcc, v4, v17, vcc
	global_load_dword v31, v[12:13], off
	global_load_dword v32, v[8:9], off
	;; [unrolled: 1-line block ×4, first 2 shown]
	s_andn2_b64 vcc, exec, s[22:23]
	v_pk_mov_b32 v[8:9], s[10:11], s[10:11] op_sel:[0,1]
	v_pk_mov_b32 v[12:13], s[8:9], s[8:9] op_sel:[0,1]
	s_cbranch_vccnz .LBB89_13
; %bb.12:                               ;   in Loop: Header=BB89_3 Depth=1
	v_pk_mov_b32 v[8:9], s[10:11], s[10:11] op_sel:[0,1]
	flat_load_dwordx2 v[8:9], v[8:9]
	v_pk_mov_b32 v[12:13], s[8:9], s[8:9] op_sel:[0,1]
	flat_load_dwordx2 v[12:13], v[12:13]
	v_mov_b32_e32 v14, s17
	s_waitcnt vmcnt(0) lgkmcnt(0)
	v_add_co_u32_e32 v8, vcc, s16, v8
	v_addc_co_u32_e32 v9, vcc, v9, v14, vcc
.LBB89_13:                              ;   in Loop: Header=BB89_3 Depth=1
	v_alignbit_b32 v22, v9, v8, 2
	v_lshrrev_b32_e32 v23, 2, v9
	v_xor_b32_e32 v14, v6, v12
	v_and_b32_e32 v34, 3, v8
	v_mad_u64_u32 v[8:9], s[6:7], v22, s62, 0
	v_xor_b32_e32 v14, v14, v23
	v_xor_b32_e32 v9, v9, v13
	v_add_u32_e32 v39, 0xbb67ae85, v13
	v_mad_u64_u32 v[14:15], s[6:7], v14, s62, 0
	v_mad_u64_u32 v[16:17], s[6:7], v9, s57, 0
	v_xor_b32_e32 v15, v39, v15
	v_add_u32_e32 v38, 0x9e3779b9, v12
	v_xor_b32_e32 v9, v2, v17
	v_xor_b32_e32 v15, v15, v8
	v_xor_b32_e32 v9, v9, v38
	v_add_u32_e32 v40, 0x3c6ef372, v12
	v_mad_u64_u32 v[18:19], s[6:7], v15, s57, 0
	v_add_u32_e32 v41, 0x76cf5d0a, v13
	v_mad_u64_u32 v[8:9], s[6:7], v9, s62, 0
	v_xor_b32_e32 v15, v40, v19
	v_xor_b32_e32 v15, v15, v16
	v_xor_b32_e32 v9, v41, v9
	v_xor_b32_e32 v9, v9, v14
	v_add_u32_e32 v43, 0x32370b8f, v13
	v_mad_u64_u32 v[14:15], s[6:7], v15, s62, 0
	v_add_u32_e32 v42, 0xdaa66d2b, v12
	v_mad_u64_u32 v[16:17], s[6:7], v9, s57, 0
	v_xor_b32_e32 v15, v43, v15
	;; [unrolled: 8-line block ×5, first 2 shown]
	v_xor_b32_e32 v15, v15, v16
	v_xor_b32_e32 v9, v49, v9
	;; [unrolled: 1-line block ×3, first 2 shown]
	v_add_u32_e32 v51, 0x1fd5c5a3, v13
	v_mad_u64_u32 v[14:15], s[6:7], v15, s62, 0
	v_xor_b32_e32 v15, v51, v15
	v_xor_b32_e32 v8, v15, v8
	v_add_u32_e32 v50, 0x5384540f, v12
	v_mad_u64_u32 v[20:21], s[6:7], v9, s57, 0
	v_add_co_u32_e32 v36, vcc, s63, v12
	v_mad_u64_u32 v[16:17], s[6:7], v8, s57, 0
	v_xor_b32_e32 v9, v50, v21
	v_xor_b32_e32 v8, v36, v17
	;; [unrolled: 1-line block ×4, first 2 shown]
	v_mad_u64_u32 v[18:19], s[6:7], v9, s62, 0
	v_mad_u64_u32 v[8:9], s[6:7], v8, s62, 0
	v_add_u32_e32 v37, 0x96a522ad, v13
	v_xor_b32_e32 v9, v9, v18
	v_xor_b32_e32 v35, v37, v9
	v_add_co_u32_e32 v9, vcc, 1, v22
	v_cndmask_b32_e64 v18, 0, 1, vcc
	v_addc_co_u32_e32 v24, vcc, 0, v23, vcc
	v_cmp_eq_u32_e32 vcc, 0, v24
	v_cndmask_b32_e32 v18, 0, v18, vcc
	v_add_u32_e32 v22, v18, v1
	v_cmp_eq_u32_e32 vcc, 0, v22
	v_mad_u64_u32 v[20:21], s[6:7], v9, s62, 0
	v_mad_u64_u32 v[22:23], s[6:7], v22, s57, 0
	v_add_u32_e32 v17, 0x8ff34781, v12
	v_cndmask_b32_e32 v18, 0, v18, vcc
	v_xor_b32_e32 v9, v23, v12
	v_xor_b32_e32 v12, v21, v13
	v_xor_b32_e32 v18, v18, v12
	v_xor_b32_e32 v9, v24, v9
	v_mad_u64_u32 v[24:25], s[6:7], v18, s57, 0
	v_add_u32_e32 v15, 0xdb3d7428, v13
	v_mad_u64_u32 v[12:13], s[6:7], v9, s62, 0
	v_xor_b32_e32 v9, v38, v25
	v_xor_b32_e32 v9, v9, v22
	v_xor_b32_e32 v13, v39, v13
	v_xor_b32_e32 v13, v13, v20
	v_mad_u64_u32 v[20:21], s[6:7], v9, s62, 0
	v_mad_u64_u32 v[22:23], s[6:7], v13, s57, 0
	v_xor_b32_e32 v13, v41, v21
	v_xor_b32_e32 v9, v40, v23
	v_xor_b32_e32 v18, v13, v12
	v_xor_b32_e32 v9, v9, v24
	v_mad_u64_u32 v[24:25], s[6:7], v18, s57, 0
	;; [unrolled: 6-line block ×7, first 2 shown]
	v_xor_b32_e32 v9, v15, v23
	v_xor_b32_e32 v9, v9, v12
	v_mad_u64_u32 v[24:25], s[6:7], v13, s57, 0
	v_mad_u64_u32 v[12:13], s[6:7], v9, s57, 0
	v_xor_b32_e32 v9, v13, v24
	v_xor_b32_e32 v9, v17, v9
	v_cmp_lt_i32_e32 vcc, 1, v34
                                        ; implicit-def: $vgpr21
	s_and_saveexec_b64 s[6:7], vcc
	s_xor_b64 s[6:7], exec, s[6:7]
	s_cbranch_execz .LBB89_19
; %bb.14:                               ;   in Loop: Header=BB89_3 Depth=1
	v_cmp_lt_i32_e32 vcc, 2, v34
                                        ; implicit-def: $vgpr21
	s_and_saveexec_b64 s[42:43], vcc
	s_xor_b64 s[42:43], exec, s[42:43]
; %bb.15:                               ;   in Loop: Header=BB89_3 Depth=1
	v_xor_b32_e32 v13, v36, v25
	v_xor_b32_e32 v13, v13, v20
	v_mul_hi_u32 v13, v13, s62
	v_xor_b32_e32 v13, v13, v22
	v_xor_b32_e32 v21, v37, v13
                                        ; implicit-def: $vgpr35
; %bb.16:                               ;   in Loop: Header=BB89_3 Depth=1
	s_andn2_saveexec_b64 s[42:43], s[42:43]
; %bb.17:                               ;   in Loop: Header=BB89_3 Depth=1
	v_mov_b32_e32 v21, v12
	v_mov_b32_e32 v12, v9
	;; [unrolled: 1-line block ×4, first 2 shown]
; %bb.18:                               ;   in Loop: Header=BB89_3 Depth=1
	s_or_b64 exec, exec, s[42:43]
                                        ; implicit-def: $vgpr14_vgpr15
                                        ; implicit-def: $vgpr16_vgpr17
                                        ; implicit-def: $vgpr34
                                        ; implicit-def: $vgpr35
                                        ; implicit-def: $vgpr18_vgpr19
                                        ; implicit-def: $vgpr15
                                        ; implicit-def: $vgpr17
.LBB89_19:                              ;   in Loop: Header=BB89_3 Depth=1
	s_andn2_saveexec_b64 s[6:7], s[6:7]
	s_cbranch_execz .LBB89_23
; %bb.20:                               ;   in Loop: Header=BB89_3 Depth=1
	v_xor_b32_e32 v12, v15, v19
	v_xor_b32_e32 v12, v12, v14
	v_mad_u64_u32 v[14:15], s[42:43], v12, s57, 0
	v_xor_b32_e32 v12, v15, v16
	v_xor_b32_e32 v13, v17, v12
	v_cmp_eq_u32_e32 vcc, 1, v34
	v_mov_b32_e32 v21, v8
	v_mov_b32_e32 v12, v35
	;; [unrolled: 1-line block ×3, first 2 shown]
	s_and_saveexec_b64 s[42:43], vcc
; %bb.21:                               ;   in Loop: Header=BB89_3 Depth=1
	v_mov_b32_e32 v21, v9
	v_mov_b32_e32 v12, v8
	;; [unrolled: 1-line block ×4, first 2 shown]
; %bb.22:                               ;   in Loop: Header=BB89_3 Depth=1
	s_or_b64 exec, exec, s[42:43]
	v_mov_b32_e32 v8, v13
	v_mov_b32_e32 v9, v15
.LBB89_23:                              ;   in Loop: Header=BB89_3 Depth=1
	s_or_b64 exec, exec, s[6:7]
	v_min_i32_e32 v13, 4, v7
	v_cmp_lt_i32_e32 vcc, 2, v13
	s_mov_b64 s[42:43], 0
	s_mov_b64 s[52:53], 0
                                        ; implicit-def: $sgpr6_sgpr7
                                        ; implicit-def: $sgpr44_sgpr45
                                        ; implicit-def: $sgpr46_sgpr47
	s_and_saveexec_b64 s[48:49], vcc
	s_xor_b64 s[48:49], exec, s[48:49]
	s_cbranch_execz .LBB89_33
; %bb.24:                               ;   in Loop: Header=BB89_3 Depth=1
	v_cmp_lt_i32_e32 vcc, 3, v13
	s_mov_b64 s[6:7], -1
                                        ; implicit-def: $sgpr44_sgpr45
                                        ; implicit-def: $sgpr50_sgpr51
	s_and_saveexec_b64 s[46:47], vcc
	s_cbranch_execz .LBB89_28
; %bb.25:                               ;   in Loop: Header=BB89_3 Depth=1
	s_waitcnt vmcnt(0)
	v_cmp_le_f32_e32 vcc, 0, v4
	v_cmp_ge_f32_e64 s[6:7], 1.0, v4
	s_and_b64 s[52:53], vcc, s[6:7]
	s_mov_b64 s[44:45], 0
	s_mov_b64 s[6:7], 0
	s_and_saveexec_b64 s[50:51], s[52:53]
	s_cbranch_execz .LBB89_27
; %bb.26:                               ;   in Loop: Header=BB89_3 Depth=1
	v_cvt_f32_u32_e32 v14, v21
	v_mov_b32_e32 v15, 0x2f800000
	v_lshlrev_b64 v[10:11], 1, v[10:11]
	v_add_co_u32_e32 v10, vcc, s12, v10
	v_fmac_f32_e32 v15, 0x2f800000, v14
	v_mov_b32_e32 v14, s13
	v_addc_co_u32_e32 v11, vcc, v14, v11, vcc
	v_cmp_le_f32_e32 vcc, v15, v4
	s_mov_b64 s[6:7], exec
	v_cndmask_b32_e32 v4, 0, v30, vcc
	global_store_short v[10:11], v4, off
.LBB89_27:                              ;   in Loop: Header=BB89_3 Depth=1
	s_or_b64 exec, exec, s[50:51]
	s_mov_b64 s[50:51], -1
	s_orn2_b64 s[6:7], s[6:7], exec
.LBB89_28:                              ;   in Loop: Header=BB89_3 Depth=1
	s_or_b64 exec, exec, s[46:47]
	s_mov_b64 s[52:53], 0
	s_mov_b64 s[54:55], s[44:45]
	s_and_saveexec_b64 s[46:47], s[6:7]
	s_cbranch_execz .LBB89_32
; %bb.29:                               ;   in Loop: Header=BB89_3 Depth=1
	s_waitcnt vmcnt(1)
	v_cmp_le_f32_e32 vcc, 0, v33
	v_cmp_ge_f32_e64 s[6:7], 1.0, v33
	s_and_b64 s[52:53], vcc, s[6:7]
	s_mov_b64 s[6:7], 0
	s_and_saveexec_b64 s[54:55], s[52:53]
	s_xor_b64 s[52:53], exec, s[54:55]
	s_cbranch_execz .LBB89_31
; %bb.30:                               ;   in Loop: Header=BB89_3 Depth=1
	s_waitcnt vmcnt(0)
	v_cvt_f32_u32_e32 v4, v12
	v_mov_b32_e32 v12, 0x2f800000
	v_add_u32_e32 v10, s58, v28
	s_mov_b64 s[6:7], exec
	v_fmac_f32_e32 v12, 0x2f800000, v4
	v_cndmask_b32_e64 v4, 0, v10, s[4:5]
	v_lshlrev_b64 v[10:11], 1, v[4:5]
	v_mov_b32_e32 v4, s13
	v_add_co_u32_e32 v10, vcc, s12, v10
	v_addc_co_u32_e32 v11, vcc, v4, v11, vcc
	v_cmp_le_f32_e32 vcc, v12, v33
	v_cndmask_b32_e32 v4, 0, v30, vcc
	global_store_short v[10:11], v4, off
.LBB89_31:                              ;   in Loop: Header=BB89_3 Depth=1
	s_or_b64 exec, exec, s[52:53]
	s_andn2_b64 s[54:55], s[44:45], exec
	s_or_b64 s[44:45], s[44:45], exec
	s_andn2_b64 s[50:51], s[50:51], exec
	s_and_b64 s[52:53], s[6:7], exec
.LBB89_32:                              ;   in Loop: Header=BB89_3 Depth=1
	s_or_b64 exec, exec, s[46:47]
	s_and_b64 s[46:47], s[54:55], exec
	s_and_b64 s[44:45], s[44:45], exec
	;; [unrolled: 1-line block ×4, first 2 shown]
.LBB89_33:                              ;   in Loop: Header=BB89_3 Depth=1
	s_andn2_saveexec_b64 s[4:5], s[48:49]
; %bb.34:                               ;   in Loop: Header=BB89_3 Depth=1
	v_cmp_lt_i32_e32 vcc, 1, v13
	s_andn2_b64 s[48:49], s[52:53], exec
	s_and_b64 s[50:51], vcc, exec
	s_mov_b64 s[42:43], exec
	s_andn2_b64 s[46:47], s[46:47], exec
	s_andn2_b64 s[44:45], s[44:45], exec
	;; [unrolled: 1-line block ×3, first 2 shown]
	s_or_b64 s[52:53], s[48:49], s[50:51]
; %bb.35:                               ;   in Loop: Header=BB89_3 Depth=1
	s_or_b64 exec, exec, s[4:5]
	s_mov_b64 s[48:49], 0
	s_mov_b64 s[50:51], 0
	;; [unrolled: 1-line block ×3, first 2 shown]
	s_and_saveexec_b64 s[54:55], s[52:53]
	s_cbranch_execnz .LBB89_38
; %bb.36:                               ;   in Loop: Header=BB89_3 Depth=1
	s_or_b64 exec, exec, s[54:55]
	s_and_saveexec_b64 s[2:3], s[42:43]
	s_cbranch_execnz .LBB89_41
.LBB89_37:                              ;   in Loop: Header=BB89_3 Depth=1
	s_or_b64 exec, exec, s[2:3]
	s_and_saveexec_b64 s[42:43], s[50:51]
	s_cbranch_execnz .LBB89_42
	s_branch .LBB89_45
.LBB89_38:                              ;   in Loop: Header=BB89_3 Depth=1
	s_waitcnt vmcnt(2)
	v_cmp_le_f32_e32 vcc, 0, v32
	v_cmp_ge_f32_e64 s[4:5], 1.0, v32
	s_and_b64 s[4:5], vcc, s[4:5]
	s_and_saveexec_b64 s[52:53], s[4:5]
	s_xor_b64 s[4:5], exec, s[52:53]
	s_cbranch_execz .LBB89_40
; %bb.39:                               ;   in Loop: Header=BB89_3 Depth=1
	s_waitcnt vmcnt(0)
	v_cvt_f32_u32_e32 v4, v9
	v_mov_b32_e32 v9, 0x2f800000
	v_add_u32_e32 v10, s58, v27
	s_mov_b64 s[50:51], exec
	v_fmac_f32_e32 v9, 0x2f800000, v4
	v_cndmask_b32_e64 v4, 0, v10, s[2:3]
	v_lshlrev_b64 v[10:11], 1, v[4:5]
	v_mov_b32_e32 v4, s13
	v_add_co_u32_e32 v10, vcc, s12, v10
	v_addc_co_u32_e32 v11, vcc, v4, v11, vcc
	v_cmp_le_f32_e32 vcc, v9, v32
	v_cndmask_b32_e32 v4, 0, v30, vcc
	global_store_short v[10:11], v4, off
.LBB89_40:                              ;   in Loop: Header=BB89_3 Depth=1
	s_or_b64 exec, exec, s[4:5]
	s_andn2_b64 s[4:5], s[46:47], exec
	s_or_b64 s[46:47], s[46:47], exec
	s_andn2_b64 s[44:45], s[44:45], exec
	s_andn2_b64 s[6:7], s[6:7], exec
	s_and_b64 s[50:51], s[50:51], exec
	s_andn2_b64 s[42:43], s[42:43], exec
	s_or_b64 exec, exec, s[54:55]
	s_and_saveexec_b64 s[2:3], s[42:43]
	s_cbranch_execz .LBB89_37
.LBB89_41:                              ;   in Loop: Header=BB89_3 Depth=1
	v_cmp_eq_u32_e32 vcc, 1, v13
	s_andn2_b64 s[42:43], s[50:51], exec
	s_and_b64 s[50:51], vcc, exec
	s_mov_b64 s[48:49], exec
	s_andn2_b64 s[4:5], s[4:5], exec
	s_andn2_b64 s[46:47], s[46:47], exec
	;; [unrolled: 1-line block ×4, first 2 shown]
	s_or_b64 s[50:51], s[42:43], s[50:51]
	s_or_b64 exec, exec, s[2:3]
	s_and_saveexec_b64 s[42:43], s[50:51]
	s_cbranch_execz .LBB89_45
.LBB89_42:                              ;   in Loop: Header=BB89_3 Depth=1
	s_waitcnt vmcnt(3)
	v_cmp_le_f32_e32 vcc, 0, v31
	v_cmp_ge_f32_e64 s[2:3], 1.0, v31
	s_and_b64 s[52:53], vcc, s[2:3]
	s_mov_b64 s[2:3], 0
	s_and_saveexec_b64 s[50:51], s[52:53]
	s_cbranch_execz .LBB89_44
; %bb.43:                               ;   in Loop: Header=BB89_3 Depth=1
	s_waitcnt vmcnt(0)
	v_cvt_f32_u32_e32 v4, v8
	v_mov_b32_e32 v10, 0x2f800000
	v_add_u32_e32 v8, s58, v26
	s_mov_b64 s[2:3], exec
	v_fmac_f32_e32 v10, 0x2f800000, v4
	v_cndmask_b32_e64 v4, 0, v8, s[0:1]
	v_lshlrev_b64 v[8:9], 1, v[4:5]
	v_mov_b32_e32 v4, s13
	v_add_co_u32_e32 v8, vcc, s12, v8
	v_addc_co_u32_e32 v9, vcc, v4, v9, vcc
	v_cmp_le_f32_e32 vcc, v10, v31
	v_cndmask_b32_e32 v4, 0, v30, vcc
	global_store_short v[8:9], v4, off
.LBB89_44:                              ;   in Loop: Header=BB89_3 Depth=1
	s_or_b64 exec, exec, s[50:51]
	s_andn2_b64 s[0:1], s[48:49], exec
	s_and_b64 s[2:3], s[2:3], exec
	s_or_b64 s[4:5], s[4:5], exec
	s_andn2_b64 s[46:47], s[46:47], exec
	s_andn2_b64 s[44:45], s[44:45], exec
	;; [unrolled: 1-line block ×3, first 2 shown]
	s_or_b64 s[48:49], s[0:1], s[2:3]
.LBB89_45:                              ;   in Loop: Header=BB89_3 Depth=1
	s_or_b64 exec, exec, s[42:43]
	s_andn2_b64 s[2:3], s[40:41], exec
	s_and_b64 s[4:5], s[4:5], exec
	s_or_b64 s[40:41], s[2:3], s[4:5]
	s_andn2_b64 s[2:3], s[38:39], exec
	s_and_b64 s[4:5], s[46:47], exec
	s_or_b64 s[38:39], s[2:3], s[4:5]
	;; [unrolled: 3-line block ×3, first 2 shown]
	s_andn2_b64 s[2:3], s[34:35], exec
	s_and_b64 s[4:5], s[6:7], exec
	s_mov_b64 s[0:1], -1
	s_or_b64 s[34:35], s[2:3], s[4:5]
	s_and_saveexec_b64 s[2:3], s[48:49]
	s_cbranch_execz .LBB89_2
; %bb.46:                               ;   in Loop: Header=BB89_3 Depth=1
	v_add_u32_e32 v0, s59, v0
	v_cmp_le_u32_e32 vcc, s33, v0
	v_subrev_u32_e32 v7, s59, v7
	s_add_i32 s58, s58, s61
	s_andn2_b64 s[40:41], s[40:41], exec
	s_andn2_b64 s[38:39], s[38:39], exec
	;; [unrolled: 1-line block ×4, first 2 shown]
	s_orn2_b64 s[0:1], vcc, exec
	s_branch .LBB89_2
.LBB89_47:
	s_or_b64 exec, exec, s[24:25]
	s_xor_b64 s[6:7], s[30:31], -1
	s_xor_b64 s[8:9], s[28:29], -1
	;; [unrolled: 1-line block ×3, first 2 shown]
	s_mov_b64 s[2:3], 0
	s_and_saveexec_b64 s[4:5], s[0:1]
	s_xor_b64 s[0:1], exec, s[4:5]
	s_cbranch_execnz .LBB89_52
; %bb.48:
	s_andn2_saveexec_b64 s[0:1], s[0:1]
	s_cbranch_execnz .LBB89_60
.LBB89_49:
	s_or_b64 exec, exec, s[0:1]
	s_and_b64 exec, exec, s[2:3]
.LBB89_50:
	; divergent unreachable
.LBB89_51:
	s_endpgm
.LBB89_52:
	s_mov_b64 s[4:5], 0
	s_and_saveexec_b64 s[2:3], s[8:9]
	s_xor_b64 s[2:3], exec, s[2:3]
	s_cbranch_execz .LBB89_58
; %bb.53:
	s_and_saveexec_b64 s[8:9], s[6:7]
	s_xor_b64 s[6:7], exec, s[8:9]
	s_cbranch_execz .LBB89_56
; %bb.54:
	s_and_saveexec_b64 s[8:9], s[20:21]
	s_xor_b64 s[8:9], exec, s[8:9]
	s_cbranch_execnz .LBB89_63
.LBB89_55:
	s_or_b64 exec, exec, s[8:9]
	s_and_b64 s[4:5], s[4:5], exec
.LBB89_56:
	s_andn2_saveexec_b64 s[6:7], s[6:7]
	s_cbranch_execnz .LBB89_62
.LBB89_57:
	s_or_b64 exec, exec, s[6:7]
	s_and_b64 s[4:5], s[4:5], exec
.LBB89_58:
	s_andn2_saveexec_b64 s[2:3], s[2:3]
	s_cbranch_execnz .LBB89_61
.LBB89_59:
	s_or_b64 exec, exec, s[2:3]
	s_and_b64 s[2:3], s[4:5], exec
	s_andn2_saveexec_b64 s[0:1], s[0:1]
	s_cbranch_execz .LBB89_49
.LBB89_60:
	s_or_b64 s[2:3], s[2:3], exec
	s_trap 2
	s_or_b64 exec, exec, s[0:1]
	s_and_b64 exec, exec, s[2:3]
	s_cbranch_execnz .LBB89_50
	s_branch .LBB89_51
.LBB89_61:
	s_or_b64 s[4:5], s[4:5], exec
	s_trap 2
	s_branch .LBB89_59
.LBB89_62:
	s_trap 2
	s_or_b64 s[4:5], s[4:5], exec
	s_branch .LBB89_57
.LBB89_63:
	s_mov_b64 s[4:5], exec
	s_trap 2
	s_branch .LBB89_55
	.section	.rodata,"a",@progbits
	.p2align	6, 0x0
	.amdhsa_kernel _ZN2at4cuda12_GLOBAL__N_121kernelPointwiseApply2IZNS_6native9templates4cuda28bernoulli_tensor_cuda_kernelIN3c104HalfEfEEvRKNS_10TensorBaseESB_NS_15PhiloxCudaStateEEUliRS8_SD_SD_SD_RKfSF_SF_SF_E_S8_SE_jLi1ELi2ELi4ELi512ELi2EEEvNS0_6detail10TensorInfoIT0_T2_EENSI_IT1_SK_EESK_T_
		.amdhsa_group_segment_fixed_size 0
		.amdhsa_private_segment_fixed_size 0
		.amdhsa_kernarg_size 728
		.amdhsa_user_sgpr_count 6
		.amdhsa_user_sgpr_private_segment_buffer 1
		.amdhsa_user_sgpr_dispatch_ptr 0
		.amdhsa_user_sgpr_queue_ptr 0
		.amdhsa_user_sgpr_kernarg_segment_ptr 1
		.amdhsa_user_sgpr_dispatch_id 0
		.amdhsa_user_sgpr_flat_scratch_init 0
		.amdhsa_user_sgpr_kernarg_preload_length 0
		.amdhsa_user_sgpr_kernarg_preload_offset 0
		.amdhsa_user_sgpr_private_segment_size 0
		.amdhsa_uses_dynamic_stack 0
		.amdhsa_system_sgpr_private_segment_wavefront_offset 0
		.amdhsa_system_sgpr_workgroup_id_x 1
		.amdhsa_system_sgpr_workgroup_id_y 0
		.amdhsa_system_sgpr_workgroup_id_z 0
		.amdhsa_system_sgpr_workgroup_info 0
		.amdhsa_system_vgpr_workitem_id 0
		.amdhsa_next_free_vgpr 52
		.amdhsa_next_free_sgpr 64
		.amdhsa_accum_offset 52
		.amdhsa_reserve_vcc 1
		.amdhsa_reserve_flat_scratch 0
		.amdhsa_float_round_mode_32 0
		.amdhsa_float_round_mode_16_64 0
		.amdhsa_float_denorm_mode_32 3
		.amdhsa_float_denorm_mode_16_64 3
		.amdhsa_dx10_clamp 1
		.amdhsa_ieee_mode 1
		.amdhsa_fp16_overflow 0
		.amdhsa_tg_split 0
		.amdhsa_exception_fp_ieee_invalid_op 0
		.amdhsa_exception_fp_denorm_src 0
		.amdhsa_exception_fp_ieee_div_zero 0
		.amdhsa_exception_fp_ieee_overflow 0
		.amdhsa_exception_fp_ieee_underflow 0
		.amdhsa_exception_fp_ieee_inexact 0
		.amdhsa_exception_int_div_zero 0
	.end_amdhsa_kernel
	.section	.text._ZN2at4cuda12_GLOBAL__N_121kernelPointwiseApply2IZNS_6native9templates4cuda28bernoulli_tensor_cuda_kernelIN3c104HalfEfEEvRKNS_10TensorBaseESB_NS_15PhiloxCudaStateEEUliRS8_SD_SD_SD_RKfSF_SF_SF_E_S8_SE_jLi1ELi2ELi4ELi512ELi2EEEvNS0_6detail10TensorInfoIT0_T2_EENSI_IT1_SK_EESK_T_,"axG",@progbits,_ZN2at4cuda12_GLOBAL__N_121kernelPointwiseApply2IZNS_6native9templates4cuda28bernoulli_tensor_cuda_kernelIN3c104HalfEfEEvRKNS_10TensorBaseESB_NS_15PhiloxCudaStateEEUliRS8_SD_SD_SD_RKfSF_SF_SF_E_S8_SE_jLi1ELi2ELi4ELi512ELi2EEEvNS0_6detail10TensorInfoIT0_T2_EENSI_IT1_SK_EESK_T_,comdat
.Lfunc_end89:
	.size	_ZN2at4cuda12_GLOBAL__N_121kernelPointwiseApply2IZNS_6native9templates4cuda28bernoulli_tensor_cuda_kernelIN3c104HalfEfEEvRKNS_10TensorBaseESB_NS_15PhiloxCudaStateEEUliRS8_SD_SD_SD_RKfSF_SF_SF_E_S8_SE_jLi1ELi2ELi4ELi512ELi2EEEvNS0_6detail10TensorInfoIT0_T2_EENSI_IT1_SK_EESK_T_, .Lfunc_end89-_ZN2at4cuda12_GLOBAL__N_121kernelPointwiseApply2IZNS_6native9templates4cuda28bernoulli_tensor_cuda_kernelIN3c104HalfEfEEvRKNS_10TensorBaseESB_NS_15PhiloxCudaStateEEUliRS8_SD_SD_SD_RKfSF_SF_SF_E_S8_SE_jLi1ELi2ELi4ELi512ELi2EEEvNS0_6detail10TensorInfoIT0_T2_EENSI_IT1_SK_EESK_T_
                                        ; -- End function
	.section	.AMDGPU.csdata,"",@progbits
; Kernel info:
; codeLenInByte = 3024
; NumSgprs: 68
; NumVgprs: 52
; NumAgprs: 0
; TotalNumVgprs: 52
; ScratchSize: 0
; MemoryBound: 0
; FloatMode: 240
; IeeeMode: 1
; LDSByteSize: 0 bytes/workgroup (compile time only)
; SGPRBlocks: 8
; VGPRBlocks: 6
; NumSGPRsForWavesPerEU: 68
; NumVGPRsForWavesPerEU: 52
; AccumOffset: 52
; Occupancy: 8
; WaveLimiterHint : 1
; COMPUTE_PGM_RSRC2:SCRATCH_EN: 0
; COMPUTE_PGM_RSRC2:USER_SGPR: 6
; COMPUTE_PGM_RSRC2:TRAP_HANDLER: 0
; COMPUTE_PGM_RSRC2:TGID_X_EN: 1
; COMPUTE_PGM_RSRC2:TGID_Y_EN: 0
; COMPUTE_PGM_RSRC2:TGID_Z_EN: 0
; COMPUTE_PGM_RSRC2:TIDIG_COMP_CNT: 0
; COMPUTE_PGM_RSRC3_GFX90A:ACCUM_OFFSET: 12
; COMPUTE_PGM_RSRC3_GFX90A:TG_SPLIT: 0
	.section	.text._ZN2at4cuda12_GLOBAL__N_121kernelPointwiseApply2IZNS_6native9templates4cuda28bernoulli_tensor_cuda_kernelIN3c104HalfEfEEvRKNS_10TensorBaseESB_NS_15PhiloxCudaStateEEUliRS8_SD_SD_SD_RKfSF_SF_SF_E_S8_SE_jLi1ELin1ELi4ELi512ELi2EEEvNS0_6detail10TensorInfoIT0_T2_EENSI_IT1_SK_EESK_T_,"axG",@progbits,_ZN2at4cuda12_GLOBAL__N_121kernelPointwiseApply2IZNS_6native9templates4cuda28bernoulli_tensor_cuda_kernelIN3c104HalfEfEEvRKNS_10TensorBaseESB_NS_15PhiloxCudaStateEEUliRS8_SD_SD_SD_RKfSF_SF_SF_E_S8_SE_jLi1ELin1ELi4ELi512ELi2EEEvNS0_6detail10TensorInfoIT0_T2_EENSI_IT1_SK_EESK_T_,comdat
	.globl	_ZN2at4cuda12_GLOBAL__N_121kernelPointwiseApply2IZNS_6native9templates4cuda28bernoulli_tensor_cuda_kernelIN3c104HalfEfEEvRKNS_10TensorBaseESB_NS_15PhiloxCudaStateEEUliRS8_SD_SD_SD_RKfSF_SF_SF_E_S8_SE_jLi1ELin1ELi4ELi512ELi2EEEvNS0_6detail10TensorInfoIT0_T2_EENSI_IT1_SK_EESK_T_ ; -- Begin function _ZN2at4cuda12_GLOBAL__N_121kernelPointwiseApply2IZNS_6native9templates4cuda28bernoulli_tensor_cuda_kernelIN3c104HalfEfEEvRKNS_10TensorBaseESB_NS_15PhiloxCudaStateEEUliRS8_SD_SD_SD_RKfSF_SF_SF_E_S8_SE_jLi1ELin1ELi4ELi512ELi2EEEvNS0_6detail10TensorInfoIT0_T2_EENSI_IT1_SK_EESK_T_
	.p2align	8
	.type	_ZN2at4cuda12_GLOBAL__N_121kernelPointwiseApply2IZNS_6native9templates4cuda28bernoulli_tensor_cuda_kernelIN3c104HalfEfEEvRKNS_10TensorBaseESB_NS_15PhiloxCudaStateEEUliRS8_SD_SD_SD_RKfSF_SF_SF_E_S8_SE_jLi1ELin1ELi4ELi512ELi2EEEvNS0_6detail10TensorInfoIT0_T2_EENSI_IT1_SK_EESK_T_,@function
_ZN2at4cuda12_GLOBAL__N_121kernelPointwiseApply2IZNS_6native9templates4cuda28bernoulli_tensor_cuda_kernelIN3c104HalfEfEEvRKNS_10TensorBaseESB_NS_15PhiloxCudaStateEEUliRS8_SD_SD_SD_RKfSF_SF_SF_E_S8_SE_jLi1ELin1ELi4ELi512ELi2EEEvNS0_6detail10TensorInfoIT0_T2_EENSI_IT1_SK_EESK_T_: ; @_ZN2at4cuda12_GLOBAL__N_121kernelPointwiseApply2IZNS_6native9templates4cuda28bernoulli_tensor_cuda_kernelIN3c104HalfEfEEvRKNS_10TensorBaseESB_NS_15PhiloxCudaStateEEUliRS8_SD_SD_SD_RKfSF_SF_SF_E_S8_SE_jLi1ELin1ELi4ELi512ELi2EEEvNS0_6detail10TensorInfoIT0_T2_EENSI_IT1_SK_EESK_T_
; %bb.0:
	s_load_dword s2, s[4:5], 0x1e4
	s_load_dword s33, s[4:5], 0x1b0
	s_add_u32 s0, s4, 0x1d8
	s_addc_u32 s1, s5, 0
	s_waitcnt lgkmcnt(0)
	s_and_b32 s2, s2, 0xffff
	s_mul_i32 s6, s6, s2
	v_add_u32_e32 v5, s6, v0
	v_lshlrev_b32_e32 v24, 2, v5
	v_cmp_gt_u32_e32 vcc, s33, v24
	s_and_saveexec_b64 s[6:7], vcc
	s_cbranch_execz .LBB90_65
; %bb.1:
	s_load_dword s3, s[0:1], 0x0
	s_load_dwordx4 s[12:15], s[4:5], 0x1b8
	s_load_dword s8, s[4:5], 0x1a8
	s_load_dwordx2 s[10:11], s[4:5], 0x0
	s_load_dword s60, s[4:5], 0x6c
	s_waitcnt lgkmcnt(0)
	s_mul_i32 s9, s3, s2
	s_load_dwordx2 s[16:17], s[4:5], 0x1c8
	s_load_dword s2, s[4:5], 0x1d0
	s_add_u32 s6, s4, 0xd8
	s_addc_u32 s7, s5, 0
	s_cmp_gt_i32 s8, 1
	s_mov_b32 s62, 0xcd9e8d57
	s_cselect_b64 s[0:1], -1, 0
	s_waitcnt lgkmcnt(0)
	s_bitcmp1_b32 s2, 0
	v_mad_u64_u32 v[0:1], s[2:3], v5, s62, 0
	s_cselect_b64 s[22:23], -1, 0
	s_add_i32 s2, s8, -1
	s_mov_b32 s3, 0
	s_load_dword s61, s[4:5], 0x144
	s_load_dwordx2 s[18:19], s[4:5], 0xd8
	s_lshl_b32 s63, s9, 2
	s_add_i32 s64, s8, 1
	s_lshl_b64 s[2:3], s[2:3], 2
	s_add_u32 s2, s2, s6
	s_addc_u32 s3, s3, s7
	v_mov_b32_e32 v4, v1
	s_add_u32 s24, s2, 8
	v_cndmask_b32_e64 v1, 0, 1, s[0:1]
	v_mov_b32_e32 v3, 0
	s_addc_u32 s25, s3, 0
	s_mov_b64 s[26:27], 0
	s_mov_b32 s65, 0xd2511f53
	v_cmp_ne_u32_e64 s[0:1], 1, v1
	s_mov_b32 s66, 0xf1bbcdc8
	v_mov_b32_e32 v1, 0x3c00
                                        ; implicit-def: $sgpr28_sgpr29
                                        ; implicit-def: $sgpr30_sgpr31
                                        ; implicit-def: $sgpr34_sgpr35
                                        ; implicit-def: $sgpr20_sgpr21
                                        ; implicit-def: $sgpr36_sgpr37
                                        ; implicit-def: $sgpr38_sgpr39
                                        ; implicit-def: $sgpr40_sgpr41
                                        ; implicit-def: $sgpr42_sgpr43
	s_branch .LBB90_3
.LBB90_2:                               ;   in Loop: Header=BB90_3 Depth=1
	s_or_b64 exec, exec, s[4:5]
	s_and_b64 s[2:3], exec, s[2:3]
	s_or_b64 s[26:27], s[2:3], s[26:27]
	s_andn2_b64 s[2:3], s[20:21], exec
	s_and_b64 s[4:5], s[42:43], exec
	s_or_b64 s[20:21], s[2:3], s[4:5]
	s_andn2_b64 s[2:3], s[34:35], exec
	s_and_b64 s[4:5], s[40:41], exec
	;; [unrolled: 3-line block ×4, first 2 shown]
	s_or_b64 s[28:29], s[2:3], s[4:5]
	s_andn2_b64 exec, exec, s[26:27]
	s_cbranch_execz .LBB90_61
.LBB90_3:                               ; =>This Loop Header: Depth=1
                                        ;     Child Loop BB90_6 Depth 2
                                        ;     Child Loop BB90_11 Depth 2
	;; [unrolled: 1-line block ×4, first 2 shown]
	v_sub_u32_e32 v26, s33, v24
	v_cmp_lt_i32_e64 s[2:3], 0, v26
	s_waitcnt vmcnt(0)
	v_mov_b32_e32 v2, 0
	s_and_saveexec_b64 s[4:5], s[2:3]
	s_cbranch_execz .LBB90_8
; %bb.4:                                ;   in Loop: Header=BB90_3 Depth=1
	s_and_b64 vcc, exec, s[0:1]
	v_mov_b32_e32 v6, 0
	v_mov_b32_e32 v2, v24
	s_cbranch_vccnz .LBB90_7
; %bb.5:                                ;   in Loop: Header=BB90_3 Depth=1
	v_mov_b32_e32 v6, 0
	s_mov_b64 s[6:7], s[24:25]
	s_mov_b32 s8, s64
	v_mov_b32_e32 v2, v24
.LBB90_6:                               ;   Parent Loop BB90_3 Depth=1
                                        ; =>  This Inner Loop Header: Depth=2
	s_load_dword s9, s[6:7], 0x0
	s_load_dword s44, s[6:7], 0x64
	v_mov_b32_e32 v7, v2
	s_add_i32 s8, s8, -1
	s_waitcnt lgkmcnt(0)
	v_cvt_f32_u32_e32 v2, s9
	s_sub_i32 s45, 0, s9
	s_add_u32 s6, s6, -4
	s_addc_u32 s7, s7, -1
	v_rcp_iflag_f32_e32 v2, v2
	s_cmp_gt_u32 s8, 2
	v_mul_f32_e32 v2, 0x4f7ffffe, v2
	v_cvt_u32_f32_e32 v2, v2
	v_mul_lo_u32 v8, s45, v2
	v_mul_hi_u32 v8, v2, v8
	v_add_u32_e32 v2, v2, v8
	v_mul_hi_u32 v2, v7, v2
	v_mul_lo_u32 v8, v2, s9
	v_sub_u32_e32 v8, v7, v8
	v_add_u32_e32 v9, 1, v2
	v_cmp_le_u32_e32 vcc, s9, v8
	v_cndmask_b32_e32 v2, v2, v9, vcc
	v_subrev_u32_e32 v9, s9, v8
	v_cndmask_b32_e32 v8, v8, v9, vcc
	v_add_u32_e32 v9, 1, v2
	v_cmp_le_u32_e32 vcc, s9, v8
	v_cndmask_b32_e32 v2, v2, v9, vcc
	v_mul_lo_u32 v8, v2, s9
	v_sub_u32_e32 v7, v7, v8
	v_mad_u64_u32 v[6:7], s[44:45], s44, v7, v[6:7]
	s_cbranch_scc1 .LBB90_6
.LBB90_7:                               ;   in Loop: Header=BB90_3 Depth=1
	s_waitcnt lgkmcnt(0)
	v_mad_u64_u32 v[6:7], s[6:7], s61, v2, v[6:7]
	v_mov_b32_e32 v2, v6
.LBB90_8:                               ;   in Loop: Header=BB90_3 Depth=1
	s_or_b64 exec, exec, s[4:5]
	v_cmp_lt_i32_e64 s[4:5], 1, v26
	v_pk_mov_b32 v[6:7], 0, 0
	s_and_saveexec_b64 s[6:7], s[4:5]
	s_cbranch_execz .LBB90_13
; %bb.9:                                ;   in Loop: Header=BB90_3 Depth=1
	v_or_b32_e32 v8, 1, v24
	s_and_b64 vcc, exec, s[0:1]
	v_mov_b32_e32 v6, 0
	s_cbranch_vccnz .LBB90_12
; %bb.10:                               ;   in Loop: Header=BB90_3 Depth=1
	v_mov_b32_e32 v6, 0
	s_mov_b64 s[8:9], s[24:25]
	s_mov_b32 s44, s64
.LBB90_11:                              ;   Parent Loop BB90_3 Depth=1
                                        ; =>  This Inner Loop Header: Depth=2
	s_load_dword s45, s[8:9], 0x0
	s_load_dword s46, s[8:9], 0x64
	v_mov_b32_e32 v7, v8
	s_add_i32 s44, s44, -1
	s_waitcnt lgkmcnt(0)
	v_cvt_f32_u32_e32 v8, s45
	s_sub_i32 s47, 0, s45
	s_add_u32 s8, s8, -4
	s_addc_u32 s9, s9, -1
	v_rcp_iflag_f32_e32 v8, v8
	s_cmp_gt_u32 s44, 2
	v_mul_f32_e32 v8, 0x4f7ffffe, v8
	v_cvt_u32_f32_e32 v8, v8
	v_mul_lo_u32 v9, s47, v8
	v_mul_hi_u32 v9, v8, v9
	v_add_u32_e32 v8, v8, v9
	v_mul_hi_u32 v8, v7, v8
	v_mul_lo_u32 v9, v8, s45
	v_sub_u32_e32 v9, v7, v9
	v_add_u32_e32 v10, 1, v8
	v_cmp_le_u32_e32 vcc, s45, v9
	v_cndmask_b32_e32 v8, v8, v10, vcc
	v_subrev_u32_e32 v10, s45, v9
	v_cndmask_b32_e32 v9, v9, v10, vcc
	v_add_u32_e32 v10, 1, v8
	v_cmp_le_u32_e32 vcc, s45, v9
	v_cndmask_b32_e32 v8, v8, v10, vcc
	v_mul_lo_u32 v9, v8, s45
	v_sub_u32_e32 v7, v7, v9
	v_mad_u64_u32 v[6:7], s[46:47], s46, v7, v[6:7]
	s_cbranch_scc1 .LBB90_11
.LBB90_12:                              ;   in Loop: Header=BB90_3 Depth=1
	s_waitcnt lgkmcnt(0)
	v_mad_u64_u32 v[6:7], s[8:9], s61, v8, v[6:7]
	v_mov_b32_e32 v7, v3
.LBB90_13:                              ;   in Loop: Header=BB90_3 Depth=1
	s_or_b64 exec, exec, s[6:7]
	v_cmp_lt_i32_e64 s[6:7], 2, v26
	v_pk_mov_b32 v[10:11], 0, 0
	s_and_saveexec_b64 s[8:9], s[6:7]
	s_cbranch_execz .LBB90_18
; %bb.14:                               ;   in Loop: Header=BB90_3 Depth=1
	v_or_b32_e32 v10, 2, v24
	s_and_b64 vcc, exec, s[0:1]
	v_mov_b32_e32 v8, 0
	s_cbranch_vccnz .LBB90_17
; %bb.15:                               ;   in Loop: Header=BB90_3 Depth=1
	v_mov_b32_e32 v8, 0
	s_mov_b64 s[44:45], s[24:25]
	s_mov_b32 s46, s64
.LBB90_16:                              ;   Parent Loop BB90_3 Depth=1
                                        ; =>  This Inner Loop Header: Depth=2
	s_load_dword s47, s[44:45], 0x0
	s_load_dword s48, s[44:45], 0x64
	v_mov_b32_e32 v9, v10
	s_add_i32 s46, s46, -1
	s_waitcnt lgkmcnt(0)
	v_cvt_f32_u32_e32 v10, s47
	s_sub_i32 s49, 0, s47
	s_add_u32 s44, s44, -4
	s_addc_u32 s45, s45, -1
	v_rcp_iflag_f32_e32 v10, v10
	s_cmp_gt_u32 s46, 2
	v_mul_f32_e32 v10, 0x4f7ffffe, v10
	v_cvt_u32_f32_e32 v10, v10
	v_mul_lo_u32 v11, s49, v10
	v_mul_hi_u32 v11, v10, v11
	v_add_u32_e32 v10, v10, v11
	v_mul_hi_u32 v10, v9, v10
	v_mul_lo_u32 v11, v10, s47
	v_sub_u32_e32 v11, v9, v11
	v_add_u32_e32 v12, 1, v10
	v_cmp_le_u32_e32 vcc, s47, v11
	v_cndmask_b32_e32 v10, v10, v12, vcc
	v_subrev_u32_e32 v12, s47, v11
	v_cndmask_b32_e32 v11, v11, v12, vcc
	v_add_u32_e32 v12, 1, v10
	v_cmp_le_u32_e32 vcc, s47, v11
	v_cndmask_b32_e32 v10, v10, v12, vcc
	v_mul_lo_u32 v11, v10, s47
	v_sub_u32_e32 v9, v9, v11
	v_mad_u64_u32 v[8:9], s[48:49], s48, v9, v[8:9]
	s_cbranch_scc1 .LBB90_16
.LBB90_17:                              ;   in Loop: Header=BB90_3 Depth=1
	s_waitcnt lgkmcnt(0)
	v_mad_u64_u32 v[10:11], s[44:45], s61, v10, v[8:9]
	v_mov_b32_e32 v11, v3
.LBB90_18:                              ;   in Loop: Header=BB90_3 Depth=1
	s_or_b64 exec, exec, s[8:9]
	v_mul_lo_u32 v25, v24, s60
	v_add_u32_e32 v27, s60, v25
	v_pk_mov_b32 v[12:13], 0, 0
	v_add_u32_e32 v29, s60, v27
	v_cmp_lt_i32_e32 vcc, 3, v26
	v_pk_mov_b32 v[8:9], v[12:13], v[12:13] op_sel:[0,1]
	s_and_saveexec_b64 s[8:9], vcc
	s_cbranch_execz .LBB90_23
; %bb.19:                               ;   in Loop: Header=BB90_3 Depth=1
	v_or_b32_e32 v14, 3, v24
	s_and_b64 vcc, exec, s[0:1]
	v_mov_b32_e32 v12, 0
	s_cbranch_vccnz .LBB90_22
; %bb.20:                               ;   in Loop: Header=BB90_3 Depth=1
	v_mov_b32_e32 v12, 0
	s_mov_b64 s[44:45], s[24:25]
	s_mov_b32 s46, s64
.LBB90_21:                              ;   Parent Loop BB90_3 Depth=1
                                        ; =>  This Inner Loop Header: Depth=2
	s_load_dword s47, s[44:45], 0x0
	s_load_dword s48, s[44:45], 0x64
	v_mov_b32_e32 v8, v14
	s_add_i32 s46, s46, -1
	s_waitcnt lgkmcnt(0)
	v_cvt_f32_u32_e32 v9, s47
	s_sub_i32 s49, 0, s47
	s_add_u32 s44, s44, -4
	s_addc_u32 s45, s45, -1
	v_rcp_iflag_f32_e32 v9, v9
	s_cmp_gt_u32 s46, 2
	v_mul_f32_e32 v9, 0x4f7ffffe, v9
	v_cvt_u32_f32_e32 v9, v9
	v_mul_lo_u32 v13, s49, v9
	v_mul_hi_u32 v13, v9, v13
	v_add_u32_e32 v9, v9, v13
	v_mul_hi_u32 v9, v8, v9
	v_mul_lo_u32 v13, v9, s47
	v_sub_u32_e32 v13, v8, v13
	v_add_u32_e32 v14, 1, v9
	v_cmp_le_u32_e32 vcc, s47, v13
	v_cndmask_b32_e32 v9, v9, v14, vcc
	v_subrev_u32_e32 v14, s47, v13
	v_cndmask_b32_e32 v13, v13, v14, vcc
	v_add_u32_e32 v14, 1, v9
	v_cmp_le_u32_e32 vcc, s47, v13
	v_cndmask_b32_e32 v14, v9, v14, vcc
	v_mul_lo_u32 v9, v14, s47
	v_sub_u32_e32 v8, v8, v9
	v_mad_u64_u32 v[12:13], s[48:49], s48, v8, v[12:13]
	s_cbranch_scc1 .LBB90_21
.LBB90_22:                              ;   in Loop: Header=BB90_3 Depth=1
	s_waitcnt lgkmcnt(0)
	v_mad_u64_u32 v[12:13], s[44:45], s61, v14, v[12:13]
	v_add_u32_e32 v8, s60, v29
	v_mov_b32_e32 v9, v3
	v_mov_b32_e32 v13, v3
.LBB90_23:                              ;   in Loop: Header=BB90_3 Depth=1
	s_or_b64 exec, exec, s[8:9]
	v_lshlrev_b64 v[14:15], 2, v[2:3]
	s_waitcnt lgkmcnt(0)
	v_mov_b32_e32 v2, s19
	v_add_co_u32_e32 v14, vcc, s18, v14
	v_addc_co_u32_e32 v15, vcc, v2, v15, vcc
	v_lshlrev_b64 v[6:7], 2, v[6:7]
	v_add_co_u32_e32 v6, vcc, s18, v6
	v_addc_co_u32_e32 v7, vcc, v2, v7, vcc
	v_lshlrev_b64 v[10:11], 2, v[10:11]
	;; [unrolled: 3-line block ×3, first 2 shown]
	v_add_co_u32_e32 v12, vcc, s18, v12
	v_addc_co_u32_e32 v13, vcc, v2, v13, vcc
	global_load_dword v28, v[14:15], off
	global_load_dword v30, v[6:7], off
	;; [unrolled: 1-line block ×4, first 2 shown]
	s_andn2_b64 vcc, exec, s[22:23]
	v_pk_mov_b32 v[6:7], s[14:15], s[14:15] op_sel:[0,1]
	v_pk_mov_b32 v[10:11], s[12:13], s[12:13] op_sel:[0,1]
	s_cbranch_vccnz .LBB90_25
; %bb.24:                               ;   in Loop: Header=BB90_3 Depth=1
	v_pk_mov_b32 v[6:7], s[14:15], s[14:15] op_sel:[0,1]
	flat_load_dwordx2 v[6:7], v[6:7]
	v_pk_mov_b32 v[10:11], s[12:13], s[12:13] op_sel:[0,1]
	flat_load_dwordx2 v[10:11], v[10:11]
	v_mov_b32_e32 v12, s17
	s_waitcnt vmcnt(0) lgkmcnt(0)
	v_add_co_u32_e32 v6, vcc, s16, v6
	v_addc_co_u32_e32 v7, vcc, v7, v12, vcc
.LBB90_25:                              ;   in Loop: Header=BB90_3 Depth=1
	v_alignbit_b32 v20, v7, v6, 2
	v_lshrrev_b32_e32 v21, 2, v7
	v_xor_b32_e32 v12, v4, v10
	v_and_b32_e32 v32, 3, v6
	v_mad_u64_u32 v[6:7], s[8:9], v20, s65, 0
	v_xor_b32_e32 v12, v12, v21
	v_xor_b32_e32 v7, v7, v11
	v_add_u32_e32 v37, 0xbb67ae85, v11
	v_mad_u64_u32 v[12:13], s[8:9], v12, s65, 0
	v_mad_u64_u32 v[14:15], s[8:9], v7, s62, 0
	v_xor_b32_e32 v13, v37, v13
	v_add_u32_e32 v36, 0x9e3779b9, v10
	v_xor_b32_e32 v7, v0, v15
	v_xor_b32_e32 v13, v13, v6
	v_xor_b32_e32 v7, v7, v36
	v_add_u32_e32 v38, 0x3c6ef372, v10
	v_mad_u64_u32 v[16:17], s[8:9], v13, s62, 0
	v_add_u32_e32 v39, 0x76cf5d0a, v11
	v_mad_u64_u32 v[6:7], s[8:9], v7, s65, 0
	v_xor_b32_e32 v13, v38, v17
	v_xor_b32_e32 v13, v13, v14
	v_xor_b32_e32 v7, v39, v7
	v_xor_b32_e32 v7, v7, v12
	v_add_u32_e32 v41, 0x32370b8f, v11
	v_mad_u64_u32 v[12:13], s[8:9], v13, s65, 0
	v_add_u32_e32 v40, 0xdaa66d2b, v10
	v_mad_u64_u32 v[14:15], s[8:9], v7, s62, 0
	v_xor_b32_e32 v13, v41, v13
	;; [unrolled: 8-line block ×5, first 2 shown]
	v_xor_b32_e32 v13, v13, v14
	v_xor_b32_e32 v7, v47, v7
	;; [unrolled: 1-line block ×3, first 2 shown]
	v_add_u32_e32 v49, 0x1fd5c5a3, v11
	v_mad_u64_u32 v[12:13], s[8:9], v13, s65, 0
	v_xor_b32_e32 v13, v49, v13
	v_xor_b32_e32 v6, v13, v6
	v_add_u32_e32 v48, 0x5384540f, v10
	v_mad_u64_u32 v[18:19], s[8:9], v7, s62, 0
	v_add_co_u32_e32 v34, vcc, s66, v10
	v_mad_u64_u32 v[14:15], s[8:9], v6, s62, 0
	v_xor_b32_e32 v7, v48, v19
	v_xor_b32_e32 v6, v34, v15
	;; [unrolled: 1-line block ×4, first 2 shown]
	v_mad_u64_u32 v[16:17], s[8:9], v7, s65, 0
	v_mad_u64_u32 v[6:7], s[8:9], v6, s65, 0
	v_add_u32_e32 v35, 0x96a522ad, v11
	v_xor_b32_e32 v7, v7, v16
	v_xor_b32_e32 v33, v35, v7
	v_add_co_u32_e32 v7, vcc, 1, v20
	v_cndmask_b32_e64 v16, 0, 1, vcc
	v_addc_co_u32_e32 v22, vcc, 0, v21, vcc
	v_cmp_eq_u32_e32 vcc, 0, v22
	v_cndmask_b32_e32 v16, 0, v16, vcc
	v_add_u32_e32 v20, v16, v5
	v_cmp_eq_u32_e32 vcc, 0, v20
	v_mad_u64_u32 v[18:19], s[8:9], v7, s65, 0
	v_mad_u64_u32 v[20:21], s[8:9], v20, s62, 0
	v_add_u32_e32 v15, 0x8ff34781, v10
	v_cndmask_b32_e32 v16, 0, v16, vcc
	v_xor_b32_e32 v7, v21, v10
	v_xor_b32_e32 v10, v19, v11
	;; [unrolled: 1-line block ×4, first 2 shown]
	v_mad_u64_u32 v[22:23], s[8:9], v16, s62, 0
	v_add_u32_e32 v13, 0xdb3d7428, v11
	v_mad_u64_u32 v[10:11], s[8:9], v7, s65, 0
	v_xor_b32_e32 v7, v36, v23
	v_xor_b32_e32 v7, v7, v20
	v_xor_b32_e32 v11, v37, v11
	v_xor_b32_e32 v11, v11, v18
	v_mad_u64_u32 v[18:19], s[8:9], v7, s65, 0
	v_mad_u64_u32 v[20:21], s[8:9], v11, s62, 0
	v_xor_b32_e32 v11, v39, v19
	v_xor_b32_e32 v7, v38, v21
	v_xor_b32_e32 v16, v11, v10
	v_xor_b32_e32 v7, v7, v22
	v_mad_u64_u32 v[22:23], s[8:9], v16, s62, 0
	;; [unrolled: 6-line block ×7, first 2 shown]
	v_xor_b32_e32 v7, v13, v21
	v_xor_b32_e32 v7, v7, v10
	v_mad_u64_u32 v[22:23], s[8:9], v11, s62, 0
	v_mad_u64_u32 v[10:11], s[8:9], v7, s62, 0
	v_xor_b32_e32 v7, v11, v22
	v_xor_b32_e32 v7, v15, v7
	v_cmp_lt_i32_e32 vcc, 1, v32
                                        ; implicit-def: $vgpr19
	s_and_saveexec_b64 s[8:9], vcc
	s_xor_b64 s[8:9], exec, s[8:9]
	s_cbranch_execz .LBB90_31
; %bb.26:                               ;   in Loop: Header=BB90_3 Depth=1
	v_cmp_lt_i32_e32 vcc, 2, v32
                                        ; implicit-def: $vgpr19
	s_and_saveexec_b64 s[44:45], vcc
	s_xor_b64 s[44:45], exec, s[44:45]
; %bb.27:                               ;   in Loop: Header=BB90_3 Depth=1
	v_xor_b32_e32 v11, v34, v23
	v_xor_b32_e32 v11, v11, v18
	v_mul_hi_u32 v11, v11, s65
	v_xor_b32_e32 v11, v11, v20
	v_xor_b32_e32 v19, v35, v11
                                        ; implicit-def: $vgpr33
; %bb.28:                               ;   in Loop: Header=BB90_3 Depth=1
	s_andn2_saveexec_b64 s[44:45], s[44:45]
; %bb.29:                               ;   in Loop: Header=BB90_3 Depth=1
	v_mov_b32_e32 v19, v10
	v_mov_b32_e32 v10, v7
	;; [unrolled: 1-line block ×4, first 2 shown]
; %bb.30:                               ;   in Loop: Header=BB90_3 Depth=1
	s_or_b64 exec, exec, s[44:45]
                                        ; implicit-def: $vgpr12_vgpr13
                                        ; implicit-def: $vgpr14_vgpr15
                                        ; implicit-def: $vgpr32
                                        ; implicit-def: $vgpr33
                                        ; implicit-def: $vgpr16_vgpr17
                                        ; implicit-def: $vgpr13
                                        ; implicit-def: $vgpr15
.LBB90_31:                              ;   in Loop: Header=BB90_3 Depth=1
	s_andn2_saveexec_b64 s[8:9], s[8:9]
	s_cbranch_execz .LBB90_35
; %bb.32:                               ;   in Loop: Header=BB90_3 Depth=1
	v_xor_b32_e32 v10, v13, v17
	v_xor_b32_e32 v10, v10, v12
	v_mad_u64_u32 v[12:13], s[44:45], v10, s62, 0
	v_xor_b32_e32 v10, v13, v14
	v_xor_b32_e32 v11, v15, v10
	v_cmp_eq_u32_e32 vcc, 1, v32
	v_mov_b32_e32 v19, v6
	v_mov_b32_e32 v10, v33
	v_mov_b32_e32 v13, v12
	s_and_saveexec_b64 s[44:45], vcc
; %bb.33:                               ;   in Loop: Header=BB90_3 Depth=1
	v_mov_b32_e32 v19, v7
	v_mov_b32_e32 v10, v6
	;; [unrolled: 1-line block ×4, first 2 shown]
; %bb.34:                               ;   in Loop: Header=BB90_3 Depth=1
	s_or_b64 exec, exec, s[44:45]
	v_mov_b32_e32 v6, v11
	v_mov_b32_e32 v7, v13
.LBB90_35:                              ;   in Loop: Header=BB90_3 Depth=1
	s_or_b64 exec, exec, s[8:9]
	v_min_i32_e32 v11, 4, v26
	v_cmp_lt_i32_e32 vcc, 2, v11
	s_mov_b64 s[44:45], 0
	s_mov_b64 s[54:55], 0
	;; [unrolled: 1-line block ×3, first 2 shown]
                                        ; implicit-def: $sgpr46_sgpr47
                                        ; implicit-def: $sgpr48_sgpr49
                                        ; implicit-def: $sgpr50_sgpr51
	s_and_saveexec_b64 s[52:53], vcc
	s_xor_b64 s[52:53], exec, s[52:53]
	s_cbranch_execz .LBB90_47
; %bb.36:                               ;   in Loop: Header=BB90_3 Depth=1
	v_cmp_lt_i32_e32 vcc, 3, v11
	s_mov_b64 s[8:9], -1
	s_mov_b64 s[58:59], 0
                                        ; implicit-def: $sgpr46_sgpr47
                                        ; implicit-def: $sgpr56_sgpr57
	s_and_saveexec_b64 s[48:49], vcc
	s_cbranch_execz .LBB90_42
; %bb.37:                               ;   in Loop: Header=BB90_3 Depth=1
	v_cmp_eq_u32_e32 vcc, 4, v11
	s_mov_b64 s[8:9], 0
	s_mov_b64 s[58:59], -1
                                        ; implicit-def: $sgpr46_sgpr47
                                        ; implicit-def: $sgpr56_sgpr57
	s_and_saveexec_b64 s[50:51], vcc
	s_cbranch_execz .LBB90_41
; %bb.38:                               ;   in Loop: Header=BB90_3 Depth=1
	s_waitcnt vmcnt(0)
	v_cmp_le_f32_e32 vcc, 0, v2
	v_cmp_ge_f32_e64 s[8:9], 1.0, v2
	s_and_b64 s[58:59], vcc, s[8:9]
	s_mov_b64 s[46:47], 0
	s_mov_b64 s[8:9], 0
	s_and_saveexec_b64 s[56:57], s[58:59]
	s_cbranch_execz .LBB90_40
; %bb.39:                               ;   in Loop: Header=BB90_3 Depth=1
	v_cvt_f32_u32_e32 v12, v19
	v_mov_b32_e32 v13, 0x2f800000
	v_lshlrev_b64 v[8:9], 1, v[8:9]
	v_add_co_u32_e32 v8, vcc, s10, v8
	v_fmac_f32_e32 v13, 0x2f800000, v12
	v_mov_b32_e32 v12, s11
	v_addc_co_u32_e32 v9, vcc, v12, v9, vcc
	v_cmp_le_f32_e32 vcc, v13, v2
	s_mov_b64 s[8:9], exec
	v_cndmask_b32_e32 v2, 0, v1, vcc
	global_store_short v[8:9], v2, off
.LBB90_40:                              ;   in Loop: Header=BB90_3 Depth=1
	s_or_b64 exec, exec, s[56:57]
	s_mov_b64 s[56:57], -1
	s_xor_b64 s[58:59], exec, -1
	s_and_b64 s[8:9], s[8:9], exec
.LBB90_41:                              ;   in Loop: Header=BB90_3 Depth=1
	s_or_b64 exec, exec, s[50:51]
	s_and_b64 s[58:59], s[58:59], exec
	s_orn2_b64 s[8:9], s[8:9], exec
.LBB90_42:                              ;   in Loop: Header=BB90_3 Depth=1
	s_or_b64 exec, exec, s[48:49]
	s_mov_b64 s[50:51], s[46:47]
	s_and_saveexec_b64 s[48:49], s[8:9]
	s_cbranch_execz .LBB90_46
; %bb.43:                               ;   in Loop: Header=BB90_3 Depth=1
	s_waitcnt vmcnt(1)
	v_cmp_le_f32_e32 vcc, 0, v31
	v_cmp_ge_f32_e64 s[8:9], 1.0, v31
	s_and_b64 s[50:51], vcc, s[8:9]
	s_mov_b64 s[8:9], 0
	s_and_saveexec_b64 s[54:55], s[50:51]
	s_xor_b64 s[50:51], exec, s[54:55]
	s_cbranch_execz .LBB90_45
; %bb.44:                               ;   in Loop: Header=BB90_3 Depth=1
	v_cvt_f32_u32_e32 v8, v10
	v_mov_b32_e32 v10, 0x2f800000
	s_waitcnt vmcnt(0)
	v_cndmask_b32_e64 v2, 0, v29, s[6:7]
	s_mov_b64 s[8:9], exec
	v_fmac_f32_e32 v10, 0x2f800000, v8
	v_lshlrev_b64 v[8:9], 1, v[2:3]
	v_mov_b32_e32 v2, s11
	v_add_co_u32_e32 v8, vcc, s10, v8
	v_addc_co_u32_e32 v9, vcc, v2, v9, vcc
	v_cmp_le_f32_e32 vcc, v10, v31
	v_cndmask_b32_e32 v2, 0, v1, vcc
	global_store_short v[8:9], v2, off
.LBB90_45:                              ;   in Loop: Header=BB90_3 Depth=1
	s_or_b64 exec, exec, s[50:51]
	s_andn2_b64 s[50:51], s[46:47], exec
	s_or_b64 s[46:47], s[46:47], exec
	s_andn2_b64 s[56:57], s[56:57], exec
	s_and_b64 s[54:55], s[8:9], exec
.LBB90_46:                              ;   in Loop: Header=BB90_3 Depth=1
	s_or_b64 exec, exec, s[48:49]
	s_and_b64 s[50:51], s[50:51], exec
	s_and_b64 s[48:49], s[46:47], exec
	;; [unrolled: 1-line block ×5, first 2 shown]
.LBB90_47:                              ;   in Loop: Header=BB90_3 Depth=1
	s_andn2_saveexec_b64 s[6:7], s[52:53]
; %bb.48:                               ;   in Loop: Header=BB90_3 Depth=1
	v_cmp_lt_i32_e32 vcc, 1, v11
	s_andn2_b64 s[52:53], s[54:55], exec
	s_and_b64 s[54:55], vcc, exec
	s_mov_b64 s[44:45], exec
	s_andn2_b64 s[50:51], s[50:51], exec
	s_andn2_b64 s[48:49], s[48:49], exec
	;; [unrolled: 1-line block ×3, first 2 shown]
	s_or_b64 s[54:55], s[52:53], s[54:55]
; %bb.49:                               ;   in Loop: Header=BB90_3 Depth=1
	s_or_b64 exec, exec, s[6:7]
	s_mov_b64 s[52:53], 0
	s_mov_b64 s[6:7], s[50:51]
	s_and_saveexec_b64 s[56:57], s[54:55]
	s_cbranch_execnz .LBB90_52
; %bb.50:                               ;   in Loop: Header=BB90_3 Depth=1
	s_or_b64 exec, exec, s[56:57]
	s_and_saveexec_b64 s[4:5], s[44:45]
	s_cbranch_execnz .LBB90_55
.LBB90_51:                              ;   in Loop: Header=BB90_3 Depth=1
	s_or_b64 exec, exec, s[4:5]
	s_and_saveexec_b64 s[44:45], s[52:53]
	s_cbranch_execnz .LBB90_56
	s_branch .LBB90_59
.LBB90_52:                              ;   in Loop: Header=BB90_3 Depth=1
	s_waitcnt vmcnt(2)
	v_cmp_le_f32_e32 vcc, 0, v30
	v_cmp_ge_f32_e64 s[6:7], 1.0, v30
	s_and_b64 s[6:7], vcc, s[6:7]
	s_and_saveexec_b64 s[54:55], s[6:7]
	s_xor_b64 s[6:7], exec, s[54:55]
	s_cbranch_execz .LBB90_54
; %bb.53:                               ;   in Loop: Header=BB90_3 Depth=1
	v_cvt_f32_u32_e32 v7, v7
	s_waitcnt vmcnt(0)
	v_cndmask_b32_e64 v2, 0, v27, s[4:5]
	v_lshlrev_b64 v[8:9], 1, v[2:3]
	v_mov_b32_e32 v10, 0x2f800000
	v_mov_b32_e32 v2, s11
	v_add_co_u32_e32 v8, vcc, s10, v8
	v_fmac_f32_e32 v10, 0x2f800000, v7
	v_addc_co_u32_e32 v9, vcc, v2, v9, vcc
	v_cmp_le_f32_e32 vcc, v10, v30
	v_cndmask_b32_e32 v2, 0, v1, vcc
	s_mov_b64 s[52:53], exec
	global_store_short v[8:9], v2, off
.LBB90_54:                              ;   in Loop: Header=BB90_3 Depth=1
	s_or_b64 exec, exec, s[6:7]
	s_andn2_b64 s[6:7], s[50:51], exec
	s_or_b64 s[50:51], s[50:51], exec
	s_andn2_b64 s[48:49], s[48:49], exec
	s_andn2_b64 s[46:47], s[46:47], exec
	s_and_b64 s[52:53], s[52:53], exec
	s_andn2_b64 s[44:45], s[44:45], exec
	s_or_b64 exec, exec, s[56:57]
	s_and_saveexec_b64 s[4:5], s[44:45]
	s_cbranch_execz .LBB90_51
.LBB90_55:                              ;   in Loop: Header=BB90_3 Depth=1
	v_cmp_eq_u32_e32 vcc, 1, v11
	s_andn2_b64 s[44:45], s[52:53], exec
	s_and_b64 s[52:53], vcc, exec
	s_andn2_b64 s[6:7], s[6:7], exec
	s_andn2_b64 s[50:51], s[50:51], exec
	s_andn2_b64 s[48:49], s[48:49], exec
	s_andn2_b64 s[46:47], s[46:47], exec
	s_or_b64 s[8:9], s[8:9], exec
	s_or_b64 s[52:53], s[44:45], s[52:53]
	s_or_b64 exec, exec, s[4:5]
	s_and_saveexec_b64 s[44:45], s[52:53]
	s_cbranch_execz .LBB90_59
.LBB90_56:                              ;   in Loop: Header=BB90_3 Depth=1
	s_waitcnt vmcnt(3)
	v_cmp_le_f32_e32 vcc, 0, v28
	v_cmp_ge_f32_e64 s[4:5], 1.0, v28
	s_and_b64 s[54:55], vcc, s[4:5]
	s_mov_b64 s[4:5], 0
	s_and_saveexec_b64 s[52:53], s[54:55]
	s_cbranch_execz .LBB90_58
; %bb.57:                               ;   in Loop: Header=BB90_3 Depth=1
	v_cvt_f32_u32_e32 v6, v6
	v_mov_b32_e32 v8, 0x2f800000
	s_waitcnt vmcnt(0)
	v_cndmask_b32_e64 v2, 0, v25, s[2:3]
	s_mov_b64 s[4:5], exec
	v_fmac_f32_e32 v8, 0x2f800000, v6
	v_lshlrev_b64 v[6:7], 1, v[2:3]
	v_mov_b32_e32 v2, s11
	v_add_co_u32_e32 v6, vcc, s10, v6
	v_addc_co_u32_e32 v7, vcc, v2, v7, vcc
	v_cmp_le_f32_e32 vcc, v8, v28
	v_cndmask_b32_e32 v2, 0, v1, vcc
	global_store_short v[6:7], v2, off
.LBB90_58:                              ;   in Loop: Header=BB90_3 Depth=1
	s_or_b64 exec, exec, s[52:53]
	s_andn2_b64 s[2:3], s[8:9], exec
	s_and_b64 s[4:5], s[4:5], exec
	s_or_b64 s[6:7], s[6:7], exec
	s_andn2_b64 s[50:51], s[50:51], exec
	s_andn2_b64 s[48:49], s[48:49], exec
	;; [unrolled: 1-line block ×3, first 2 shown]
	s_or_b64 s[8:9], s[2:3], s[4:5]
.LBB90_59:                              ;   in Loop: Header=BB90_3 Depth=1
	s_or_b64 exec, exec, s[44:45]
	s_andn2_b64 s[4:5], s[42:43], exec
	s_and_b64 s[6:7], s[6:7], exec
	s_or_b64 s[42:43], s[4:5], s[6:7]
	s_andn2_b64 s[4:5], s[40:41], exec
	s_and_b64 s[6:7], s[50:51], exec
	s_or_b64 s[40:41], s[4:5], s[6:7]
	;; [unrolled: 3-line block ×3, first 2 shown]
	s_andn2_b64 s[4:5], s[36:37], exec
	s_and_b64 s[6:7], s[46:47], exec
	s_mov_b64 s[2:3], -1
	s_or_b64 s[36:37], s[4:5], s[6:7]
	s_and_saveexec_b64 s[4:5], s[8:9]
	s_cbranch_execz .LBB90_2
; %bb.60:                               ;   in Loop: Header=BB90_3 Depth=1
	v_add_u32_e32 v24, s63, v24
	v_cmp_le_u32_e32 vcc, s33, v24
	s_andn2_b64 s[42:43], s[42:43], exec
	s_andn2_b64 s[40:41], s[40:41], exec
	;; [unrolled: 1-line block ×4, first 2 shown]
	s_orn2_b64 s[2:3], vcc, exec
	s_branch .LBB90_2
.LBB90_61:
	s_or_b64 exec, exec, s[26:27]
	s_xor_b64 s[6:7], s[34:35], -1
	s_xor_b64 s[8:9], s[30:31], -1
	;; [unrolled: 1-line block ×3, first 2 shown]
	s_mov_b64 s[2:3], 0
	s_and_saveexec_b64 s[4:5], s[0:1]
	s_xor_b64 s[0:1], exec, s[4:5]
	s_cbranch_execnz .LBB90_66
; %bb.62:
	s_andn2_saveexec_b64 s[0:1], s[0:1]
	s_cbranch_execnz .LBB90_74
.LBB90_63:
	s_or_b64 exec, exec, s[0:1]
	s_and_b64 exec, exec, s[2:3]
.LBB90_64:
	; divergent unreachable
.LBB90_65:
	s_endpgm
.LBB90_66:
	s_mov_b64 s[4:5], 0
	s_and_saveexec_b64 s[2:3], s[8:9]
	s_xor_b64 s[2:3], exec, s[2:3]
	s_cbranch_execz .LBB90_72
; %bb.67:
	s_and_saveexec_b64 s[8:9], s[6:7]
	s_xor_b64 s[6:7], exec, s[8:9]
	s_cbranch_execz .LBB90_70
; %bb.68:
	s_and_saveexec_b64 s[8:9], s[20:21]
	s_xor_b64 s[8:9], exec, s[8:9]
	s_cbranch_execnz .LBB90_77
.LBB90_69:
	s_or_b64 exec, exec, s[8:9]
	s_and_b64 s[4:5], s[4:5], exec
.LBB90_70:
	s_andn2_saveexec_b64 s[6:7], s[6:7]
	s_cbranch_execnz .LBB90_76
.LBB90_71:
	s_or_b64 exec, exec, s[6:7]
	s_and_b64 s[4:5], s[4:5], exec
.LBB90_72:
	s_andn2_saveexec_b64 s[2:3], s[2:3]
	s_cbranch_execnz .LBB90_75
.LBB90_73:
	s_or_b64 exec, exec, s[2:3]
	s_and_b64 s[2:3], s[4:5], exec
	s_andn2_saveexec_b64 s[0:1], s[0:1]
	s_cbranch_execz .LBB90_63
.LBB90_74:
	s_or_b64 s[2:3], s[2:3], exec
	s_trap 2
	s_or_b64 exec, exec, s[0:1]
	s_and_b64 exec, exec, s[2:3]
	s_cbranch_execnz .LBB90_64
	s_branch .LBB90_65
.LBB90_75:
	s_or_b64 s[4:5], s[4:5], exec
	s_trap 2
	s_branch .LBB90_73
.LBB90_76:
	s_trap 2
	s_or_b64 s[4:5], s[4:5], exec
	s_branch .LBB90_71
.LBB90_77:
	s_mov_b64 s[4:5], exec
	s_trap 2
	s_branch .LBB90_69
	.section	.rodata,"a",@progbits
	.p2align	6, 0x0
	.amdhsa_kernel _ZN2at4cuda12_GLOBAL__N_121kernelPointwiseApply2IZNS_6native9templates4cuda28bernoulli_tensor_cuda_kernelIN3c104HalfEfEEvRKNS_10TensorBaseESB_NS_15PhiloxCudaStateEEUliRS8_SD_SD_SD_RKfSF_SF_SF_E_S8_SE_jLi1ELin1ELi4ELi512ELi2EEEvNS0_6detail10TensorInfoIT0_T2_EENSI_IT1_SK_EESK_T_
		.amdhsa_group_segment_fixed_size 0
		.amdhsa_private_segment_fixed_size 0
		.amdhsa_kernarg_size 728
		.amdhsa_user_sgpr_count 6
		.amdhsa_user_sgpr_private_segment_buffer 1
		.amdhsa_user_sgpr_dispatch_ptr 0
		.amdhsa_user_sgpr_queue_ptr 0
		.amdhsa_user_sgpr_kernarg_segment_ptr 1
		.amdhsa_user_sgpr_dispatch_id 0
		.amdhsa_user_sgpr_flat_scratch_init 0
		.amdhsa_user_sgpr_kernarg_preload_length 0
		.amdhsa_user_sgpr_kernarg_preload_offset 0
		.amdhsa_user_sgpr_private_segment_size 0
		.amdhsa_uses_dynamic_stack 0
		.amdhsa_system_sgpr_private_segment_wavefront_offset 0
		.amdhsa_system_sgpr_workgroup_id_x 1
		.amdhsa_system_sgpr_workgroup_id_y 0
		.amdhsa_system_sgpr_workgroup_id_z 0
		.amdhsa_system_sgpr_workgroup_info 0
		.amdhsa_system_vgpr_workitem_id 0
		.amdhsa_next_free_vgpr 50
		.amdhsa_next_free_sgpr 67
		.amdhsa_accum_offset 52
		.amdhsa_reserve_vcc 1
		.amdhsa_reserve_flat_scratch 0
		.amdhsa_float_round_mode_32 0
		.amdhsa_float_round_mode_16_64 0
		.amdhsa_float_denorm_mode_32 3
		.amdhsa_float_denorm_mode_16_64 3
		.amdhsa_dx10_clamp 1
		.amdhsa_ieee_mode 1
		.amdhsa_fp16_overflow 0
		.amdhsa_tg_split 0
		.amdhsa_exception_fp_ieee_invalid_op 0
		.amdhsa_exception_fp_denorm_src 0
		.amdhsa_exception_fp_ieee_div_zero 0
		.amdhsa_exception_fp_ieee_overflow 0
		.amdhsa_exception_fp_ieee_underflow 0
		.amdhsa_exception_fp_ieee_inexact 0
		.amdhsa_exception_int_div_zero 0
	.end_amdhsa_kernel
	.section	.text._ZN2at4cuda12_GLOBAL__N_121kernelPointwiseApply2IZNS_6native9templates4cuda28bernoulli_tensor_cuda_kernelIN3c104HalfEfEEvRKNS_10TensorBaseESB_NS_15PhiloxCudaStateEEUliRS8_SD_SD_SD_RKfSF_SF_SF_E_S8_SE_jLi1ELin1ELi4ELi512ELi2EEEvNS0_6detail10TensorInfoIT0_T2_EENSI_IT1_SK_EESK_T_,"axG",@progbits,_ZN2at4cuda12_GLOBAL__N_121kernelPointwiseApply2IZNS_6native9templates4cuda28bernoulli_tensor_cuda_kernelIN3c104HalfEfEEvRKNS_10TensorBaseESB_NS_15PhiloxCudaStateEEUliRS8_SD_SD_SD_RKfSF_SF_SF_E_S8_SE_jLi1ELin1ELi4ELi512ELi2EEEvNS0_6detail10TensorInfoIT0_T2_EENSI_IT1_SK_EESK_T_,comdat
.Lfunc_end90:
	.size	_ZN2at4cuda12_GLOBAL__N_121kernelPointwiseApply2IZNS_6native9templates4cuda28bernoulli_tensor_cuda_kernelIN3c104HalfEfEEvRKNS_10TensorBaseESB_NS_15PhiloxCudaStateEEUliRS8_SD_SD_SD_RKfSF_SF_SF_E_S8_SE_jLi1ELin1ELi4ELi512ELi2EEEvNS0_6detail10TensorInfoIT0_T2_EENSI_IT1_SK_EESK_T_, .Lfunc_end90-_ZN2at4cuda12_GLOBAL__N_121kernelPointwiseApply2IZNS_6native9templates4cuda28bernoulli_tensor_cuda_kernelIN3c104HalfEfEEvRKNS_10TensorBaseESB_NS_15PhiloxCudaStateEEUliRS8_SD_SD_SD_RKfSF_SF_SF_E_S8_SE_jLi1ELin1ELi4ELi512ELi2EEEvNS0_6detail10TensorInfoIT0_T2_EENSI_IT1_SK_EESK_T_
                                        ; -- End function
	.section	.AMDGPU.csdata,"",@progbits
; Kernel info:
; codeLenInByte = 3496
; NumSgprs: 71
; NumVgprs: 50
; NumAgprs: 0
; TotalNumVgprs: 50
; ScratchSize: 0
; MemoryBound: 0
; FloatMode: 240
; IeeeMode: 1
; LDSByteSize: 0 bytes/workgroup (compile time only)
; SGPRBlocks: 8
; VGPRBlocks: 6
; NumSGPRsForWavesPerEU: 71
; NumVGPRsForWavesPerEU: 50
; AccumOffset: 52
; Occupancy: 8
; WaveLimiterHint : 1
; COMPUTE_PGM_RSRC2:SCRATCH_EN: 0
; COMPUTE_PGM_RSRC2:USER_SGPR: 6
; COMPUTE_PGM_RSRC2:TRAP_HANDLER: 0
; COMPUTE_PGM_RSRC2:TGID_X_EN: 1
; COMPUTE_PGM_RSRC2:TGID_Y_EN: 0
; COMPUTE_PGM_RSRC2:TGID_Z_EN: 0
; COMPUTE_PGM_RSRC2:TIDIG_COMP_CNT: 0
; COMPUTE_PGM_RSRC3_GFX90A:ACCUM_OFFSET: 12
; COMPUTE_PGM_RSRC3_GFX90A:TG_SPLIT: 0
	.section	.text._ZN2at4cuda12_GLOBAL__N_121kernelPointwiseApply2IZNS_6native9templates4cuda28bernoulli_tensor_cuda_kernelIN3c104HalfEfEEvRKNS_10TensorBaseESB_NS_15PhiloxCudaStateEEUliRS8_SD_SD_SD_RKfSF_SF_SF_E_S8_SE_jLi2ELi1ELi4ELi512ELi2EEEvNS0_6detail10TensorInfoIT0_T2_EENSI_IT1_SK_EESK_T_,"axG",@progbits,_ZN2at4cuda12_GLOBAL__N_121kernelPointwiseApply2IZNS_6native9templates4cuda28bernoulli_tensor_cuda_kernelIN3c104HalfEfEEvRKNS_10TensorBaseESB_NS_15PhiloxCudaStateEEUliRS8_SD_SD_SD_RKfSF_SF_SF_E_S8_SE_jLi2ELi1ELi4ELi512ELi2EEEvNS0_6detail10TensorInfoIT0_T2_EENSI_IT1_SK_EESK_T_,comdat
	.globl	_ZN2at4cuda12_GLOBAL__N_121kernelPointwiseApply2IZNS_6native9templates4cuda28bernoulli_tensor_cuda_kernelIN3c104HalfEfEEvRKNS_10TensorBaseESB_NS_15PhiloxCudaStateEEUliRS8_SD_SD_SD_RKfSF_SF_SF_E_S8_SE_jLi2ELi1ELi4ELi512ELi2EEEvNS0_6detail10TensorInfoIT0_T2_EENSI_IT1_SK_EESK_T_ ; -- Begin function _ZN2at4cuda12_GLOBAL__N_121kernelPointwiseApply2IZNS_6native9templates4cuda28bernoulli_tensor_cuda_kernelIN3c104HalfEfEEvRKNS_10TensorBaseESB_NS_15PhiloxCudaStateEEUliRS8_SD_SD_SD_RKfSF_SF_SF_E_S8_SE_jLi2ELi1ELi4ELi512ELi2EEEvNS0_6detail10TensorInfoIT0_T2_EENSI_IT1_SK_EESK_T_
	.p2align	8
	.type	_ZN2at4cuda12_GLOBAL__N_121kernelPointwiseApply2IZNS_6native9templates4cuda28bernoulli_tensor_cuda_kernelIN3c104HalfEfEEvRKNS_10TensorBaseESB_NS_15PhiloxCudaStateEEUliRS8_SD_SD_SD_RKfSF_SF_SF_E_S8_SE_jLi2ELi1ELi4ELi512ELi2EEEvNS0_6detail10TensorInfoIT0_T2_EENSI_IT1_SK_EESK_T_,@function
_ZN2at4cuda12_GLOBAL__N_121kernelPointwiseApply2IZNS_6native9templates4cuda28bernoulli_tensor_cuda_kernelIN3c104HalfEfEEvRKNS_10TensorBaseESB_NS_15PhiloxCudaStateEEUliRS8_SD_SD_SD_RKfSF_SF_SF_E_S8_SE_jLi2ELi1ELi4ELi512ELi2EEEvNS0_6detail10TensorInfoIT0_T2_EENSI_IT1_SK_EESK_T_: ; @_ZN2at4cuda12_GLOBAL__N_121kernelPointwiseApply2IZNS_6native9templates4cuda28bernoulli_tensor_cuda_kernelIN3c104HalfEfEEvRKNS_10TensorBaseESB_NS_15PhiloxCudaStateEEUliRS8_SD_SD_SD_RKfSF_SF_SF_E_S8_SE_jLi2ELi1ELi4ELi512ELi2EEEvNS0_6detail10TensorInfoIT0_T2_EENSI_IT1_SK_EESK_T_
; %bb.0:
	s_load_dword s2, s[4:5], 0x1e4
	s_load_dword s33, s[4:5], 0x1b0
	s_add_u32 s0, s4, 0x1d8
	s_addc_u32 s1, s5, 0
	s_waitcnt lgkmcnt(0)
	s_and_b32 s2, s2, 0xffff
	s_mul_i32 s6, s6, s2
	v_add_u32_e32 v1, s6, v0
	v_lshlrev_b32_e32 v0, 2, v1
	v_cmp_gt_u32_e32 vcc, s33, v0
	s_and_saveexec_b64 s[6:7], vcc
	s_cbranch_execz .LBB91_51
; %bb.1:
	s_load_dwordx2 s[12:13], s[4:5], 0x0
	s_load_dword s52, s[4:5], 0xc
	s_load_dwordx2 s[14:15], s[4:5], 0x6c
	s_load_dwordx2 s[16:17], s[4:5], 0xd8
	s_load_dword s3, s[0:1], 0x0
	s_load_dwordx2 s[18:19], s[4:5], 0x1c8
	s_load_dword s6, s[4:5], 0x1d0
	s_load_dword s7, s[4:5], 0x144
	s_load_dwordx4 s[8:11], s[4:5], 0x1b8
	s_waitcnt lgkmcnt(0)
	v_cvt_f32_u32_e32 v2, s52
	s_mov_b32 s53, 0xcd9e8d57
	s_bitcmp1_b32 s6, 0
	s_cselect_b64 s[22:23], -1, 0
	v_rcp_iflag_f32_e32 v4, v2
	v_mad_u64_u32 v[2:3], s[0:1], v1, s53, 0
	s_sub_i32 s56, 0, s52
	v_mul_f32_e32 v4, 0x4f7ffffe, v4
	v_cvt_u32_f32_e32 v4, v4
	v_mov_b32_e32 v6, v3
	s_mul_i32 s3, s3, s2
	s_lshl_b32 s55, s3, 2
	v_mul_lo_u32 v3, s56, v4
	v_mul_hi_u32 v3, v4, v3
	v_add_u32_e32 v3, v4, v3
	v_add_u32_e32 v4, 2, v0
	v_mul_lo_u32 v32, v0, s7
	v_mul_lo_u32 v34, s7, v4
	v_add_u32_e32 v4, 3, v0
	s_mov_b32 s54, 0
	v_mov_b32_e32 v5, 0
	v_sub_u32_e32 v7, s33, v0
	v_add_u32_e32 v33, s7, v32
	s_mul_i32 s57, s55, s7
	v_mul_lo_u32 v35, s7, v4
	s_mov_b64 s[24:25], 0
	s_mov_b32 s58, 0xd2511f53
	s_mov_b32 s59, 0xf1bbcdc8
	v_mov_b32_e32 v36, 0x3c00
                                        ; implicit-def: $sgpr26_sgpr27
                                        ; implicit-def: $sgpr28_sgpr29
                                        ; implicit-def: $sgpr30_sgpr31
                                        ; implicit-def: $sgpr20_sgpr21
                                        ; implicit-def: $sgpr34_sgpr35
                                        ; implicit-def: $sgpr36_sgpr37
                                        ; implicit-def: $sgpr38_sgpr39
                                        ; implicit-def: $sgpr40_sgpr41
	s_branch .LBB91_3
.LBB91_2:                               ;   in Loop: Header=BB91_3 Depth=1
	s_or_b64 exec, exec, s[2:3]
	s_and_b64 s[0:1], exec, s[0:1]
	s_or_b64 s[24:25], s[0:1], s[24:25]
	s_andn2_b64 s[0:1], s[20:21], exec
	s_and_b64 s[2:3], s[40:41], exec
	s_or_b64 s[20:21], s[0:1], s[2:3]
	s_andn2_b64 s[0:1], s[30:31], exec
	s_and_b64 s[2:3], s[38:39], exec
	;; [unrolled: 3-line block ×4, first 2 shown]
	s_or_b64 s[26:27], s[0:1], s[2:3]
	s_andn2_b64 exec, exec, s[24:25]
	s_cbranch_execz .LBB91_47
.LBB91_3:                               ; =>This Inner Loop Header: Depth=1
	v_pk_mov_b32 v[10:11], 0, 0
	v_cmp_lt_i32_e32 vcc, 0, v7
	v_pk_mov_b32 v[8:9], v[10:11], v[10:11] op_sel:[0,1]
	s_and_saveexec_b64 s[2:3], vcc
	s_cbranch_execz .LBB91_5
; %bb.4:                                ;   in Loop: Header=BB91_3 Depth=1
	s_waitcnt vmcnt(3)
	v_mul_hi_u32 v4, v3, v0
	v_not_b32_e32 v12, v4
	v_mad_u64_u32 v[8:9], s[0:1], s56, v4, v[0:1]
	v_add_u32_e32 v9, 1, v4
	v_cmp_le_u32_e64 s[0:1], s52, v8
	v_mad_u64_u32 v[12:13], s[4:5], s52, v12, v[0:1]
	v_cndmask_b32_e64 v4, v4, v9, s[0:1]
	v_cndmask_b32_e64 v8, v8, v12, s[0:1]
	v_add_u32_e32 v9, 1, v4
	v_cmp_le_u32_e64 s[0:1], s52, v8
	v_cndmask_b32_e64 v12, v4, v9, s[0:1]
	v_mad_u64_u32 v[8:9], s[0:1], s56, v12, v[0:1]
	v_mul_lo_u32 v4, v8, s15
	v_mad_u64_u32 v[8:9], s[0:1], v12, s14, v[4:5]
	v_mov_b32_e32 v9, v5
.LBB91_5:                               ;   in Loop: Header=BB91_3 Depth=1
	s_or_b64 exec, exec, s[2:3]
	v_cmp_lt_i32_e64 s[0:1], 1, v7
	s_and_saveexec_b64 s[4:5], s[0:1]
	s_cbranch_execz .LBB91_7
; %bb.6:                                ;   in Loop: Header=BB91_3 Depth=1
	s_waitcnt vmcnt(3)
	v_add_u32_e32 v4, 1, v0
	v_mul_hi_u32 v10, v4, v3
	v_mul_lo_u32 v11, v10, s52
	v_sub_u32_e32 v11, v4, v11
	v_add_u32_e32 v12, 1, v10
	v_cmp_le_u32_e64 s[2:3], s52, v11
	v_cndmask_b32_e64 v10, v10, v12, s[2:3]
	v_subrev_u32_e32 v12, s52, v11
	v_cndmask_b32_e64 v11, v11, v12, s[2:3]
	v_add_u32_e32 v12, 1, v10
	v_cmp_le_u32_e64 s[2:3], s52, v11
	v_cndmask_b32_e64 v10, v10, v12, s[2:3]
	v_mul_lo_u32 v11, v10, s52
	v_sub_u32_e32 v4, v4, v11
	v_mul_lo_u32 v4, v4, s15
	v_mad_u64_u32 v[10:11], s[2:3], v10, s14, v[4:5]
	v_mov_b32_e32 v11, v5
.LBB91_7:                               ;   in Loop: Header=BB91_3 Depth=1
	s_or_b64 exec, exec, s[4:5]
	v_pk_mov_b32 v[16:17], 0, 0
	v_cmp_lt_i32_e64 s[2:3], 2, v7
	v_pk_mov_b32 v[14:15], v[16:17], v[16:17] op_sel:[0,1]
	s_and_saveexec_b64 s[6:7], s[2:3]
	s_cbranch_execz .LBB91_9
; %bb.8:                                ;   in Loop: Header=BB91_3 Depth=1
	s_waitcnt vmcnt(3)
	v_add_u32_e32 v4, 2, v0
	v_mul_hi_u32 v12, v4, v3
	v_mul_lo_u32 v13, v12, s52
	v_sub_u32_e32 v13, v4, v13
	v_add_u32_e32 v14, 1, v12
	v_cmp_le_u32_e64 s[4:5], s52, v13
	v_cndmask_b32_e64 v12, v12, v14, s[4:5]
	v_subrev_u32_e32 v14, s52, v13
	v_cndmask_b32_e64 v13, v13, v14, s[4:5]
	v_add_u32_e32 v14, 1, v12
	v_cmp_le_u32_e64 s[4:5], s52, v13
	v_cndmask_b32_e64 v12, v12, v14, s[4:5]
	v_mul_lo_u32 v13, v12, s52
	v_sub_u32_e32 v4, v4, v13
	v_mul_lo_u32 v4, v4, s15
	v_mad_u64_u32 v[14:15], s[4:5], v12, s14, v[4:5]
	v_mov_b32_e32 v15, v5
.LBB91_9:                               ;   in Loop: Header=BB91_3 Depth=1
	s_or_b64 exec, exec, s[6:7]
	v_cmp_lt_i32_e64 s[4:5], 3, v7
	s_and_saveexec_b64 s[42:43], s[4:5]
	s_cbranch_execz .LBB91_11
; %bb.10:                               ;   in Loop: Header=BB91_3 Depth=1
	s_waitcnt vmcnt(3)
	v_add_u32_e32 v4, 3, v0
	v_mul_hi_u32 v12, v4, v3
	v_mul_lo_u32 v13, v12, s52
	v_sub_u32_e32 v13, v4, v13
	v_add_u32_e32 v16, 1, v12
	v_cmp_le_u32_e64 s[6:7], s52, v13
	v_cndmask_b32_e64 v12, v12, v16, s[6:7]
	v_subrev_u32_e32 v16, s52, v13
	v_cndmask_b32_e64 v13, v13, v16, s[6:7]
	v_add_u32_e32 v16, 1, v12
	v_cmp_le_u32_e64 s[6:7], s52, v13
	v_cndmask_b32_e64 v12, v12, v16, s[6:7]
	v_mul_lo_u32 v13, v12, s52
	v_sub_u32_e32 v4, v4, v13
	v_mul_lo_u32 v4, v4, s15
	v_mad_u64_u32 v[16:17], s[6:7], v12, s14, v[4:5]
	v_mov_b32_e32 v17, v5
.LBB91_11:                              ;   in Loop: Header=BB91_3 Depth=1
	s_or_b64 exec, exec, s[42:43]
	s_waitcnt vmcnt(3)
	v_add_u32_e32 v4, s54, v32
	v_cndmask_b32_e32 v4, 0, v4, vcc
	v_add_u32_e32 v18, s54, v33
	v_lshlrev_b64 v[12:13], 2, v[4:5]
	v_mov_b32_e32 v24, s17
	v_add_co_u32_e32 v12, vcc, s16, v12
	v_cndmask_b32_e64 v4, 0, v18, s[0:1]
	v_add_u32_e32 v20, s54, v34
	v_addc_co_u32_e32 v13, vcc, v24, v13, vcc
	v_lshlrev_b64 v[18:19], 2, v[4:5]
	v_add_co_u32_e32 v18, vcc, s16, v18
	v_cndmask_b32_e64 v4, 0, v20, s[2:3]
	v_add_u32_e32 v22, s54, v35
	v_addc_co_u32_e32 v19, vcc, v24, v19, vcc
	v_lshlrev_b64 v[20:21], 2, v[4:5]
	v_add_co_u32_e32 v20, vcc, s16, v20
	v_cndmask_b32_e64 v4, 0, v22, s[4:5]
	v_addc_co_u32_e32 v21, vcc, v24, v21, vcc
	v_lshlrev_b64 v[22:23], 2, v[4:5]
	v_add_co_u32_e32 v22, vcc, s16, v22
	v_addc_co_u32_e32 v23, vcc, v24, v23, vcc
	global_load_dword v4, v[12:13], off
	global_load_dword v37, v[18:19], off
	;; [unrolled: 1-line block ×4, first 2 shown]
	s_andn2_b64 vcc, exec, s[22:23]
	v_pk_mov_b32 v[12:13], s[10:11], s[10:11] op_sel:[0,1]
	v_pk_mov_b32 v[18:19], s[8:9], s[8:9] op_sel:[0,1]
	s_cbranch_vccnz .LBB91_13
; %bb.12:                               ;   in Loop: Header=BB91_3 Depth=1
	v_pk_mov_b32 v[12:13], s[10:11], s[10:11] op_sel:[0,1]
	flat_load_dwordx2 v[12:13], v[12:13]
	v_pk_mov_b32 v[18:19], s[8:9], s[8:9] op_sel:[0,1]
	flat_load_dwordx2 v[18:19], v[18:19]
	v_mov_b32_e32 v20, s19
	s_waitcnt vmcnt(0) lgkmcnt(0)
	v_add_co_u32_e32 v12, vcc, s18, v12
	v_addc_co_u32_e32 v13, vcc, v13, v20, vcc
.LBB91_13:                              ;   in Loop: Header=BB91_3 Depth=1
	v_alignbit_b32 v28, v13, v12, 2
	v_lshrrev_b32_e32 v29, 2, v13
	v_xor_b32_e32 v20, v6, v18
	v_and_b32_e32 v40, 3, v12
	v_mad_u64_u32 v[12:13], s[0:1], v28, s58, 0
	v_xor_b32_e32 v20, v20, v29
	v_xor_b32_e32 v13, v13, v19
	v_add_u32_e32 v45, 0xbb67ae85, v19
	v_mad_u64_u32 v[20:21], s[0:1], v20, s58, 0
	v_mad_u64_u32 v[22:23], s[0:1], v13, s53, 0
	v_xor_b32_e32 v21, v45, v21
	v_add_u32_e32 v44, 0x9e3779b9, v18
	v_xor_b32_e32 v13, v2, v23
	v_xor_b32_e32 v21, v21, v12
	v_xor_b32_e32 v13, v13, v44
	v_add_u32_e32 v46, 0x3c6ef372, v18
	v_mad_u64_u32 v[24:25], s[0:1], v21, s53, 0
	v_add_u32_e32 v47, 0x76cf5d0a, v19
	v_mad_u64_u32 v[12:13], s[0:1], v13, s58, 0
	v_xor_b32_e32 v21, v46, v25
	v_xor_b32_e32 v21, v21, v22
	v_xor_b32_e32 v13, v47, v13
	v_xor_b32_e32 v13, v13, v20
	v_add_u32_e32 v49, 0x32370b8f, v19
	v_mad_u64_u32 v[20:21], s[0:1], v21, s58, 0
	v_add_u32_e32 v48, 0xdaa66d2b, v18
	v_mad_u64_u32 v[22:23], s[0:1], v13, s53, 0
	v_xor_b32_e32 v21, v49, v21
	v_xor_b32_e32 v13, v48, v23
	v_xor_b32_e32 v21, v21, v12
	v_xor_b32_e32 v13, v13, v24
	v_add_u32_e32 v50, 0x78dde6e4, v18
	v_mad_u64_u32 v[24:25], s[0:1], v21, s53, 0
	v_add_u32_e32 v51, 0xed9eba14, v19
	v_mad_u64_u32 v[12:13], s[0:1], v13, s58, 0
	v_xor_b32_e32 v21, v50, v25
	v_xor_b32_e32 v21, v21, v22
	v_xor_b32_e32 v13, v51, v13
	v_xor_b32_e32 v13, v13, v20
	v_add_u32_e32 v53, 0xa9066899, v19
	v_mad_u64_u32 v[20:21], s[0:1], v21, s58, 0
	v_add_u32_e32 v52, 0x1715609d, v18
	v_mad_u64_u32 v[22:23], s[0:1], v13, s53, 0
	v_xor_b32_e32 v21, v53, v21
	v_xor_b32_e32 v13, v52, v23
	v_xor_b32_e32 v21, v21, v12
	v_xor_b32_e32 v13, v13, v24
	v_add_u32_e32 v54, 0xb54cda56, v18
	v_mad_u64_u32 v[24:25], s[0:1], v21, s53, 0
	v_add_u32_e32 v55, 0x646e171e, v19
	v_mad_u64_u32 v[12:13], s[0:1], v13, s58, 0
	v_xor_b32_e32 v21, v54, v25
	v_xor_b32_e32 v21, v21, v22
	v_xor_b32_e32 v13, v55, v13
	;; [unrolled: 1-line block ×3, first 2 shown]
	v_add_u32_e32 v57, 0x1fd5c5a3, v19
	v_mad_u64_u32 v[20:21], s[0:1], v21, s58, 0
	v_xor_b32_e32 v21, v57, v21
	v_xor_b32_e32 v12, v21, v12
	v_add_u32_e32 v56, 0x5384540f, v18
	v_mad_u64_u32 v[26:27], s[0:1], v13, s53, 0
	v_add_co_u32_e32 v42, vcc, s59, v18
	v_mad_u64_u32 v[22:23], s[0:1], v12, s53, 0
	v_xor_b32_e32 v13, v56, v27
	v_xor_b32_e32 v12, v42, v23
	;; [unrolled: 1-line block ×4, first 2 shown]
	v_mad_u64_u32 v[24:25], s[0:1], v13, s58, 0
	v_mad_u64_u32 v[12:13], s[0:1], v12, s58, 0
	v_add_u32_e32 v43, 0x96a522ad, v19
	v_xor_b32_e32 v13, v13, v24
	v_xor_b32_e32 v41, v43, v13
	v_add_co_u32_e32 v13, vcc, 1, v28
	v_cndmask_b32_e64 v24, 0, 1, vcc
	v_addc_co_u32_e32 v30, vcc, 0, v29, vcc
	v_cmp_eq_u32_e32 vcc, 0, v30
	v_cndmask_b32_e32 v24, 0, v24, vcc
	v_add_u32_e32 v28, v24, v1
	v_cmp_eq_u32_e32 vcc, 0, v28
	v_mad_u64_u32 v[26:27], s[0:1], v13, s58, 0
	v_mad_u64_u32 v[28:29], s[0:1], v28, s53, 0
	v_add_u32_e32 v23, 0x8ff34781, v18
	v_cndmask_b32_e32 v24, 0, v24, vcc
	v_xor_b32_e32 v13, v29, v18
	v_xor_b32_e32 v18, v27, v19
	;; [unrolled: 1-line block ×4, first 2 shown]
	v_mad_u64_u32 v[30:31], s[0:1], v24, s53, 0
	v_add_u32_e32 v21, 0xdb3d7428, v19
	v_mad_u64_u32 v[18:19], s[0:1], v13, s58, 0
	v_xor_b32_e32 v13, v44, v31
	v_xor_b32_e32 v13, v13, v28
	v_xor_b32_e32 v19, v45, v19
	v_xor_b32_e32 v19, v19, v26
	v_mad_u64_u32 v[26:27], s[0:1], v13, s58, 0
	v_mad_u64_u32 v[28:29], s[0:1], v19, s53, 0
	v_xor_b32_e32 v19, v47, v27
	v_xor_b32_e32 v13, v46, v29
	v_xor_b32_e32 v24, v19, v18
	v_xor_b32_e32 v13, v13, v30
	v_mad_u64_u32 v[30:31], s[0:1], v24, s53, 0
	;; [unrolled: 6-line block ×7, first 2 shown]
	v_xor_b32_e32 v13, v21, v29
	v_xor_b32_e32 v13, v13, v18
	v_mad_u64_u32 v[30:31], s[0:1], v19, s53, 0
	v_mad_u64_u32 v[18:19], s[0:1], v13, s53, 0
	v_xor_b32_e32 v13, v19, v30
	v_xor_b32_e32 v13, v23, v13
	v_cmp_lt_i32_e32 vcc, 1, v40
                                        ; implicit-def: $vgpr27
	s_and_saveexec_b64 s[0:1], vcc
	s_xor_b64 s[0:1], exec, s[0:1]
	s_cbranch_execz .LBB91_19
; %bb.14:                               ;   in Loop: Header=BB91_3 Depth=1
	v_cmp_lt_i32_e32 vcc, 2, v40
                                        ; implicit-def: $vgpr27
	s_and_saveexec_b64 s[2:3], vcc
	s_xor_b64 s[2:3], exec, s[2:3]
; %bb.15:                               ;   in Loop: Header=BB91_3 Depth=1
	v_xor_b32_e32 v19, v42, v31
	v_xor_b32_e32 v19, v19, v26
	v_mul_hi_u32 v19, v19, s58
	v_xor_b32_e32 v19, v19, v28
	v_xor_b32_e32 v27, v43, v19
                                        ; implicit-def: $vgpr41
; %bb.16:                               ;   in Loop: Header=BB91_3 Depth=1
	s_andn2_saveexec_b64 s[2:3], s[2:3]
; %bb.17:                               ;   in Loop: Header=BB91_3 Depth=1
	v_mov_b32_e32 v27, v18
	v_mov_b32_e32 v18, v13
	;; [unrolled: 1-line block ×4, first 2 shown]
; %bb.18:                               ;   in Loop: Header=BB91_3 Depth=1
	s_or_b64 exec, exec, s[2:3]
                                        ; implicit-def: $vgpr20_vgpr21
                                        ; implicit-def: $vgpr22_vgpr23
                                        ; implicit-def: $vgpr40
                                        ; implicit-def: $vgpr41
                                        ; implicit-def: $vgpr24_vgpr25
                                        ; implicit-def: $vgpr21
                                        ; implicit-def: $vgpr23
.LBB91_19:                              ;   in Loop: Header=BB91_3 Depth=1
	s_andn2_saveexec_b64 s[0:1], s[0:1]
	s_cbranch_execz .LBB91_23
; %bb.20:                               ;   in Loop: Header=BB91_3 Depth=1
	v_xor_b32_e32 v18, v21, v25
	v_xor_b32_e32 v18, v18, v20
	v_mad_u64_u32 v[20:21], s[2:3], v18, s53, 0
	v_xor_b32_e32 v18, v21, v22
	v_xor_b32_e32 v19, v23, v18
	v_cmp_eq_u32_e32 vcc, 1, v40
	v_mov_b32_e32 v27, v12
	v_mov_b32_e32 v18, v41
	;; [unrolled: 1-line block ×3, first 2 shown]
	s_and_saveexec_b64 s[2:3], vcc
; %bb.21:                               ;   in Loop: Header=BB91_3 Depth=1
	v_mov_b32_e32 v27, v13
	v_mov_b32_e32 v18, v12
	;; [unrolled: 1-line block ×4, first 2 shown]
; %bb.22:                               ;   in Loop: Header=BB91_3 Depth=1
	s_or_b64 exec, exec, s[2:3]
	v_mov_b32_e32 v12, v19
	v_mov_b32_e32 v13, v21
.LBB91_23:                              ;   in Loop: Header=BB91_3 Depth=1
	s_or_b64 exec, exec, s[0:1]
	v_min_i32_e32 v19, 4, v7
	v_cmp_lt_i32_e32 vcc, 2, v19
	s_mov_b64 s[2:3], 0
	s_mov_b64 s[48:49], 0
                                        ; implicit-def: $sgpr4_sgpr5
                                        ; implicit-def: $sgpr6_sgpr7
                                        ; implicit-def: $sgpr42_sgpr43
	s_and_saveexec_b64 s[0:1], vcc
	s_xor_b64 s[44:45], exec, s[0:1]
	s_cbranch_execz .LBB91_33
; %bb.24:                               ;   in Loop: Header=BB91_3 Depth=1
	v_cmp_lt_i32_e32 vcc, 3, v19
	s_mov_b64 s[42:43], -1
                                        ; implicit-def: $sgpr4_sgpr5
                                        ; implicit-def: $sgpr46_sgpr47
	s_and_saveexec_b64 s[6:7], vcc
	s_cbranch_execz .LBB91_28
; %bb.25:                               ;   in Loop: Header=BB91_3 Depth=1
	s_waitcnt vmcnt(0)
	v_cmp_le_f32_e32 vcc, 0, v39
	v_cmp_ge_f32_e64 s[0:1], 1.0, v39
	s_and_b64 s[46:47], vcc, s[0:1]
	s_mov_b64 s[4:5], 0
	s_mov_b64 s[0:1], 0
	s_and_saveexec_b64 s[42:43], s[46:47]
	s_cbranch_execz .LBB91_27
; %bb.26:                               ;   in Loop: Header=BB91_3 Depth=1
	v_cvt_f32_u32_e32 v20, v27
	v_mov_b32_e32 v21, 0x2f800000
	v_lshlrev_b64 v[16:17], 1, v[16:17]
	v_add_co_u32_e32 v16, vcc, s12, v16
	v_fmac_f32_e32 v21, 0x2f800000, v20
	v_mov_b32_e32 v20, s13
	v_addc_co_u32_e32 v17, vcc, v20, v17, vcc
	v_cmp_le_f32_e32 vcc, v21, v39
	s_mov_b64 s[0:1], exec
	v_cndmask_b32_e32 v20, 0, v36, vcc
	global_store_short v[16:17], v20, off
.LBB91_27:                              ;   in Loop: Header=BB91_3 Depth=1
	s_or_b64 exec, exec, s[42:43]
	s_mov_b64 s[46:47], -1
	s_orn2_b64 s[42:43], s[0:1], exec
.LBB91_28:                              ;   in Loop: Header=BB91_3 Depth=1
	s_or_b64 exec, exec, s[6:7]
	s_mov_b64 s[0:1], 0
	s_mov_b64 s[48:49], s[4:5]
	s_and_saveexec_b64 s[6:7], s[42:43]
	s_cbranch_execz .LBB91_32
; %bb.29:                               ;   in Loop: Header=BB91_3 Depth=1
	s_waitcnt vmcnt(1)
	v_cmp_le_f32_e32 vcc, 0, v38
	v_cmp_ge_f32_e64 s[0:1], 1.0, v38
	s_and_b64 s[42:43], vcc, s[0:1]
	s_mov_b64 s[0:1], 0
	s_and_saveexec_b64 s[48:49], s[42:43]
	s_xor_b64 s[42:43], exec, s[48:49]
	s_cbranch_execz .LBB91_31
; %bb.30:                               ;   in Loop: Header=BB91_3 Depth=1
	v_cvt_f32_u32_e32 v16, v18
	v_mov_b32_e32 v17, 0x2f800000
	v_lshlrev_b64 v[14:15], 1, v[14:15]
	v_add_co_u32_e32 v14, vcc, s12, v14
	v_fmac_f32_e32 v17, 0x2f800000, v16
	v_mov_b32_e32 v16, s13
	v_addc_co_u32_e32 v15, vcc, v16, v15, vcc
	v_cmp_le_f32_e32 vcc, v17, v38
	v_cndmask_b32_e32 v16, 0, v36, vcc
	s_mov_b64 s[0:1], exec
	global_store_short v[14:15], v16, off
.LBB91_31:                              ;   in Loop: Header=BB91_3 Depth=1
	s_or_b64 exec, exec, s[42:43]
	s_andn2_b64 s[48:49], s[4:5], exec
	s_or_b64 s[4:5], s[4:5], exec
	s_andn2_b64 s[46:47], s[46:47], exec
	s_and_b64 s[0:1], s[0:1], exec
.LBB91_32:                              ;   in Loop: Header=BB91_3 Depth=1
	s_or_b64 exec, exec, s[6:7]
	s_and_b64 s[42:43], s[48:49], exec
	s_and_b64 s[6:7], s[4:5], exec
	;; [unrolled: 1-line block ×4, first 2 shown]
.LBB91_33:                              ;   in Loop: Header=BB91_3 Depth=1
	s_andn2_saveexec_b64 s[0:1], s[44:45]
; %bb.34:                               ;   in Loop: Header=BB91_3 Depth=1
	v_cmp_lt_i32_e32 vcc, 1, v19
	s_andn2_b64 s[44:45], s[48:49], exec
	s_and_b64 s[46:47], vcc, exec
	s_mov_b64 s[2:3], exec
	s_andn2_b64 s[42:43], s[42:43], exec
	s_andn2_b64 s[6:7], s[6:7], exec
	;; [unrolled: 1-line block ×3, first 2 shown]
	s_or_b64 s[48:49], s[44:45], s[46:47]
; %bb.35:                               ;   in Loop: Header=BB91_3 Depth=1
	s_or_b64 exec, exec, s[0:1]
	s_mov_b64 s[44:45], 0
	s_mov_b64 s[0:1], 0
	;; [unrolled: 1-line block ×3, first 2 shown]
	s_and_saveexec_b64 s[50:51], s[48:49]
	s_cbranch_execnz .LBB91_38
; %bb.36:                               ;   in Loop: Header=BB91_3 Depth=1
	s_or_b64 exec, exec, s[50:51]
	s_and_saveexec_b64 s[48:49], s[2:3]
	s_cbranch_execnz .LBB91_41
.LBB91_37:                              ;   in Loop: Header=BB91_3 Depth=1
	s_or_b64 exec, exec, s[48:49]
	s_and_saveexec_b64 s[2:3], s[0:1]
	s_cbranch_execnz .LBB91_42
	s_branch .LBB91_45
.LBB91_38:                              ;   in Loop: Header=BB91_3 Depth=1
	s_waitcnt vmcnt(2)
	v_cmp_le_f32_e32 vcc, 0, v37
	v_cmp_ge_f32_e64 s[0:1], 1.0, v37
	s_and_b64 s[46:47], vcc, s[0:1]
	s_mov_b64 s[0:1], 0
	s_and_saveexec_b64 s[48:49], s[46:47]
	s_xor_b64 s[46:47], exec, s[48:49]
	s_cbranch_execz .LBB91_40
; %bb.39:                               ;   in Loop: Header=BB91_3 Depth=1
	v_cvt_f32_u32_e32 v13, v13
	v_mov_b32_e32 v14, 0x2f800000
	v_lshlrev_b64 v[10:11], 1, v[10:11]
	v_add_co_u32_e32 v10, vcc, s12, v10
	v_fmac_f32_e32 v14, 0x2f800000, v13
	v_mov_b32_e32 v13, s13
	v_addc_co_u32_e32 v11, vcc, v13, v11, vcc
	v_cmp_le_f32_e32 vcc, v14, v37
	v_cndmask_b32_e32 v13, 0, v36, vcc
	s_mov_b64 s[0:1], exec
	global_store_short v[10:11], v13, off
.LBB91_40:                              ;   in Loop: Header=BB91_3 Depth=1
	s_or_b64 exec, exec, s[46:47]
	s_andn2_b64 s[46:47], s[42:43], exec
	s_or_b64 s[42:43], s[42:43], exec
	s_andn2_b64 s[6:7], s[6:7], exec
	s_andn2_b64 s[4:5], s[4:5], exec
	s_and_b64 s[0:1], s[0:1], exec
	s_andn2_b64 s[2:3], s[2:3], exec
	s_or_b64 exec, exec, s[50:51]
	s_and_saveexec_b64 s[48:49], s[2:3]
	s_cbranch_execz .LBB91_37
.LBB91_41:                              ;   in Loop: Header=BB91_3 Depth=1
	v_cmp_eq_u32_e32 vcc, 1, v19
	s_andn2_b64 s[0:1], s[0:1], exec
	s_and_b64 s[2:3], vcc, exec
	s_mov_b64 s[44:45], exec
	s_andn2_b64 s[46:47], s[46:47], exec
	s_andn2_b64 s[42:43], s[42:43], exec
	;; [unrolled: 1-line block ×4, first 2 shown]
	s_or_b64 s[0:1], s[0:1], s[2:3]
	s_or_b64 exec, exec, s[48:49]
	s_and_saveexec_b64 s[2:3], s[0:1]
	s_cbranch_execz .LBB91_45
.LBB91_42:                              ;   in Loop: Header=BB91_3 Depth=1
	s_waitcnt vmcnt(3)
	v_cmp_le_f32_e32 vcc, 0, v4
	v_cmp_ge_f32_e64 s[0:1], 1.0, v4
	s_and_b64 s[50:51], vcc, s[0:1]
	s_mov_b64 s[0:1], 0
	s_and_saveexec_b64 s[48:49], s[50:51]
	s_cbranch_execz .LBB91_44
; %bb.43:                               ;   in Loop: Header=BB91_3 Depth=1
	v_cvt_f32_u32_e32 v10, v12
	v_mov_b32_e32 v11, 0x2f800000
	v_lshlrev_b64 v[8:9], 1, v[8:9]
	v_add_co_u32_e32 v8, vcc, s12, v8
	v_fmac_f32_e32 v11, 0x2f800000, v10
	v_mov_b32_e32 v10, s13
	v_addc_co_u32_e32 v9, vcc, v10, v9, vcc
	v_cmp_le_f32_e32 vcc, v11, v4
	s_mov_b64 s[0:1], exec
	v_cndmask_b32_e32 v4, 0, v36, vcc
	global_store_short v[8:9], v4, off
.LBB91_44:                              ;   in Loop: Header=BB91_3 Depth=1
	s_or_b64 exec, exec, s[48:49]
	s_andn2_b64 s[44:45], s[44:45], exec
	s_and_b64 s[0:1], s[0:1], exec
	s_or_b64 s[46:47], s[46:47], exec
	s_andn2_b64 s[42:43], s[42:43], exec
	s_andn2_b64 s[6:7], s[6:7], exec
	;; [unrolled: 1-line block ×3, first 2 shown]
	s_or_b64 s[44:45], s[44:45], s[0:1]
.LBB91_45:                              ;   in Loop: Header=BB91_3 Depth=1
	s_or_b64 exec, exec, s[2:3]
	s_andn2_b64 s[2:3], s[40:41], exec
	s_and_b64 s[40:41], s[46:47], exec
	s_or_b64 s[40:41], s[2:3], s[40:41]
	s_andn2_b64 s[2:3], s[38:39], exec
	s_and_b64 s[38:39], s[42:43], exec
	s_or_b64 s[38:39], s[2:3], s[38:39]
	s_andn2_b64 s[2:3], s[36:37], exec
	s_and_b64 s[6:7], s[6:7], exec
	s_or_b64 s[36:37], s[2:3], s[6:7]
	s_andn2_b64 s[2:3], s[34:35], exec
	s_and_b64 s[4:5], s[4:5], exec
	s_mov_b64 s[0:1], -1
	s_or_b64 s[34:35], s[2:3], s[4:5]
	s_and_saveexec_b64 s[2:3], s[44:45]
	s_cbranch_execz .LBB91_2
; %bb.46:                               ;   in Loop: Header=BB91_3 Depth=1
	v_add_u32_e32 v0, s55, v0
	v_cmp_le_u32_e32 vcc, s33, v0
	v_subrev_u32_e32 v7, s55, v7
	s_add_i32 s54, s54, s57
	s_andn2_b64 s[40:41], s[40:41], exec
	s_andn2_b64 s[38:39], s[38:39], exec
	;; [unrolled: 1-line block ×4, first 2 shown]
	s_orn2_b64 s[0:1], vcc, exec
	s_branch .LBB91_2
.LBB91_47:
	s_or_b64 exec, exec, s[24:25]
	s_xor_b64 s[6:7], s[30:31], -1
	s_xor_b64 s[8:9], s[28:29], -1
	;; [unrolled: 1-line block ×3, first 2 shown]
	s_mov_b64 s[2:3], 0
	s_and_saveexec_b64 s[4:5], s[0:1]
	s_xor_b64 s[0:1], exec, s[4:5]
	s_cbranch_execnz .LBB91_52
; %bb.48:
	s_andn2_saveexec_b64 s[0:1], s[0:1]
	s_cbranch_execnz .LBB91_60
.LBB91_49:
	s_or_b64 exec, exec, s[0:1]
	s_and_b64 exec, exec, s[2:3]
.LBB91_50:
	; divergent unreachable
.LBB91_51:
	s_endpgm
.LBB91_52:
	s_mov_b64 s[4:5], 0
	s_and_saveexec_b64 s[2:3], s[8:9]
	s_xor_b64 s[2:3], exec, s[2:3]
	s_cbranch_execz .LBB91_58
; %bb.53:
	s_and_saveexec_b64 s[8:9], s[6:7]
	s_xor_b64 s[6:7], exec, s[8:9]
	s_cbranch_execz .LBB91_56
; %bb.54:
	s_and_saveexec_b64 s[8:9], s[20:21]
	s_xor_b64 s[8:9], exec, s[8:9]
	s_cbranch_execnz .LBB91_63
.LBB91_55:
	s_or_b64 exec, exec, s[8:9]
	s_and_b64 s[4:5], s[4:5], exec
.LBB91_56:
	s_andn2_saveexec_b64 s[6:7], s[6:7]
	s_cbranch_execnz .LBB91_62
.LBB91_57:
	s_or_b64 exec, exec, s[6:7]
	s_and_b64 s[4:5], s[4:5], exec
.LBB91_58:
	s_andn2_saveexec_b64 s[2:3], s[2:3]
	s_cbranch_execnz .LBB91_61
.LBB91_59:
	s_or_b64 exec, exec, s[2:3]
	s_and_b64 s[2:3], s[4:5], exec
	s_andn2_saveexec_b64 s[0:1], s[0:1]
	s_cbranch_execz .LBB91_49
.LBB91_60:
	s_or_b64 s[2:3], s[2:3], exec
	s_trap 2
	s_or_b64 exec, exec, s[0:1]
	s_and_b64 exec, exec, s[2:3]
	s_cbranch_execnz .LBB91_50
	s_branch .LBB91_51
.LBB91_61:
	s_or_b64 s[4:5], s[4:5], exec
	s_trap 2
	s_branch .LBB91_59
.LBB91_62:
	s_trap 2
	s_or_b64 s[4:5], s[4:5], exec
	s_branch .LBB91_57
.LBB91_63:
	s_mov_b64 s[4:5], exec
	s_trap 2
	s_branch .LBB91_55
	.section	.rodata,"a",@progbits
	.p2align	6, 0x0
	.amdhsa_kernel _ZN2at4cuda12_GLOBAL__N_121kernelPointwiseApply2IZNS_6native9templates4cuda28bernoulli_tensor_cuda_kernelIN3c104HalfEfEEvRKNS_10TensorBaseESB_NS_15PhiloxCudaStateEEUliRS8_SD_SD_SD_RKfSF_SF_SF_E_S8_SE_jLi2ELi1ELi4ELi512ELi2EEEvNS0_6detail10TensorInfoIT0_T2_EENSI_IT1_SK_EESK_T_
		.amdhsa_group_segment_fixed_size 0
		.amdhsa_private_segment_fixed_size 0
		.amdhsa_kernarg_size 728
		.amdhsa_user_sgpr_count 6
		.amdhsa_user_sgpr_private_segment_buffer 1
		.amdhsa_user_sgpr_dispatch_ptr 0
		.amdhsa_user_sgpr_queue_ptr 0
		.amdhsa_user_sgpr_kernarg_segment_ptr 1
		.amdhsa_user_sgpr_dispatch_id 0
		.amdhsa_user_sgpr_flat_scratch_init 0
		.amdhsa_user_sgpr_kernarg_preload_length 0
		.amdhsa_user_sgpr_kernarg_preload_offset 0
		.amdhsa_user_sgpr_private_segment_size 0
		.amdhsa_uses_dynamic_stack 0
		.amdhsa_system_sgpr_private_segment_wavefront_offset 0
		.amdhsa_system_sgpr_workgroup_id_x 1
		.amdhsa_system_sgpr_workgroup_id_y 0
		.amdhsa_system_sgpr_workgroup_id_z 0
		.amdhsa_system_sgpr_workgroup_info 0
		.amdhsa_system_vgpr_workitem_id 0
		.amdhsa_next_free_vgpr 58
		.amdhsa_next_free_sgpr 60
		.amdhsa_accum_offset 60
		.amdhsa_reserve_vcc 1
		.amdhsa_reserve_flat_scratch 0
		.amdhsa_float_round_mode_32 0
		.amdhsa_float_round_mode_16_64 0
		.amdhsa_float_denorm_mode_32 3
		.amdhsa_float_denorm_mode_16_64 3
		.amdhsa_dx10_clamp 1
		.amdhsa_ieee_mode 1
		.amdhsa_fp16_overflow 0
		.amdhsa_tg_split 0
		.amdhsa_exception_fp_ieee_invalid_op 0
		.amdhsa_exception_fp_denorm_src 0
		.amdhsa_exception_fp_ieee_div_zero 0
		.amdhsa_exception_fp_ieee_overflow 0
		.amdhsa_exception_fp_ieee_underflow 0
		.amdhsa_exception_fp_ieee_inexact 0
		.amdhsa_exception_int_div_zero 0
	.end_amdhsa_kernel
	.section	.text._ZN2at4cuda12_GLOBAL__N_121kernelPointwiseApply2IZNS_6native9templates4cuda28bernoulli_tensor_cuda_kernelIN3c104HalfEfEEvRKNS_10TensorBaseESB_NS_15PhiloxCudaStateEEUliRS8_SD_SD_SD_RKfSF_SF_SF_E_S8_SE_jLi2ELi1ELi4ELi512ELi2EEEvNS0_6detail10TensorInfoIT0_T2_EENSI_IT1_SK_EESK_T_,"axG",@progbits,_ZN2at4cuda12_GLOBAL__N_121kernelPointwiseApply2IZNS_6native9templates4cuda28bernoulli_tensor_cuda_kernelIN3c104HalfEfEEvRKNS_10TensorBaseESB_NS_15PhiloxCudaStateEEUliRS8_SD_SD_SD_RKfSF_SF_SF_E_S8_SE_jLi2ELi1ELi4ELi512ELi2EEEvNS0_6detail10TensorInfoIT0_T2_EENSI_IT1_SK_EESK_T_,comdat
.Lfunc_end91:
	.size	_ZN2at4cuda12_GLOBAL__N_121kernelPointwiseApply2IZNS_6native9templates4cuda28bernoulli_tensor_cuda_kernelIN3c104HalfEfEEvRKNS_10TensorBaseESB_NS_15PhiloxCudaStateEEUliRS8_SD_SD_SD_RKfSF_SF_SF_E_S8_SE_jLi2ELi1ELi4ELi512ELi2EEEvNS0_6detail10TensorInfoIT0_T2_EENSI_IT1_SK_EESK_T_, .Lfunc_end91-_ZN2at4cuda12_GLOBAL__N_121kernelPointwiseApply2IZNS_6native9templates4cuda28bernoulli_tensor_cuda_kernelIN3c104HalfEfEEvRKNS_10TensorBaseESB_NS_15PhiloxCudaStateEEUliRS8_SD_SD_SD_RKfSF_SF_SF_E_S8_SE_jLi2ELi1ELi4ELi512ELi2EEEvNS0_6detail10TensorInfoIT0_T2_EENSI_IT1_SK_EESK_T_
                                        ; -- End function
	.section	.AMDGPU.csdata,"",@progbits
; Kernel info:
; codeLenInByte = 3084
; NumSgprs: 64
; NumVgprs: 58
; NumAgprs: 0
; TotalNumVgprs: 58
; ScratchSize: 0
; MemoryBound: 0
; FloatMode: 240
; IeeeMode: 1
; LDSByteSize: 0 bytes/workgroup (compile time only)
; SGPRBlocks: 7
; VGPRBlocks: 7
; NumSGPRsForWavesPerEU: 64
; NumVGPRsForWavesPerEU: 58
; AccumOffset: 60
; Occupancy: 8
; WaveLimiterHint : 1
; COMPUTE_PGM_RSRC2:SCRATCH_EN: 0
; COMPUTE_PGM_RSRC2:USER_SGPR: 6
; COMPUTE_PGM_RSRC2:TRAP_HANDLER: 0
; COMPUTE_PGM_RSRC2:TGID_X_EN: 1
; COMPUTE_PGM_RSRC2:TGID_Y_EN: 0
; COMPUTE_PGM_RSRC2:TGID_Z_EN: 0
; COMPUTE_PGM_RSRC2:TIDIG_COMP_CNT: 0
; COMPUTE_PGM_RSRC3_GFX90A:ACCUM_OFFSET: 14
; COMPUTE_PGM_RSRC3_GFX90A:TG_SPLIT: 0
	.section	.text._ZN2at4cuda12_GLOBAL__N_121kernelPointwiseApply2IZNS_6native9templates4cuda28bernoulli_tensor_cuda_kernelIN3c104HalfEfEEvRKNS_10TensorBaseESB_NS_15PhiloxCudaStateEEUliRS8_SD_SD_SD_RKfSF_SF_SF_E_S8_SE_jLi2ELi2ELi4ELi512ELi2EEEvNS0_6detail10TensorInfoIT0_T2_EENSI_IT1_SK_EESK_T_,"axG",@progbits,_ZN2at4cuda12_GLOBAL__N_121kernelPointwiseApply2IZNS_6native9templates4cuda28bernoulli_tensor_cuda_kernelIN3c104HalfEfEEvRKNS_10TensorBaseESB_NS_15PhiloxCudaStateEEUliRS8_SD_SD_SD_RKfSF_SF_SF_E_S8_SE_jLi2ELi2ELi4ELi512ELi2EEEvNS0_6detail10TensorInfoIT0_T2_EENSI_IT1_SK_EESK_T_,comdat
	.globl	_ZN2at4cuda12_GLOBAL__N_121kernelPointwiseApply2IZNS_6native9templates4cuda28bernoulli_tensor_cuda_kernelIN3c104HalfEfEEvRKNS_10TensorBaseESB_NS_15PhiloxCudaStateEEUliRS8_SD_SD_SD_RKfSF_SF_SF_E_S8_SE_jLi2ELi2ELi4ELi512ELi2EEEvNS0_6detail10TensorInfoIT0_T2_EENSI_IT1_SK_EESK_T_ ; -- Begin function _ZN2at4cuda12_GLOBAL__N_121kernelPointwiseApply2IZNS_6native9templates4cuda28bernoulli_tensor_cuda_kernelIN3c104HalfEfEEvRKNS_10TensorBaseESB_NS_15PhiloxCudaStateEEUliRS8_SD_SD_SD_RKfSF_SF_SF_E_S8_SE_jLi2ELi2ELi4ELi512ELi2EEEvNS0_6detail10TensorInfoIT0_T2_EENSI_IT1_SK_EESK_T_
	.p2align	8
	.type	_ZN2at4cuda12_GLOBAL__N_121kernelPointwiseApply2IZNS_6native9templates4cuda28bernoulli_tensor_cuda_kernelIN3c104HalfEfEEvRKNS_10TensorBaseESB_NS_15PhiloxCudaStateEEUliRS8_SD_SD_SD_RKfSF_SF_SF_E_S8_SE_jLi2ELi2ELi4ELi512ELi2EEEvNS0_6detail10TensorInfoIT0_T2_EENSI_IT1_SK_EESK_T_,@function
_ZN2at4cuda12_GLOBAL__N_121kernelPointwiseApply2IZNS_6native9templates4cuda28bernoulli_tensor_cuda_kernelIN3c104HalfEfEEvRKNS_10TensorBaseESB_NS_15PhiloxCudaStateEEUliRS8_SD_SD_SD_RKfSF_SF_SF_E_S8_SE_jLi2ELi2ELi4ELi512ELi2EEEvNS0_6detail10TensorInfoIT0_T2_EENSI_IT1_SK_EESK_T_: ; @_ZN2at4cuda12_GLOBAL__N_121kernelPointwiseApply2IZNS_6native9templates4cuda28bernoulli_tensor_cuda_kernelIN3c104HalfEfEEvRKNS_10TensorBaseESB_NS_15PhiloxCudaStateEEUliRS8_SD_SD_SD_RKfSF_SF_SF_E_S8_SE_jLi2ELi2ELi4ELi512ELi2EEEvNS0_6detail10TensorInfoIT0_T2_EENSI_IT1_SK_EESK_T_
; %bb.0:
	s_load_dword s2, s[4:5], 0x1e4
	s_load_dword s33, s[4:5], 0x1b0
	s_add_u32 s0, s4, 0x1d8
	s_addc_u32 s1, s5, 0
	s_waitcnt lgkmcnt(0)
	s_and_b32 s18, s2, 0xffff
	s_mul_i32 s6, s6, s18
	v_add_u32_e32 v1, s6, v0
	v_lshlrev_b32_e32 v0, 2, v1
	v_cmp_gt_u32_e32 vcc, s33, v0
	s_and_saveexec_b64 s[2:3], vcc
	s_cbranch_execz .LBB92_59
; %bb.1:
	s_load_dwordx2 s[2:3], s[4:5], 0x0
	s_load_dword s54, s[4:5], 0xc
	s_load_dwordx2 s[6:7], s[4:5], 0x6c
	s_load_dwordx2 s[12:13], s[4:5], 0xd8
	s_load_dword s19, s[0:1], 0x0
	s_load_dword s20, s[4:5], 0x1d0
	;; [unrolled: 1-line block ×3, first 2 shown]
	s_load_dwordx2 s[14:15], s[4:5], 0x144
	s_load_dwordx2 s[16:17], s[4:5], 0x1c8
	s_load_dwordx4 s[8:11], s[4:5], 0x1b8
	s_waitcnt lgkmcnt(0)
	v_cvt_f32_u32_e32 v4, s54
	v_cvt_f32_u32_e32 v7, s55
	s_mov_b32 s56, 0xcd9e8d57
	v_mad_u64_u32 v[2:3], s[0:1], v1, s56, 0
	v_rcp_iflag_f32_e32 v4, v4
	v_mov_b32_e32 v6, v3
	s_bitcmp1_b32 s20, 0
	s_cselect_b64 s[4:5], -1, 0
	v_mul_f32_e32 v3, 0x4f7ffffe, v4
	v_rcp_iflag_f32_e32 v4, v7
	v_cvt_u32_f32_e32 v3, v3
	s_sub_i32 s58, 0, s54
	s_sub_i32 s59, 0, s55
	v_mul_f32_e32 v4, 0x4f7ffffe, v4
	v_cvt_u32_f32_e32 v4, v4
	v_mul_lo_u32 v7, s58, v3
	v_mul_hi_u32 v7, v3, v7
	v_add_u32_e32 v3, v3, v7
	v_mul_lo_u32 v7, s59, v4
	s_mul_i32 s19, s19, s18
	v_mul_hi_u32 v7, v4, v7
	v_mov_b32_e32 v5, 0
	s_lshl_b32 s57, s19, 2
	v_add_u32_e32 v7, v4, v7
	v_sub_u32_e32 v32, s33, v0
	s_mov_b64 s[20:21], 0
	s_mov_b32 s60, 0xd2511f53
	s_mov_b32 s61, 0xf1bbcdc8
	v_mov_b32_e32 v33, 0x3c00
                                        ; implicit-def: $sgpr22_sgpr23
                                        ; implicit-def: $sgpr24_sgpr25
                                        ; implicit-def: $sgpr26_sgpr27
                                        ; implicit-def: $sgpr18_sgpr19
                                        ; implicit-def: $sgpr28_sgpr29
                                        ; implicit-def: $sgpr30_sgpr31
                                        ; implicit-def: $sgpr34_sgpr35
                                        ; implicit-def: $sgpr36_sgpr37
	s_branch .LBB92_3
.LBB92_2:                               ;   in Loop: Header=BB92_3 Depth=1
	s_or_b64 exec, exec, s[38:39]
	s_and_b64 s[0:1], exec, s[0:1]
	s_or_b64 s[20:21], s[0:1], s[20:21]
	s_andn2_b64 s[0:1], s[18:19], exec
	s_and_b64 s[18:19], s[36:37], exec
	s_or_b64 s[18:19], s[0:1], s[18:19]
	s_andn2_b64 s[0:1], s[26:27], exec
	s_and_b64 s[26:27], s[34:35], exec
	;; [unrolled: 3-line block ×4, first 2 shown]
	s_or_b64 s[22:23], s[0:1], s[22:23]
	s_andn2_b64 exec, exec, s[20:21]
	s_cbranch_execz .LBB92_55
.LBB92_3:                               ; =>This Inner Loop Header: Depth=1
	v_cmp_lt_i32_e32 vcc, 0, v32
	v_mov_b32_e32 v8, 0
	s_and_saveexec_b64 s[38:39], vcc
	s_cbranch_execz .LBB92_5
; %bb.4:                                ;   in Loop: Header=BB92_3 Depth=1
	s_waitcnt vmcnt(3)
	v_mul_hi_u32 v4, v3, v0
	v_not_b32_e32 v10, v4
	s_waitcnt vmcnt(2)
	v_mad_u64_u32 v[8:9], s[0:1], s58, v4, v[0:1]
	v_add_u32_e32 v9, 1, v4
	v_cmp_le_u32_e64 s[0:1], s54, v8
	v_mad_u64_u32 v[10:11], s[40:41], s54, v10, v[0:1]
	v_cndmask_b32_e64 v4, v4, v9, s[0:1]
	v_cndmask_b32_e64 v8, v8, v10, s[0:1]
	v_add_u32_e32 v9, 1, v4
	v_cmp_le_u32_e64 s[0:1], s54, v8
	v_cndmask_b32_e64 v10, v4, v9, s[0:1]
	v_mad_u64_u32 v[8:9], s[0:1], s58, v10, v[0:1]
	v_mul_lo_u32 v4, v8, s7
	v_mad_u64_u32 v[8:9], s[0:1], v10, s6, v[4:5]
.LBB92_5:                               ;   in Loop: Header=BB92_3 Depth=1
	s_or_b64 exec, exec, s[38:39]
	s_waitcnt vmcnt(3)
	v_mov_b32_e32 v4, 0
	s_and_saveexec_b64 s[0:1], vcc
	s_cbranch_execz .LBB92_7
; %bb.6:                                ;   in Loop: Header=BB92_3 Depth=1
	v_mul_hi_u32 v4, v7, v0
	s_waitcnt vmcnt(2)
	v_not_b32_e32 v9, v4
	v_mad_u64_u32 v[10:11], s[38:39], s59, v4, v[0:1]
	v_add_u32_e32 v11, 1, v4
	v_cmp_le_u32_e32 vcc, s55, v10
	v_mad_u64_u32 v[12:13], s[38:39], s55, v9, v[0:1]
	v_cndmask_b32_e32 v4, v4, v11, vcc
	v_cndmask_b32_e32 v9, v10, v12, vcc
	v_add_u32_e32 v10, 1, v4
	v_cmp_le_u32_e32 vcc, s55, v9
	v_cndmask_b32_e32 v9, v4, v10, vcc
	v_mad_u64_u32 v[10:11], s[38:39], s59, v9, v[0:1]
	v_mul_lo_u32 v4, v10, s15
	v_mad_u64_u32 v[10:11], s[38:39], v9, s14, v[4:5]
	v_mov_b32_e32 v4, v10
.LBB92_7:                               ;   in Loop: Header=BB92_3 Depth=1
	s_or_b64 exec, exec, s[0:1]
	v_pk_mov_b32 v[14:15], 0, 0
	s_waitcnt vmcnt(2)
	v_add_u32_e32 v9, 1, v0
	v_cmp_lt_i32_e32 vcc, 1, v32
	v_pk_mov_b32 v[10:11], v[14:15], v[14:15] op_sel:[0,1]
	s_and_saveexec_b64 s[38:39], vcc
	s_cbranch_execz .LBB92_9
; %bb.8:                                ;   in Loop: Header=BB92_3 Depth=1
	v_mul_hi_u32 v10, v9, v3
	v_mul_lo_u32 v11, v10, s54
	v_sub_u32_e32 v11, v9, v11
	v_add_u32_e32 v12, 1, v10
	v_cmp_le_u32_e64 s[0:1], s54, v11
	v_cndmask_b32_e64 v10, v10, v12, s[0:1]
	v_subrev_u32_e32 v12, s54, v11
	v_cndmask_b32_e64 v11, v11, v12, s[0:1]
	v_add_u32_e32 v12, 1, v10
	v_cmp_le_u32_e64 s[0:1], s54, v11
	v_cndmask_b32_e64 v11, v10, v12, s[0:1]
	v_mul_lo_u32 v10, v11, s54
	v_sub_u32_e32 v10, v9, v10
	v_mul_lo_u32 v10, v10, s7
	v_mad_u64_u32 v[10:11], s[0:1], v11, s6, v[10:11]
	v_mov_b32_e32 v11, v5
.LBB92_9:                               ;   in Loop: Header=BB92_3 Depth=1
	s_or_b64 exec, exec, s[38:39]
	s_and_saveexec_b64 s[0:1], vcc
	s_cbranch_execz .LBB92_11
; %bb.10:                               ;   in Loop: Header=BB92_3 Depth=1
	v_mul_hi_u32 v12, v9, v7
	v_mul_lo_u32 v13, v12, s55
	v_sub_u32_e32 v13, v9, v13
	v_add_u32_e32 v14, 1, v12
	v_cmp_le_u32_e32 vcc, s55, v13
	v_cndmask_b32_e32 v12, v12, v14, vcc
	v_subrev_u32_e32 v14, s55, v13
	v_cndmask_b32_e32 v13, v13, v14, vcc
	v_add_u32_e32 v14, 1, v12
	v_cmp_le_u32_e32 vcc, s55, v13
	v_cndmask_b32_e32 v13, v12, v14, vcc
	v_mul_lo_u32 v12, v13, s55
	v_sub_u32_e32 v9, v9, v12
	v_mul_lo_u32 v12, v9, s15
	v_mad_u64_u32 v[14:15], s[38:39], v13, s14, v[12:13]
	v_mov_b32_e32 v15, v5
.LBB92_11:                              ;   in Loop: Header=BB92_3 Depth=1
	s_or_b64 exec, exec, s[0:1]
	v_pk_mov_b32 v[18:19], 0, 0
	v_add_u32_e32 v9, 2, v0
	v_cmp_lt_i32_e32 vcc, 2, v32
	v_pk_mov_b32 v[12:13], v[18:19], v[18:19] op_sel:[0,1]
	s_and_saveexec_b64 s[38:39], vcc
	s_cbranch_execz .LBB92_13
; %bb.12:                               ;   in Loop: Header=BB92_3 Depth=1
	v_mul_hi_u32 v12, v9, v3
	v_mul_lo_u32 v13, v12, s54
	v_sub_u32_e32 v13, v9, v13
	v_add_u32_e32 v16, 1, v12
	v_cmp_le_u32_e64 s[0:1], s54, v13
	v_cndmask_b32_e64 v12, v12, v16, s[0:1]
	v_subrev_u32_e32 v16, s54, v13
	v_cndmask_b32_e64 v13, v13, v16, s[0:1]
	v_add_u32_e32 v16, 1, v12
	v_cmp_le_u32_e64 s[0:1], s54, v13
	v_cndmask_b32_e64 v13, v12, v16, s[0:1]
	v_mul_lo_u32 v12, v13, s54
	v_sub_u32_e32 v12, v9, v12
	v_mul_lo_u32 v12, v12, s7
	v_mad_u64_u32 v[12:13], s[0:1], v13, s6, v[12:13]
	v_mov_b32_e32 v13, v5
.LBB92_13:                              ;   in Loop: Header=BB92_3 Depth=1
	s_or_b64 exec, exec, s[38:39]
	s_and_saveexec_b64 s[0:1], vcc
	s_cbranch_execz .LBB92_15
; %bb.14:                               ;   in Loop: Header=BB92_3 Depth=1
	v_mul_hi_u32 v16, v9, v7
	v_mul_lo_u32 v17, v16, s55
	v_sub_u32_e32 v17, v9, v17
	v_add_u32_e32 v18, 1, v16
	v_cmp_le_u32_e32 vcc, s55, v17
	v_cndmask_b32_e32 v16, v16, v18, vcc
	v_subrev_u32_e32 v18, s55, v17
	v_cndmask_b32_e32 v17, v17, v18, vcc
	v_add_u32_e32 v18, 1, v16
	v_cmp_le_u32_e32 vcc, s55, v17
	v_cndmask_b32_e32 v17, v16, v18, vcc
	v_mul_lo_u32 v16, v17, s55
	v_sub_u32_e32 v9, v9, v16
	v_mul_lo_u32 v16, v9, s15
	v_mad_u64_u32 v[18:19], s[38:39], v17, s14, v[16:17]
	v_mov_b32_e32 v19, v5
.LBB92_15:                              ;   in Loop: Header=BB92_3 Depth=1
	s_or_b64 exec, exec, s[0:1]
	v_pk_mov_b32 v[20:21], 0, 0
	v_add_u32_e32 v9, 3, v0
	v_cmp_lt_i32_e32 vcc, 3, v32
	v_pk_mov_b32 v[16:17], v[20:21], v[20:21] op_sel:[0,1]
	s_and_saveexec_b64 s[38:39], vcc
	s_cbranch_execz .LBB92_17
; %bb.16:                               ;   in Loop: Header=BB92_3 Depth=1
	v_mul_hi_u32 v16, v9, v3
	v_mul_lo_u32 v17, v16, s54
	v_sub_u32_e32 v17, v9, v17
	v_add_u32_e32 v22, 1, v16
	v_cmp_le_u32_e64 s[0:1], s54, v17
	v_cndmask_b32_e64 v16, v16, v22, s[0:1]
	v_subrev_u32_e32 v22, s54, v17
	v_cndmask_b32_e64 v17, v17, v22, s[0:1]
	v_add_u32_e32 v22, 1, v16
	v_cmp_le_u32_e64 s[0:1], s54, v17
	v_cndmask_b32_e64 v17, v16, v22, s[0:1]
	v_mul_lo_u32 v16, v17, s54
	v_sub_u32_e32 v16, v9, v16
	v_mul_lo_u32 v16, v16, s7
	v_mad_u64_u32 v[16:17], s[0:1], v17, s6, v[16:17]
	v_mov_b32_e32 v17, v5
.LBB92_17:                              ;   in Loop: Header=BB92_3 Depth=1
	s_or_b64 exec, exec, s[38:39]
	s_and_saveexec_b64 s[0:1], vcc
	s_cbranch_execz .LBB92_19
; %bb.18:                               ;   in Loop: Header=BB92_3 Depth=1
	v_mul_hi_u32 v20, v9, v7
	v_mul_lo_u32 v21, v20, s55
	v_sub_u32_e32 v21, v9, v21
	v_add_u32_e32 v22, 1, v20
	v_cmp_le_u32_e32 vcc, s55, v21
	v_cndmask_b32_e32 v20, v20, v22, vcc
	v_subrev_u32_e32 v22, s55, v21
	v_cndmask_b32_e32 v21, v21, v22, vcc
	v_add_u32_e32 v22, 1, v20
	v_cmp_le_u32_e32 vcc, s55, v21
	v_cndmask_b32_e32 v21, v20, v22, vcc
	v_mul_lo_u32 v20, v21, s55
	v_sub_u32_e32 v9, v9, v20
	v_mul_lo_u32 v20, v9, s15
	v_mad_u64_u32 v[20:21], s[38:39], v21, s14, v[20:21]
	v_mov_b32_e32 v21, v5
.LBB92_19:                              ;   in Loop: Header=BB92_3 Depth=1
	s_or_b64 exec, exec, s[0:1]
	v_lshlrev_b64 v[22:23], 2, v[4:5]
	v_mov_b32_e32 v4, s13
	v_add_co_u32_e32 v22, vcc, s12, v22
	v_addc_co_u32_e32 v23, vcc, v4, v23, vcc
	v_lshlrev_b64 v[14:15], 2, v[14:15]
	v_add_co_u32_e32 v14, vcc, s12, v14
	v_addc_co_u32_e32 v15, vcc, v4, v15, vcc
	v_lshlrev_b64 v[18:19], 2, v[18:19]
	;; [unrolled: 3-line block ×3, first 2 shown]
	v_add_co_u32_e32 v20, vcc, s12, v20
	v_addc_co_u32_e32 v21, vcc, v4, v21, vcc
	global_load_dword v4, v[22:23], off
	global_load_dword v9, v[14:15], off
	;; [unrolled: 1-line block ×4, first 2 shown]
	s_andn2_b64 vcc, exec, s[4:5]
	v_pk_mov_b32 v[14:15], s[10:11], s[10:11] op_sel:[0,1]
	v_pk_mov_b32 v[18:19], s[8:9], s[8:9] op_sel:[0,1]
	s_cbranch_vccnz .LBB92_21
; %bb.20:                               ;   in Loop: Header=BB92_3 Depth=1
	v_pk_mov_b32 v[14:15], s[10:11], s[10:11] op_sel:[0,1]
	flat_load_dwordx2 v[14:15], v[14:15]
	v_pk_mov_b32 v[18:19], s[8:9], s[8:9] op_sel:[0,1]
	flat_load_dwordx2 v[18:19], v[18:19]
	v_mov_b32_e32 v20, s17
	s_waitcnt vmcnt(0) lgkmcnt(0)
	v_add_co_u32_e32 v14, vcc, s16, v14
	v_addc_co_u32_e32 v15, vcc, v15, v20, vcc
.LBB92_21:                              ;   in Loop: Header=BB92_3 Depth=1
	v_alignbit_b32 v28, v15, v14, 2
	v_lshrrev_b32_e32 v29, 2, v15
	v_xor_b32_e32 v20, v6, v18
	v_and_b32_e32 v36, 3, v14
	v_mad_u64_u32 v[14:15], s[0:1], v28, s60, 0
	v_xor_b32_e32 v20, v20, v29
	v_xor_b32_e32 v15, v15, v19
	v_add_u32_e32 v41, 0xbb67ae85, v19
	v_mad_u64_u32 v[20:21], s[0:1], v20, s60, 0
	v_mad_u64_u32 v[22:23], s[0:1], v15, s56, 0
	v_xor_b32_e32 v21, v41, v21
	v_add_u32_e32 v40, 0x9e3779b9, v18
	v_xor_b32_e32 v15, v2, v23
	v_xor_b32_e32 v21, v21, v14
	v_xor_b32_e32 v15, v15, v40
	v_add_u32_e32 v42, 0x3c6ef372, v18
	v_mad_u64_u32 v[24:25], s[0:1], v21, s56, 0
	v_add_u32_e32 v43, 0x76cf5d0a, v19
	v_mad_u64_u32 v[14:15], s[0:1], v15, s60, 0
	v_xor_b32_e32 v21, v42, v25
	v_xor_b32_e32 v21, v21, v22
	v_xor_b32_e32 v15, v43, v15
	v_xor_b32_e32 v15, v15, v20
	v_add_u32_e32 v45, 0x32370b8f, v19
	v_mad_u64_u32 v[20:21], s[0:1], v21, s60, 0
	v_add_u32_e32 v44, 0xdaa66d2b, v18
	v_mad_u64_u32 v[22:23], s[0:1], v15, s56, 0
	v_xor_b32_e32 v21, v45, v21
	;; [unrolled: 8-line block ×5, first 2 shown]
	v_xor_b32_e32 v21, v21, v22
	v_xor_b32_e32 v15, v51, v15
	;; [unrolled: 1-line block ×3, first 2 shown]
	v_add_u32_e32 v53, 0x1fd5c5a3, v19
	v_mad_u64_u32 v[20:21], s[0:1], v21, s60, 0
	v_xor_b32_e32 v21, v53, v21
	v_xor_b32_e32 v14, v21, v14
	v_add_u32_e32 v52, 0x5384540f, v18
	v_mad_u64_u32 v[26:27], s[0:1], v15, s56, 0
	v_add_co_u32_e32 v38, vcc, s61, v18
	v_mad_u64_u32 v[22:23], s[0:1], v14, s56, 0
	v_xor_b32_e32 v15, v52, v27
	v_xor_b32_e32 v14, v38, v23
	;; [unrolled: 1-line block ×4, first 2 shown]
	v_mad_u64_u32 v[24:25], s[0:1], v15, s60, 0
	v_mad_u64_u32 v[14:15], s[0:1], v14, s60, 0
	v_add_u32_e32 v39, 0x96a522ad, v19
	v_xor_b32_e32 v15, v15, v24
	v_xor_b32_e32 v37, v39, v15
	v_add_co_u32_e32 v15, vcc, 1, v28
	v_cndmask_b32_e64 v24, 0, 1, vcc
	v_addc_co_u32_e32 v30, vcc, 0, v29, vcc
	v_cmp_eq_u32_e32 vcc, 0, v30
	v_cndmask_b32_e32 v24, 0, v24, vcc
	v_add_u32_e32 v28, v24, v1
	v_cmp_eq_u32_e32 vcc, 0, v28
	v_mad_u64_u32 v[26:27], s[0:1], v15, s60, 0
	v_mad_u64_u32 v[28:29], s[0:1], v28, s56, 0
	v_add_u32_e32 v23, 0x8ff34781, v18
	v_cndmask_b32_e32 v24, 0, v24, vcc
	v_xor_b32_e32 v15, v29, v18
	v_xor_b32_e32 v18, v27, v19
	;; [unrolled: 1-line block ×4, first 2 shown]
	v_mad_u64_u32 v[30:31], s[0:1], v24, s56, 0
	v_add_u32_e32 v21, 0xdb3d7428, v19
	v_mad_u64_u32 v[18:19], s[0:1], v15, s60, 0
	v_xor_b32_e32 v15, v40, v31
	v_xor_b32_e32 v15, v15, v28
	v_xor_b32_e32 v19, v41, v19
	v_xor_b32_e32 v19, v19, v26
	v_mad_u64_u32 v[26:27], s[0:1], v15, s60, 0
	v_mad_u64_u32 v[28:29], s[0:1], v19, s56, 0
	v_xor_b32_e32 v19, v43, v27
	v_xor_b32_e32 v15, v42, v29
	v_xor_b32_e32 v24, v19, v18
	v_xor_b32_e32 v15, v15, v30
	v_mad_u64_u32 v[30:31], s[0:1], v24, s56, 0
	;; [unrolled: 6-line block ×7, first 2 shown]
	v_xor_b32_e32 v15, v21, v29
	v_xor_b32_e32 v15, v15, v18
	v_mad_u64_u32 v[30:31], s[0:1], v19, s56, 0
	v_mad_u64_u32 v[18:19], s[0:1], v15, s56, 0
	v_xor_b32_e32 v15, v19, v30
	v_xor_b32_e32 v15, v23, v15
	v_cmp_lt_i32_e32 vcc, 1, v36
                                        ; implicit-def: $vgpr27
	s_and_saveexec_b64 s[0:1], vcc
	s_xor_b64 s[0:1], exec, s[0:1]
	s_cbranch_execz .LBB92_27
; %bb.22:                               ;   in Loop: Header=BB92_3 Depth=1
	v_cmp_lt_i32_e32 vcc, 2, v36
                                        ; implicit-def: $vgpr27
	s_and_saveexec_b64 s[38:39], vcc
	s_xor_b64 s[38:39], exec, s[38:39]
; %bb.23:                               ;   in Loop: Header=BB92_3 Depth=1
	v_xor_b32_e32 v19, v38, v31
	v_xor_b32_e32 v19, v19, v26
	v_mul_hi_u32 v19, v19, s60
	v_xor_b32_e32 v19, v19, v28
	v_xor_b32_e32 v27, v39, v19
                                        ; implicit-def: $vgpr37
; %bb.24:                               ;   in Loop: Header=BB92_3 Depth=1
	s_andn2_saveexec_b64 s[38:39], s[38:39]
; %bb.25:                               ;   in Loop: Header=BB92_3 Depth=1
	v_mov_b32_e32 v27, v18
	v_mov_b32_e32 v18, v15
	;; [unrolled: 1-line block ×4, first 2 shown]
; %bb.26:                               ;   in Loop: Header=BB92_3 Depth=1
	s_or_b64 exec, exec, s[38:39]
                                        ; implicit-def: $vgpr20_vgpr21
                                        ; implicit-def: $vgpr22_vgpr23
                                        ; implicit-def: $vgpr36
                                        ; implicit-def: $vgpr37
                                        ; implicit-def: $vgpr24_vgpr25
                                        ; implicit-def: $vgpr21
                                        ; implicit-def: $vgpr23
.LBB92_27:                              ;   in Loop: Header=BB92_3 Depth=1
	s_andn2_saveexec_b64 s[0:1], s[0:1]
	s_cbranch_execz .LBB92_31
; %bb.28:                               ;   in Loop: Header=BB92_3 Depth=1
	v_xor_b32_e32 v18, v21, v25
	v_xor_b32_e32 v18, v18, v20
	v_mad_u64_u32 v[20:21], s[38:39], v18, s56, 0
	v_xor_b32_e32 v18, v21, v22
	v_xor_b32_e32 v19, v23, v18
	v_cmp_eq_u32_e32 vcc, 1, v36
	v_mov_b32_e32 v27, v14
	v_mov_b32_e32 v18, v37
	v_mov_b32_e32 v21, v20
	s_and_saveexec_b64 s[38:39], vcc
; %bb.29:                               ;   in Loop: Header=BB92_3 Depth=1
	v_mov_b32_e32 v27, v15
	v_mov_b32_e32 v18, v14
	;; [unrolled: 1-line block ×4, first 2 shown]
; %bb.30:                               ;   in Loop: Header=BB92_3 Depth=1
	s_or_b64 exec, exec, s[38:39]
	v_mov_b32_e32 v14, v19
	v_mov_b32_e32 v15, v21
.LBB92_31:                              ;   in Loop: Header=BB92_3 Depth=1
	s_or_b64 exec, exec, s[0:1]
	v_min_i32_e32 v19, 4, v32
	v_cmp_lt_i32_e32 vcc, 2, v19
	s_mov_b64 s[38:39], 0
	s_mov_b64 s[50:51], 0
                                        ; implicit-def: $sgpr40_sgpr41
                                        ; implicit-def: $sgpr42_sgpr43
                                        ; implicit-def: $sgpr44_sgpr45
	s_and_saveexec_b64 s[0:1], vcc
	s_xor_b64 s[46:47], exec, s[0:1]
	s_cbranch_execz .LBB92_41
; %bb.32:                               ;   in Loop: Header=BB92_3 Depth=1
	v_cmp_lt_i32_e32 vcc, 3, v19
	s_mov_b64 s[44:45], -1
                                        ; implicit-def: $sgpr40_sgpr41
                                        ; implicit-def: $sgpr48_sgpr49
	s_and_saveexec_b64 s[42:43], vcc
	s_cbranch_execz .LBB92_36
; %bb.33:                               ;   in Loop: Header=BB92_3 Depth=1
	s_waitcnt vmcnt(0)
	v_cmp_le_f32_e32 vcc, 0, v35
	v_cmp_ge_f32_e64 s[0:1], 1.0, v35
	s_and_b64 s[48:49], vcc, s[0:1]
	s_mov_b64 s[40:41], 0
	s_mov_b64 s[0:1], 0
	s_and_saveexec_b64 s[44:45], s[48:49]
	s_cbranch_execz .LBB92_35
; %bb.34:                               ;   in Loop: Header=BB92_3 Depth=1
	v_cvt_f32_u32_e32 v20, v27
	v_mov_b32_e32 v21, 0x2f800000
	v_lshlrev_b64 v[16:17], 1, v[16:17]
	v_add_co_u32_e32 v16, vcc, s2, v16
	v_fmac_f32_e32 v21, 0x2f800000, v20
	v_mov_b32_e32 v20, s3
	v_addc_co_u32_e32 v17, vcc, v20, v17, vcc
	v_cmp_le_f32_e32 vcc, v21, v35
	s_mov_b64 s[0:1], exec
	v_cndmask_b32_e32 v20, 0, v33, vcc
	global_store_short v[16:17], v20, off
.LBB92_35:                              ;   in Loop: Header=BB92_3 Depth=1
	s_or_b64 exec, exec, s[44:45]
	s_mov_b64 s[48:49], -1
	s_orn2_b64 s[44:45], s[0:1], exec
.LBB92_36:                              ;   in Loop: Header=BB92_3 Depth=1
	s_or_b64 exec, exec, s[42:43]
	s_mov_b64 s[0:1], 0
	s_mov_b64 s[50:51], s[40:41]
	s_and_saveexec_b64 s[42:43], s[44:45]
	s_cbranch_execz .LBB92_40
; %bb.37:                               ;   in Loop: Header=BB92_3 Depth=1
	s_waitcnt vmcnt(1)
	v_cmp_le_f32_e32 vcc, 0, v34
	v_cmp_ge_f32_e64 s[0:1], 1.0, v34
	s_and_b64 s[44:45], vcc, s[0:1]
	s_mov_b64 s[0:1], 0
	s_and_saveexec_b64 s[50:51], s[44:45]
	s_xor_b64 s[44:45], exec, s[50:51]
	s_cbranch_execz .LBB92_39
; %bb.38:                               ;   in Loop: Header=BB92_3 Depth=1
	v_cvt_f32_u32_e32 v16, v18
	v_mov_b32_e32 v17, 0x2f800000
	v_lshlrev_b64 v[12:13], 1, v[12:13]
	v_add_co_u32_e32 v12, vcc, s2, v12
	v_fmac_f32_e32 v17, 0x2f800000, v16
	v_mov_b32_e32 v16, s3
	v_addc_co_u32_e32 v13, vcc, v16, v13, vcc
	v_cmp_le_f32_e32 vcc, v17, v34
	v_cndmask_b32_e32 v16, 0, v33, vcc
	s_mov_b64 s[0:1], exec
	global_store_short v[12:13], v16, off
.LBB92_39:                              ;   in Loop: Header=BB92_3 Depth=1
	s_or_b64 exec, exec, s[44:45]
	s_andn2_b64 s[50:51], s[40:41], exec
	s_or_b64 s[40:41], s[40:41], exec
	s_andn2_b64 s[48:49], s[48:49], exec
	s_and_b64 s[0:1], s[0:1], exec
.LBB92_40:                              ;   in Loop: Header=BB92_3 Depth=1
	s_or_b64 exec, exec, s[42:43]
	s_and_b64 s[44:45], s[50:51], exec
	s_and_b64 s[42:43], s[40:41], exec
	;; [unrolled: 1-line block ×4, first 2 shown]
.LBB92_41:                              ;   in Loop: Header=BB92_3 Depth=1
	s_andn2_saveexec_b64 s[0:1], s[46:47]
; %bb.42:                               ;   in Loop: Header=BB92_3 Depth=1
	v_cmp_lt_i32_e32 vcc, 1, v19
	s_andn2_b64 s[46:47], s[50:51], exec
	s_and_b64 s[48:49], vcc, exec
	s_mov_b64 s[38:39], exec
	s_andn2_b64 s[44:45], s[44:45], exec
	s_andn2_b64 s[42:43], s[42:43], exec
	;; [unrolled: 1-line block ×3, first 2 shown]
	s_or_b64 s[50:51], s[46:47], s[48:49]
; %bb.43:                               ;   in Loop: Header=BB92_3 Depth=1
	s_or_b64 exec, exec, s[0:1]
	s_mov_b64 s[46:47], 0
	s_mov_b64 s[0:1], 0
	;; [unrolled: 1-line block ×3, first 2 shown]
	s_and_saveexec_b64 s[52:53], s[50:51]
	s_cbranch_execnz .LBB92_46
; %bb.44:                               ;   in Loop: Header=BB92_3 Depth=1
	s_or_b64 exec, exec, s[52:53]
	s_and_saveexec_b64 s[50:51], s[38:39]
	s_cbranch_execnz .LBB92_49
.LBB92_45:                              ;   in Loop: Header=BB92_3 Depth=1
	s_or_b64 exec, exec, s[50:51]
	s_and_saveexec_b64 s[38:39], s[0:1]
	s_cbranch_execnz .LBB92_50
	s_branch .LBB92_53
.LBB92_46:                              ;   in Loop: Header=BB92_3 Depth=1
	s_waitcnt vmcnt(2)
	v_cmp_le_f32_e32 vcc, 0, v9
	v_cmp_ge_f32_e64 s[0:1], 1.0, v9
	s_and_b64 s[48:49], vcc, s[0:1]
	s_mov_b64 s[0:1], 0
	s_and_saveexec_b64 s[50:51], s[48:49]
	s_xor_b64 s[48:49], exec, s[50:51]
	s_cbranch_execz .LBB92_48
; %bb.47:                               ;   in Loop: Header=BB92_3 Depth=1
	v_cvt_f32_u32_e32 v12, v15
	v_mov_b32_e32 v13, 0x2f800000
	v_lshlrev_b64 v[10:11], 1, v[10:11]
	v_add_co_u32_e32 v10, vcc, s2, v10
	v_fmac_f32_e32 v13, 0x2f800000, v12
	v_mov_b32_e32 v12, s3
	v_addc_co_u32_e32 v11, vcc, v12, v11, vcc
	v_cmp_le_f32_e32 vcc, v13, v9
	v_cndmask_b32_e32 v9, 0, v33, vcc
	s_mov_b64 s[0:1], exec
	global_store_short v[10:11], v9, off
.LBB92_48:                              ;   in Loop: Header=BB92_3 Depth=1
	s_or_b64 exec, exec, s[48:49]
	s_andn2_b64 s[48:49], s[44:45], exec
	s_or_b64 s[44:45], s[44:45], exec
	s_andn2_b64 s[42:43], s[42:43], exec
	s_andn2_b64 s[40:41], s[40:41], exec
	s_and_b64 s[0:1], s[0:1], exec
	s_andn2_b64 s[38:39], s[38:39], exec
	s_or_b64 exec, exec, s[52:53]
	s_and_saveexec_b64 s[50:51], s[38:39]
	s_cbranch_execz .LBB92_45
.LBB92_49:                              ;   in Loop: Header=BB92_3 Depth=1
	v_cmp_eq_u32_e32 vcc, 1, v19
	s_andn2_b64 s[0:1], s[0:1], exec
	s_and_b64 s[38:39], vcc, exec
	s_mov_b64 s[46:47], exec
	s_andn2_b64 s[48:49], s[48:49], exec
	s_andn2_b64 s[44:45], s[44:45], exec
	;; [unrolled: 1-line block ×4, first 2 shown]
	s_or_b64 s[0:1], s[0:1], s[38:39]
	s_or_b64 exec, exec, s[50:51]
	s_and_saveexec_b64 s[38:39], s[0:1]
	s_cbranch_execz .LBB92_53
.LBB92_50:                              ;   in Loop: Header=BB92_3 Depth=1
	s_waitcnt vmcnt(3)
	v_cmp_le_f32_e32 vcc, 0, v4
	v_cmp_ge_f32_e64 s[0:1], 1.0, v4
	s_and_b64 s[52:53], vcc, s[0:1]
	s_mov_b64 s[0:1], 0
	s_and_saveexec_b64 s[50:51], s[52:53]
	s_cbranch_execz .LBB92_52
; %bb.51:                               ;   in Loop: Header=BB92_3 Depth=1
	v_cvt_f32_u32_e32 v10, v14
	s_waitcnt vmcnt(2)
	v_mov_b32_e32 v9, v5
	v_mov_b32_e32 v11, 0x2f800000
	v_lshlrev_b64 v[8:9], 1, v[8:9]
	v_fmac_f32_e32 v11, 0x2f800000, v10
	v_mov_b32_e32 v10, s3
	v_add_co_u32_e32 v8, vcc, s2, v8
	v_addc_co_u32_e32 v9, vcc, v10, v9, vcc
	v_cmp_le_f32_e32 vcc, v11, v4
	s_mov_b64 s[0:1], exec
	v_cndmask_b32_e32 v4, 0, v33, vcc
	global_store_short v[8:9], v4, off
.LBB92_52:                              ;   in Loop: Header=BB92_3 Depth=1
	s_or_b64 exec, exec, s[50:51]
	s_andn2_b64 s[46:47], s[46:47], exec
	s_and_b64 s[0:1], s[0:1], exec
	s_or_b64 s[48:49], s[48:49], exec
	s_andn2_b64 s[44:45], s[44:45], exec
	s_andn2_b64 s[42:43], s[42:43], exec
	;; [unrolled: 1-line block ×3, first 2 shown]
	s_or_b64 s[46:47], s[46:47], s[0:1]
.LBB92_53:                              ;   in Loop: Header=BB92_3 Depth=1
	s_or_b64 exec, exec, s[38:39]
	s_andn2_b64 s[36:37], s[36:37], exec
	s_and_b64 s[38:39], s[48:49], exec
	s_or_b64 s[36:37], s[36:37], s[38:39]
	s_andn2_b64 s[34:35], s[34:35], exec
	s_and_b64 s[38:39], s[44:45], exec
	s_or_b64 s[34:35], s[34:35], s[38:39]
	;; [unrolled: 3-line block ×3, first 2 shown]
	s_andn2_b64 s[28:29], s[28:29], exec
	s_and_b64 s[38:39], s[40:41], exec
	s_mov_b64 s[0:1], -1
	s_or_b64 s[28:29], s[28:29], s[38:39]
	s_and_saveexec_b64 s[38:39], s[46:47]
	s_cbranch_execz .LBB92_2
; %bb.54:                               ;   in Loop: Header=BB92_3 Depth=1
	v_add_u32_e32 v0, s57, v0
	v_cmp_le_u32_e32 vcc, s33, v0
	v_subrev_u32_e32 v32, s57, v32
	s_andn2_b64 s[36:37], s[36:37], exec
	s_andn2_b64 s[34:35], s[34:35], exec
	;; [unrolled: 1-line block ×4, first 2 shown]
	s_orn2_b64 s[0:1], vcc, exec
	s_branch .LBB92_2
.LBB92_55:
	s_or_b64 exec, exec, s[20:21]
	s_xor_b64 s[6:7], s[26:27], -1
	s_xor_b64 s[8:9], s[24:25], -1
	;; [unrolled: 1-line block ×3, first 2 shown]
	s_mov_b64 s[2:3], 0
	s_and_saveexec_b64 s[4:5], s[0:1]
	s_xor_b64 s[0:1], exec, s[4:5]
	s_cbranch_execnz .LBB92_60
; %bb.56:
	s_andn2_saveexec_b64 s[0:1], s[0:1]
	s_cbranch_execnz .LBB92_68
.LBB92_57:
	s_or_b64 exec, exec, s[0:1]
	s_and_b64 exec, exec, s[2:3]
.LBB92_58:
	; divergent unreachable
.LBB92_59:
	s_endpgm
.LBB92_60:
	s_mov_b64 s[4:5], 0
	s_and_saveexec_b64 s[2:3], s[8:9]
	s_xor_b64 s[2:3], exec, s[2:3]
	s_cbranch_execz .LBB92_66
; %bb.61:
	s_and_saveexec_b64 s[8:9], s[6:7]
	s_xor_b64 s[6:7], exec, s[8:9]
	s_cbranch_execz .LBB92_64
; %bb.62:
	s_and_saveexec_b64 s[8:9], s[18:19]
	s_xor_b64 s[8:9], exec, s[8:9]
	s_cbranch_execnz .LBB92_71
.LBB92_63:
	s_or_b64 exec, exec, s[8:9]
	s_and_b64 s[4:5], s[4:5], exec
.LBB92_64:
	s_andn2_saveexec_b64 s[6:7], s[6:7]
	s_cbranch_execnz .LBB92_70
.LBB92_65:
	s_or_b64 exec, exec, s[6:7]
	s_and_b64 s[4:5], s[4:5], exec
.LBB92_66:
	s_andn2_saveexec_b64 s[2:3], s[2:3]
	s_cbranch_execnz .LBB92_69
.LBB92_67:
	s_or_b64 exec, exec, s[2:3]
	s_and_b64 s[2:3], s[4:5], exec
	s_andn2_saveexec_b64 s[0:1], s[0:1]
	s_cbranch_execz .LBB92_57
.LBB92_68:
	s_or_b64 s[2:3], s[2:3], exec
	s_trap 2
	s_or_b64 exec, exec, s[0:1]
	s_and_b64 exec, exec, s[2:3]
	s_cbranch_execnz .LBB92_58
	s_branch .LBB92_59
.LBB92_69:
	s_or_b64 s[4:5], s[4:5], exec
	s_trap 2
	s_branch .LBB92_67
.LBB92_70:
	s_trap 2
	s_or_b64 s[4:5], s[4:5], exec
	s_branch .LBB92_65
.LBB92_71:
	s_mov_b64 s[4:5], exec
	s_trap 2
	s_branch .LBB92_63
	.section	.rodata,"a",@progbits
	.p2align	6, 0x0
	.amdhsa_kernel _ZN2at4cuda12_GLOBAL__N_121kernelPointwiseApply2IZNS_6native9templates4cuda28bernoulli_tensor_cuda_kernelIN3c104HalfEfEEvRKNS_10TensorBaseESB_NS_15PhiloxCudaStateEEUliRS8_SD_SD_SD_RKfSF_SF_SF_E_S8_SE_jLi2ELi2ELi4ELi512ELi2EEEvNS0_6detail10TensorInfoIT0_T2_EENSI_IT1_SK_EESK_T_
		.amdhsa_group_segment_fixed_size 0
		.amdhsa_private_segment_fixed_size 0
		.amdhsa_kernarg_size 728
		.amdhsa_user_sgpr_count 6
		.amdhsa_user_sgpr_private_segment_buffer 1
		.amdhsa_user_sgpr_dispatch_ptr 0
		.amdhsa_user_sgpr_queue_ptr 0
		.amdhsa_user_sgpr_kernarg_segment_ptr 1
		.amdhsa_user_sgpr_dispatch_id 0
		.amdhsa_user_sgpr_flat_scratch_init 0
		.amdhsa_user_sgpr_kernarg_preload_length 0
		.amdhsa_user_sgpr_kernarg_preload_offset 0
		.amdhsa_user_sgpr_private_segment_size 0
		.amdhsa_uses_dynamic_stack 0
		.amdhsa_system_sgpr_private_segment_wavefront_offset 0
		.amdhsa_system_sgpr_workgroup_id_x 1
		.amdhsa_system_sgpr_workgroup_id_y 0
		.amdhsa_system_sgpr_workgroup_id_z 0
		.amdhsa_system_sgpr_workgroup_info 0
		.amdhsa_system_vgpr_workitem_id 0
		.amdhsa_next_free_vgpr 54
		.amdhsa_next_free_sgpr 62
		.amdhsa_accum_offset 56
		.amdhsa_reserve_vcc 1
		.amdhsa_reserve_flat_scratch 0
		.amdhsa_float_round_mode_32 0
		.amdhsa_float_round_mode_16_64 0
		.amdhsa_float_denorm_mode_32 3
		.amdhsa_float_denorm_mode_16_64 3
		.amdhsa_dx10_clamp 1
		.amdhsa_ieee_mode 1
		.amdhsa_fp16_overflow 0
		.amdhsa_tg_split 0
		.amdhsa_exception_fp_ieee_invalid_op 0
		.amdhsa_exception_fp_denorm_src 0
		.amdhsa_exception_fp_ieee_div_zero 0
		.amdhsa_exception_fp_ieee_overflow 0
		.amdhsa_exception_fp_ieee_underflow 0
		.amdhsa_exception_fp_ieee_inexact 0
		.amdhsa_exception_int_div_zero 0
	.end_amdhsa_kernel
	.section	.text._ZN2at4cuda12_GLOBAL__N_121kernelPointwiseApply2IZNS_6native9templates4cuda28bernoulli_tensor_cuda_kernelIN3c104HalfEfEEvRKNS_10TensorBaseESB_NS_15PhiloxCudaStateEEUliRS8_SD_SD_SD_RKfSF_SF_SF_E_S8_SE_jLi2ELi2ELi4ELi512ELi2EEEvNS0_6detail10TensorInfoIT0_T2_EENSI_IT1_SK_EESK_T_,"axG",@progbits,_ZN2at4cuda12_GLOBAL__N_121kernelPointwiseApply2IZNS_6native9templates4cuda28bernoulli_tensor_cuda_kernelIN3c104HalfEfEEvRKNS_10TensorBaseESB_NS_15PhiloxCudaStateEEUliRS8_SD_SD_SD_RKfSF_SF_SF_E_S8_SE_jLi2ELi2ELi4ELi512ELi2EEEvNS0_6detail10TensorInfoIT0_T2_EENSI_IT1_SK_EESK_T_,comdat
.Lfunc_end92:
	.size	_ZN2at4cuda12_GLOBAL__N_121kernelPointwiseApply2IZNS_6native9templates4cuda28bernoulli_tensor_cuda_kernelIN3c104HalfEfEEvRKNS_10TensorBaseESB_NS_15PhiloxCudaStateEEUliRS8_SD_SD_SD_RKfSF_SF_SF_E_S8_SE_jLi2ELi2ELi4ELi512ELi2EEEvNS0_6detail10TensorInfoIT0_T2_EENSI_IT1_SK_EESK_T_, .Lfunc_end92-_ZN2at4cuda12_GLOBAL__N_121kernelPointwiseApply2IZNS_6native9templates4cuda28bernoulli_tensor_cuda_kernelIN3c104HalfEfEEvRKNS_10TensorBaseESB_NS_15PhiloxCudaStateEEUliRS8_SD_SD_SD_RKfSF_SF_SF_E_S8_SE_jLi2ELi2ELi4ELi512ELi2EEEvNS0_6detail10TensorInfoIT0_T2_EENSI_IT1_SK_EESK_T_
                                        ; -- End function
	.section	.AMDGPU.csdata,"",@progbits
; Kernel info:
; codeLenInByte = 3444
; NumSgprs: 66
; NumVgprs: 54
; NumAgprs: 0
; TotalNumVgprs: 54
; ScratchSize: 0
; MemoryBound: 0
; FloatMode: 240
; IeeeMode: 1
; LDSByteSize: 0 bytes/workgroup (compile time only)
; SGPRBlocks: 8
; VGPRBlocks: 6
; NumSGPRsForWavesPerEU: 66
; NumVGPRsForWavesPerEU: 54
; AccumOffset: 56
; Occupancy: 8
; WaveLimiterHint : 1
; COMPUTE_PGM_RSRC2:SCRATCH_EN: 0
; COMPUTE_PGM_RSRC2:USER_SGPR: 6
; COMPUTE_PGM_RSRC2:TRAP_HANDLER: 0
; COMPUTE_PGM_RSRC2:TGID_X_EN: 1
; COMPUTE_PGM_RSRC2:TGID_Y_EN: 0
; COMPUTE_PGM_RSRC2:TGID_Z_EN: 0
; COMPUTE_PGM_RSRC2:TIDIG_COMP_CNT: 0
; COMPUTE_PGM_RSRC3_GFX90A:ACCUM_OFFSET: 13
; COMPUTE_PGM_RSRC3_GFX90A:TG_SPLIT: 0
	.section	.text._ZN2at4cuda12_GLOBAL__N_121kernelPointwiseApply2IZNS_6native9templates4cuda28bernoulli_tensor_cuda_kernelIN3c104HalfEfEEvRKNS_10TensorBaseESB_NS_15PhiloxCudaStateEEUliRS8_SD_SD_SD_RKfSF_SF_SF_E_S8_SE_jLi2ELin1ELi4ELi512ELi2EEEvNS0_6detail10TensorInfoIT0_T2_EENSI_IT1_SK_EESK_T_,"axG",@progbits,_ZN2at4cuda12_GLOBAL__N_121kernelPointwiseApply2IZNS_6native9templates4cuda28bernoulli_tensor_cuda_kernelIN3c104HalfEfEEvRKNS_10TensorBaseESB_NS_15PhiloxCudaStateEEUliRS8_SD_SD_SD_RKfSF_SF_SF_E_S8_SE_jLi2ELin1ELi4ELi512ELi2EEEvNS0_6detail10TensorInfoIT0_T2_EENSI_IT1_SK_EESK_T_,comdat
	.globl	_ZN2at4cuda12_GLOBAL__N_121kernelPointwiseApply2IZNS_6native9templates4cuda28bernoulli_tensor_cuda_kernelIN3c104HalfEfEEvRKNS_10TensorBaseESB_NS_15PhiloxCudaStateEEUliRS8_SD_SD_SD_RKfSF_SF_SF_E_S8_SE_jLi2ELin1ELi4ELi512ELi2EEEvNS0_6detail10TensorInfoIT0_T2_EENSI_IT1_SK_EESK_T_ ; -- Begin function _ZN2at4cuda12_GLOBAL__N_121kernelPointwiseApply2IZNS_6native9templates4cuda28bernoulli_tensor_cuda_kernelIN3c104HalfEfEEvRKNS_10TensorBaseESB_NS_15PhiloxCudaStateEEUliRS8_SD_SD_SD_RKfSF_SF_SF_E_S8_SE_jLi2ELin1ELi4ELi512ELi2EEEvNS0_6detail10TensorInfoIT0_T2_EENSI_IT1_SK_EESK_T_
	.p2align	8
	.type	_ZN2at4cuda12_GLOBAL__N_121kernelPointwiseApply2IZNS_6native9templates4cuda28bernoulli_tensor_cuda_kernelIN3c104HalfEfEEvRKNS_10TensorBaseESB_NS_15PhiloxCudaStateEEUliRS8_SD_SD_SD_RKfSF_SF_SF_E_S8_SE_jLi2ELin1ELi4ELi512ELi2EEEvNS0_6detail10TensorInfoIT0_T2_EENSI_IT1_SK_EESK_T_,@function
_ZN2at4cuda12_GLOBAL__N_121kernelPointwiseApply2IZNS_6native9templates4cuda28bernoulli_tensor_cuda_kernelIN3c104HalfEfEEvRKNS_10TensorBaseESB_NS_15PhiloxCudaStateEEUliRS8_SD_SD_SD_RKfSF_SF_SF_E_S8_SE_jLi2ELin1ELi4ELi512ELi2EEEvNS0_6detail10TensorInfoIT0_T2_EENSI_IT1_SK_EESK_T_: ; @_ZN2at4cuda12_GLOBAL__N_121kernelPointwiseApply2IZNS_6native9templates4cuda28bernoulli_tensor_cuda_kernelIN3c104HalfEfEEvRKNS_10TensorBaseESB_NS_15PhiloxCudaStateEEUliRS8_SD_SD_SD_RKfSF_SF_SF_E_S8_SE_jLi2ELin1ELi4ELi512ELi2EEEvNS0_6detail10TensorInfoIT0_T2_EENSI_IT1_SK_EESK_T_
; %bb.0:
	s_load_dword s2, s[4:5], 0x1e4
	s_load_dword s33, s[4:5], 0x1b0
	s_add_u32 s0, s4, 0x1d8
	s_addc_u32 s1, s5, 0
	s_waitcnt lgkmcnt(0)
	s_and_b32 s2, s2, 0xffff
	s_mul_i32 s6, s6, s2
	v_add_u32_e32 v5, s6, v0
	v_lshlrev_b32_e32 v30, 2, v5
	v_cmp_gt_u32_e32 vcc, s33, v30
	s_and_saveexec_b64 s[6:7], vcc
	s_cbranch_execz .LBB93_73
; %bb.1:
	s_load_dword s3, s[0:1], 0x0
	s_load_dwordx2 s[6:7], s[4:5], 0x1c8
	s_load_dwordx4 s[8:11], s[4:5], 0x1b8
	s_load_dword s20, s[4:5], 0x1a8
	s_load_dwordx2 s[12:13], s[4:5], 0x0
	s_load_dword s54, s[4:5], 0xc
	s_waitcnt lgkmcnt(0)
	s_mul_i32 s21, s3, s2
	s_load_dword s2, s[4:5], 0x1d0
	s_load_dword s55, s[4:5], 0x144
	s_add_u32 s18, s4, 0xd8
	s_addc_u32 s19, s5, 0
	v_cvt_f32_u32_e32 v0, s54
	s_cmp_gt_i32 s20, 1
	s_mov_b32 s56, 0xcd9e8d57
	s_cselect_b64 s[0:1], -1, 0
	v_rcp_iflag_f32_e32 v2, v0
	s_waitcnt lgkmcnt(0)
	s_bitcmp1_b32 s2, 0
	v_mad_u64_u32 v[0:1], s[2:3], v5, s56, 0
	v_mul_f32_e32 v2, 0x4f7ffffe, v2
	v_cvt_u32_f32_e32 v2, v2
	s_load_dwordx2 s[14:15], s[4:5], 0x6c
	s_load_dwordx2 s[16:17], s[4:5], 0xd8
	s_cselect_b64 s[4:5], -1, 0
	s_sub_i32 s2, 0, s54
	s_mov_b32 s3, 0
	v_mov_b32_e32 v4, v1
	v_mul_lo_u32 v1, s2, v2
	s_add_i32 s2, s20, -1
	s_lshl_b32 s57, s21, 2
	s_add_i32 s58, s20, 1
	s_lshl_b64 s[2:3], s[2:3], 2
	s_add_u32 s2, s2, s18
	s_addc_u32 s3, s3, s19
	v_mul_hi_u32 v1, v2, v1
	s_add_u32 s20, s2, 8
	v_mov_b32_e32 v3, 0
	v_add_u32_e32 v1, v2, v1
	s_addc_u32 s21, s3, 0
	s_mov_b64 s[22:23], 0
	v_cndmask_b32_e64 v31, 0, 1, s[0:1]
	s_mov_b32 s59, 0xd2511f53
	s_mov_b32 s60, 0xf1bbcdc8
	v_mov_b32_e32 v32, 0x3c00
                                        ; implicit-def: $sgpr24_sgpr25
                                        ; implicit-def: $sgpr26_sgpr27
                                        ; implicit-def: $sgpr28_sgpr29
                                        ; implicit-def: $sgpr18_sgpr19
                                        ; implicit-def: $sgpr30_sgpr31
                                        ; implicit-def: $sgpr34_sgpr35
                                        ; implicit-def: $sgpr36_sgpr37
                                        ; implicit-def: $sgpr38_sgpr39
	s_branch .LBB93_3
.LBB93_2:                               ;   in Loop: Header=BB93_3 Depth=1
	s_or_b64 exec, exec, s[2:3]
	s_and_b64 s[0:1], exec, s[0:1]
	s_or_b64 s[22:23], s[0:1], s[22:23]
	s_andn2_b64 s[0:1], s[18:19], exec
	s_and_b64 s[2:3], s[38:39], exec
	s_or_b64 s[18:19], s[0:1], s[2:3]
	s_andn2_b64 s[0:1], s[28:29], exec
	s_and_b64 s[2:3], s[36:37], exec
	;; [unrolled: 3-line block ×4, first 2 shown]
	s_or_b64 s[24:25], s[0:1], s[2:3]
	s_andn2_b64 exec, exec, s[22:23]
	s_cbranch_execz .LBB93_69
.LBB93_3:                               ; =>This Loop Header: Depth=1
                                        ;     Child Loop BB93_8 Depth 2
                                        ;     Child Loop BB93_15 Depth 2
	;; [unrolled: 1-line block ×4, first 2 shown]
	v_sub_u32_e32 v33, s33, v30
	v_cmp_lt_i32_e32 vcc, 0, v33
	v_mov_b32_e32 v6, 0
	s_and_saveexec_b64 s[2:3], vcc
	s_cbranch_execz .LBB93_5
; %bb.4:                                ;   in Loop: Header=BB93_3 Depth=1
	s_waitcnt vmcnt(3)
	v_mul_hi_u32 v2, v30, v1
	v_mul_lo_u32 v6, v2, s54
	v_sub_u32_e32 v6, v30, v6
	s_waitcnt vmcnt(2)
	v_add_u32_e32 v7, 1, v2
	v_cmp_le_u32_e64 s[0:1], s54, v6
	v_cndmask_b32_e64 v2, v2, v7, s[0:1]
	v_subrev_u32_e32 v7, s54, v6
	v_cndmask_b32_e64 v6, v6, v7, s[0:1]
	v_add_u32_e32 v7, 1, v2
	v_cmp_le_u32_e64 s[0:1], s54, v6
	v_cndmask_b32_e64 v6, v2, v7, s[0:1]
	v_mul_lo_u32 v2, v6, s54
	v_sub_u32_e32 v2, v30, v2
	s_waitcnt lgkmcnt(0)
	v_mul_lo_u32 v2, v2, s15
	v_mad_u64_u32 v[6:7], s[0:1], v6, s14, v[2:3]
.LBB93_5:                               ;   in Loop: Header=BB93_3 Depth=1
	s_or_b64 exec, exec, s[2:3]
	s_waitcnt vmcnt(3)
	v_mov_b32_e32 v2, 0
	v_cmp_ne_u32_e64 s[0:1], 1, v31
	s_and_saveexec_b64 s[2:3], vcc
	s_cbranch_execz .LBB93_10
; %bb.6:                                ;   in Loop: Header=BB93_3 Depth=1
	s_and_b64 vcc, exec, s[0:1]
	v_mov_b32_e32 v8, 0
	v_mov_b32_e32 v2, v30
	s_cbranch_vccnz .LBB93_9
; %bb.7:                                ;   in Loop: Header=BB93_3 Depth=1
	v_mov_b32_e32 v8, 0
	s_mov_b64 s[40:41], s[20:21]
	s_mov_b32 s42, s58
	v_mov_b32_e32 v2, v30
.LBB93_8:                               ;   Parent Loop BB93_3 Depth=1
                                        ; =>  This Inner Loop Header: Depth=2
	s_load_dword s43, s[40:41], 0x0
	s_load_dword s44, s[40:41], 0x64
	s_waitcnt vmcnt(2)
	v_mov_b32_e32 v7, v2
	s_add_i32 s42, s42, -1
	s_waitcnt lgkmcnt(0)
	v_cvt_f32_u32_e32 v2, s43
	s_sub_i32 s45, 0, s43
	s_add_u32 s40, s40, -4
	s_addc_u32 s41, s41, -1
	v_rcp_iflag_f32_e32 v2, v2
	s_cmp_gt_u32 s42, 2
	v_mul_f32_e32 v2, 0x4f7ffffe, v2
	v_cvt_u32_f32_e32 v2, v2
	s_waitcnt vmcnt(1)
	v_mul_lo_u32 v9, s45, v2
	v_mul_hi_u32 v9, v2, v9
	v_add_u32_e32 v2, v2, v9
	v_mul_hi_u32 v2, v7, v2
	v_mul_lo_u32 v9, v2, s43
	v_sub_u32_e32 v9, v7, v9
	v_add_u32_e32 v10, 1, v2
	v_cmp_le_u32_e32 vcc, s43, v9
	v_cndmask_b32_e32 v2, v2, v10, vcc
	v_subrev_u32_e32 v10, s43, v9
	v_cndmask_b32_e32 v9, v9, v10, vcc
	v_add_u32_e32 v10, 1, v2
	v_cmp_le_u32_e32 vcc, s43, v9
	v_cndmask_b32_e32 v2, v2, v10, vcc
	v_mul_lo_u32 v9, v2, s43
	v_sub_u32_e32 v7, v7, v9
	v_mad_u64_u32 v[8:9], s[44:45], s44, v7, v[8:9]
	s_cbranch_scc1 .LBB93_8
.LBB93_9:                               ;   in Loop: Header=BB93_3 Depth=1
	s_waitcnt vmcnt(1)
	v_mad_u64_u32 v[8:9], s[40:41], s55, v2, v[8:9]
	v_mov_b32_e32 v2, v8
.LBB93_10:                              ;   in Loop: Header=BB93_3 Depth=1
	s_or_b64 exec, exec, s[2:3]
	s_waitcnt vmcnt(2)
	v_or_b32_e32 v7, 1, v30
	v_cmp_lt_i32_e32 vcc, 1, v33
	v_mov_b32_e32 v12, 0
	v_mov_b32_e32 v8, 0
	s_and_saveexec_b64 s[40:41], vcc
	s_cbranch_execz .LBB93_12
; %bb.11:                               ;   in Loop: Header=BB93_3 Depth=1
	v_mul_hi_u32 v8, v7, v1
	s_waitcnt vmcnt(1)
	v_mul_lo_u32 v9, v8, s54
	v_sub_u32_e32 v9, v7, v9
	v_add_u32_e32 v10, 1, v8
	v_cmp_le_u32_e64 s[2:3], s54, v9
	v_cndmask_b32_e64 v8, v8, v10, s[2:3]
	v_subrev_u32_e32 v10, s54, v9
	v_cndmask_b32_e64 v9, v9, v10, s[2:3]
	v_add_u32_e32 v10, 1, v8
	v_cmp_le_u32_e64 s[2:3], s54, v9
	v_cndmask_b32_e64 v9, v8, v10, s[2:3]
	v_mul_lo_u32 v8, v9, s54
	v_sub_u32_e32 v8, v7, v8
	s_waitcnt lgkmcnt(0)
	v_mul_lo_u32 v8, v8, s15
	v_mad_u64_u32 v[8:9], s[2:3], v9, s14, v[8:9]
.LBB93_12:                              ;   in Loop: Header=BB93_3 Depth=1
	s_or_b64 exec, exec, s[40:41]
	s_and_saveexec_b64 s[2:3], vcc
	s_cbranch_execz .LBB93_17
; %bb.13:                               ;   in Loop: Header=BB93_3 Depth=1
	s_and_b64 vcc, exec, s[0:1]
	v_mov_b32_e32 v10, 0
	s_cbranch_vccnz .LBB93_16
; %bb.14:                               ;   in Loop: Header=BB93_3 Depth=1
	v_mov_b32_e32 v10, 0
	s_mov_b64 s[40:41], s[20:21]
	s_mov_b32 s42, s58
.LBB93_15:                              ;   Parent Loop BB93_3 Depth=1
                                        ; =>  This Inner Loop Header: Depth=2
	s_load_dword s43, s[40:41], 0x0
	s_load_dword s44, s[40:41], 0x64
	s_waitcnt vmcnt(1)
	v_mov_b32_e32 v9, v7
	s_add_i32 s42, s42, -1
	s_waitcnt lgkmcnt(0)
	v_cvt_f32_u32_e32 v7, s43
	s_sub_i32 s45, 0, s43
	s_add_u32 s40, s40, -4
	s_addc_u32 s41, s41, -1
	v_rcp_iflag_f32_e32 v7, v7
	s_cmp_gt_u32 s42, 2
	v_mul_f32_e32 v7, 0x4f7ffffe, v7
	v_cvt_u32_f32_e32 v7, v7
	s_waitcnt vmcnt(0)
	v_mul_lo_u32 v11, s45, v7
	v_mul_hi_u32 v11, v7, v11
	v_add_u32_e32 v7, v7, v11
	v_mul_hi_u32 v7, v9, v7
	v_mul_lo_u32 v11, v7, s43
	v_sub_u32_e32 v11, v9, v11
	v_add_u32_e32 v12, 1, v7
	v_cmp_le_u32_e32 vcc, s43, v11
	v_cndmask_b32_e32 v7, v7, v12, vcc
	v_subrev_u32_e32 v12, s43, v11
	v_cndmask_b32_e32 v11, v11, v12, vcc
	v_add_u32_e32 v12, 1, v7
	v_cmp_le_u32_e32 vcc, s43, v11
	v_cndmask_b32_e32 v7, v7, v12, vcc
	v_mul_lo_u32 v11, v7, s43
	v_sub_u32_e32 v9, v9, v11
	v_mad_u64_u32 v[10:11], s[44:45], s44, v9, v[10:11]
	s_cbranch_scc1 .LBB93_15
.LBB93_16:                              ;   in Loop: Header=BB93_3 Depth=1
	s_waitcnt vmcnt(0)
	v_mad_u64_u32 v[12:13], s[40:41], s55, v7, v[10:11]
.LBB93_17:                              ;   in Loop: Header=BB93_3 Depth=1
	s_or_b64 exec, exec, s[2:3]
	v_or_b32_e32 v7, 2, v30
	v_cmp_lt_i32_e32 vcc, 2, v33
	v_mov_b32_e32 v10, 0
	s_and_saveexec_b64 s[40:41], vcc
	s_cbranch_execz .LBB93_19
; %bb.18:                               ;   in Loop: Header=BB93_3 Depth=1
	s_waitcnt vmcnt(1)
	v_mul_hi_u32 v9, v7, v1
	v_mul_lo_u32 v10, v9, s54
	v_sub_u32_e32 v10, v7, v10
	s_waitcnt vmcnt(0)
	v_add_u32_e32 v11, 1, v9
	v_cmp_le_u32_e64 s[2:3], s54, v10
	v_cndmask_b32_e64 v9, v9, v11, s[2:3]
	v_subrev_u32_e32 v11, s54, v10
	v_cndmask_b32_e64 v10, v10, v11, s[2:3]
	v_add_u32_e32 v11, 1, v9
	v_cmp_le_u32_e64 s[2:3], s54, v10
	v_cndmask_b32_e64 v9, v9, v11, s[2:3]
	v_mul_lo_u32 v10, v9, s54
	v_sub_u32_e32 v10, v7, v10
	s_waitcnt lgkmcnt(0)
	v_mul_lo_u32 v10, v10, s15
	v_mad_u64_u32 v[10:11], s[2:3], v9, s14, v[10:11]
.LBB93_19:                              ;   in Loop: Header=BB93_3 Depth=1
	s_or_b64 exec, exec, s[40:41]
	v_pk_mov_b32 v[16:17], 0, 0
	s_and_saveexec_b64 s[2:3], vcc
	s_cbranch_execz .LBB93_24
; %bb.20:                               ;   in Loop: Header=BB93_3 Depth=1
	s_and_b64 vcc, exec, s[0:1]
	v_mov_b32_e32 v14, 0
	s_cbranch_vccnz .LBB93_23
; %bb.21:                               ;   in Loop: Header=BB93_3 Depth=1
	v_mov_b32_e32 v14, 0
	s_mov_b64 s[40:41], s[20:21]
	s_mov_b32 s42, s58
.LBB93_22:                              ;   Parent Loop BB93_3 Depth=1
                                        ; =>  This Inner Loop Header: Depth=2
	s_load_dword s43, s[40:41], 0x0
	s_load_dword s44, s[40:41], 0x64
	s_waitcnt vmcnt(1)
	v_mov_b32_e32 v9, v7
	s_add_i32 s42, s42, -1
	s_waitcnt lgkmcnt(0)
	v_cvt_f32_u32_e32 v7, s43
	s_sub_i32 s45, 0, s43
	s_add_u32 s40, s40, -4
	s_addc_u32 s41, s41, -1
	v_rcp_iflag_f32_e32 v7, v7
	s_cmp_gt_u32 s42, 2
	v_mul_f32_e32 v7, 0x4f7ffffe, v7
	v_cvt_u32_f32_e32 v7, v7
	s_waitcnt vmcnt(0)
	v_mul_lo_u32 v11, s45, v7
	v_mul_hi_u32 v11, v7, v11
	v_add_u32_e32 v7, v7, v11
	v_mul_hi_u32 v7, v9, v7
	v_mul_lo_u32 v11, v7, s43
	v_sub_u32_e32 v11, v9, v11
	v_add_u32_e32 v13, 1, v7
	v_cmp_le_u32_e32 vcc, s43, v11
	v_cndmask_b32_e32 v7, v7, v13, vcc
	v_subrev_u32_e32 v13, s43, v11
	v_cndmask_b32_e32 v11, v11, v13, vcc
	v_add_u32_e32 v13, 1, v7
	v_cmp_le_u32_e32 vcc, s43, v11
	v_cndmask_b32_e32 v7, v7, v13, vcc
	v_mul_lo_u32 v11, v7, s43
	v_sub_u32_e32 v9, v9, v11
	v_mad_u64_u32 v[14:15], s[44:45], s44, v9, v[14:15]
	s_cbranch_scc1 .LBB93_22
.LBB93_23:                              ;   in Loop: Header=BB93_3 Depth=1
	v_mad_u64_u32 v[16:17], s[40:41], s55, v7, v[14:15]
	v_mov_b32_e32 v17, v3
.LBB93_24:                              ;   in Loop: Header=BB93_3 Depth=1
	s_or_b64 exec, exec, s[2:3]
	v_pk_mov_b32 v[18:19], 0, 0
	v_or_b32_e32 v7, 3, v30
	v_cmp_lt_i32_e32 vcc, 3, v33
	v_pk_mov_b32 v[14:15], v[18:19], v[18:19] op_sel:[0,1]
	s_and_saveexec_b64 s[40:41], vcc
	s_cbranch_execz .LBB93_26
; %bb.25:                               ;   in Loop: Header=BB93_3 Depth=1
	s_waitcnt vmcnt(1)
	v_mul_hi_u32 v9, v7, v1
	s_waitcnt vmcnt(0)
	v_mul_lo_u32 v11, v9, s54
	v_sub_u32_e32 v11, v7, v11
	v_add_u32_e32 v13, 1, v9
	v_cmp_le_u32_e64 s[2:3], s54, v11
	v_cndmask_b32_e64 v9, v9, v13, s[2:3]
	v_subrev_u32_e32 v13, s54, v11
	v_cndmask_b32_e64 v11, v11, v13, s[2:3]
	v_add_u32_e32 v13, 1, v9
	v_cmp_le_u32_e64 s[2:3], s54, v11
	v_cndmask_b32_e64 v9, v9, v13, s[2:3]
	v_mul_lo_u32 v11, v9, s54
	v_sub_u32_e32 v11, v7, v11
	s_waitcnt lgkmcnt(0)
	v_mul_lo_u32 v14, v11, s15
	v_mad_u64_u32 v[14:15], s[2:3], v9, s14, v[14:15]
	v_mov_b32_e32 v15, v3
.LBB93_26:                              ;   in Loop: Header=BB93_3 Depth=1
	s_or_b64 exec, exec, s[40:41]
	s_and_saveexec_b64 s[2:3], vcc
	s_cbranch_execz .LBB93_31
; %bb.27:                               ;   in Loop: Header=BB93_3 Depth=1
	s_and_b64 vcc, exec, s[0:1]
	v_mov_b32_e32 v18, 0
	s_cbranch_vccnz .LBB93_30
; %bb.28:                               ;   in Loop: Header=BB93_3 Depth=1
	v_mov_b32_e32 v18, 0
	s_mov_b64 s[0:1], s[20:21]
	s_mov_b32 s40, s58
.LBB93_29:                              ;   Parent Loop BB93_3 Depth=1
                                        ; =>  This Inner Loop Header: Depth=2
	s_load_dword s41, s[0:1], 0x0
	s_load_dword s42, s[0:1], 0x64
	s_waitcnt vmcnt(1)
	v_mov_b32_e32 v9, v7
	s_add_i32 s40, s40, -1
	s_waitcnt lgkmcnt(0)
	v_cvt_f32_u32_e32 v7, s41
	s_sub_i32 s43, 0, s41
	s_add_u32 s0, s0, -4
	s_addc_u32 s1, s1, -1
	v_rcp_iflag_f32_e32 v7, v7
	s_cmp_gt_u32 s40, 2
	v_mul_f32_e32 v7, 0x4f7ffffe, v7
	v_cvt_u32_f32_e32 v7, v7
	s_waitcnt vmcnt(0)
	v_mul_lo_u32 v11, s43, v7
	v_mul_hi_u32 v11, v7, v11
	v_add_u32_e32 v7, v7, v11
	v_mul_hi_u32 v7, v9, v7
	v_mul_lo_u32 v11, v7, s41
	v_sub_u32_e32 v11, v9, v11
	v_add_u32_e32 v13, 1, v7
	v_cmp_le_u32_e32 vcc, s41, v11
	v_cndmask_b32_e32 v7, v7, v13, vcc
	v_subrev_u32_e32 v13, s41, v11
	v_cndmask_b32_e32 v11, v11, v13, vcc
	v_add_u32_e32 v13, 1, v7
	v_cmp_le_u32_e32 vcc, s41, v11
	v_cndmask_b32_e32 v7, v7, v13, vcc
	v_mul_lo_u32 v11, v7, s41
	v_sub_u32_e32 v9, v9, v11
	v_mad_u64_u32 v[18:19], s[42:43], s42, v9, v[18:19]
	s_cbranch_scc1 .LBB93_29
.LBB93_30:                              ;   in Loop: Header=BB93_3 Depth=1
	v_mad_u64_u32 v[18:19], s[0:1], s55, v7, v[18:19]
	v_mov_b32_e32 v19, v3
.LBB93_31:                              ;   in Loop: Header=BB93_3 Depth=1
	s_or_b64 exec, exec, s[2:3]
	v_lshlrev_b64 v[20:21], 2, v[2:3]
	s_waitcnt lgkmcnt(0)
	v_mov_b32_e32 v2, s17
	v_add_co_u32_e32 v20, vcc, s16, v20
	v_mov_b32_e32 v13, v3
	v_addc_co_u32_e32 v21, vcc, v2, v21, vcc
	v_lshlrev_b64 v[12:13], 2, v[12:13]
	v_add_co_u32_e32 v12, vcc, s16, v12
	v_addc_co_u32_e32 v13, vcc, v2, v13, vcc
	v_lshlrev_b64 v[16:17], 2, v[16:17]
	v_add_co_u32_e32 v16, vcc, s16, v16
	;; [unrolled: 3-line block ×3, first 2 shown]
	v_addc_co_u32_e32 v19, vcc, v2, v19, vcc
	global_load_dword v2, v[20:21], off
	global_load_dword v7, v[12:13], off
	;; [unrolled: 1-line block ×4, first 2 shown]
	s_andn2_b64 vcc, exec, s[4:5]
	v_pk_mov_b32 v[12:13], s[10:11], s[10:11] op_sel:[0,1]
	v_pk_mov_b32 v[16:17], s[8:9], s[8:9] op_sel:[0,1]
	s_cbranch_vccnz .LBB93_33
; %bb.32:                               ;   in Loop: Header=BB93_3 Depth=1
	v_pk_mov_b32 v[12:13], s[10:11], s[10:11] op_sel:[0,1]
	flat_load_dwordx2 v[12:13], v[12:13]
	v_pk_mov_b32 v[16:17], s[8:9], s[8:9] op_sel:[0,1]
	flat_load_dwordx2 v[16:17], v[16:17]
	v_mov_b32_e32 v18, s7
	s_waitcnt vmcnt(0) lgkmcnt(0)
	v_add_co_u32_e32 v12, vcc, s6, v12
	v_addc_co_u32_e32 v13, vcc, v13, v18, vcc
.LBB93_33:                              ;   in Loop: Header=BB93_3 Depth=1
	v_alignbit_b32 v26, v13, v12, 2
	v_lshrrev_b32_e32 v27, 2, v13
	v_xor_b32_e32 v18, v4, v16
	v_and_b32_e32 v34, 3, v12
	v_mad_u64_u32 v[12:13], s[0:1], v26, s59, 0
	v_xor_b32_e32 v18, v18, v27
	v_xor_b32_e32 v13, v13, v17
	v_add_u32_e32 v39, 0xbb67ae85, v17
	v_mad_u64_u32 v[18:19], s[0:1], v18, s59, 0
	v_mad_u64_u32 v[20:21], s[0:1], v13, s56, 0
	v_xor_b32_e32 v19, v39, v19
	v_add_u32_e32 v38, 0x9e3779b9, v16
	v_xor_b32_e32 v13, v0, v21
	v_xor_b32_e32 v19, v19, v12
	v_xor_b32_e32 v13, v13, v38
	v_add_u32_e32 v40, 0x3c6ef372, v16
	v_mad_u64_u32 v[22:23], s[0:1], v19, s56, 0
	v_add_u32_e32 v41, 0x76cf5d0a, v17
	v_mad_u64_u32 v[12:13], s[0:1], v13, s59, 0
	v_xor_b32_e32 v19, v40, v23
	v_xor_b32_e32 v19, v19, v20
	v_xor_b32_e32 v13, v41, v13
	v_xor_b32_e32 v13, v13, v18
	v_add_u32_e32 v43, 0x32370b8f, v17
	v_mad_u64_u32 v[18:19], s[0:1], v19, s59, 0
	v_add_u32_e32 v42, 0xdaa66d2b, v16
	v_mad_u64_u32 v[20:21], s[0:1], v13, s56, 0
	v_xor_b32_e32 v19, v43, v19
	;; [unrolled: 8-line block ×5, first 2 shown]
	v_xor_b32_e32 v19, v19, v20
	v_xor_b32_e32 v13, v49, v13
	;; [unrolled: 1-line block ×3, first 2 shown]
	v_add_u32_e32 v51, 0x1fd5c5a3, v17
	v_mad_u64_u32 v[18:19], s[0:1], v19, s59, 0
	v_xor_b32_e32 v19, v51, v19
	v_xor_b32_e32 v12, v19, v12
	v_add_u32_e32 v50, 0x5384540f, v16
	v_mad_u64_u32 v[24:25], s[0:1], v13, s56, 0
	v_add_co_u32_e32 v36, vcc, s60, v16
	v_mad_u64_u32 v[20:21], s[0:1], v12, s56, 0
	v_xor_b32_e32 v13, v50, v25
	v_xor_b32_e32 v12, v36, v21
	;; [unrolled: 1-line block ×4, first 2 shown]
	v_mad_u64_u32 v[22:23], s[0:1], v13, s59, 0
	v_mad_u64_u32 v[12:13], s[0:1], v12, s59, 0
	v_add_u32_e32 v37, 0x96a522ad, v17
	v_xor_b32_e32 v13, v13, v22
	v_xor_b32_e32 v35, v37, v13
	v_add_co_u32_e32 v13, vcc, 1, v26
	v_cndmask_b32_e64 v22, 0, 1, vcc
	v_addc_co_u32_e32 v28, vcc, 0, v27, vcc
	v_cmp_eq_u32_e32 vcc, 0, v28
	v_cndmask_b32_e32 v22, 0, v22, vcc
	v_add_u32_e32 v26, v22, v5
	v_cmp_eq_u32_e32 vcc, 0, v26
	v_mad_u64_u32 v[24:25], s[0:1], v13, s59, 0
	v_mad_u64_u32 v[26:27], s[0:1], v26, s56, 0
	v_add_u32_e32 v21, 0x8ff34781, v16
	v_cndmask_b32_e32 v22, 0, v22, vcc
	v_xor_b32_e32 v13, v27, v16
	v_xor_b32_e32 v16, v25, v17
	;; [unrolled: 1-line block ×4, first 2 shown]
	v_mad_u64_u32 v[28:29], s[0:1], v22, s56, 0
	v_add_u32_e32 v19, 0xdb3d7428, v17
	v_mad_u64_u32 v[16:17], s[0:1], v13, s59, 0
	v_xor_b32_e32 v13, v38, v29
	v_xor_b32_e32 v13, v13, v26
	v_xor_b32_e32 v17, v39, v17
	v_xor_b32_e32 v17, v17, v24
	v_mad_u64_u32 v[24:25], s[0:1], v13, s59, 0
	v_mad_u64_u32 v[26:27], s[0:1], v17, s56, 0
	v_xor_b32_e32 v17, v41, v25
	v_xor_b32_e32 v13, v40, v27
	v_xor_b32_e32 v22, v17, v16
	v_xor_b32_e32 v13, v13, v28
	v_mad_u64_u32 v[28:29], s[0:1], v22, s56, 0
	v_mad_u64_u32 v[16:17], s[0:1], v13, s59, 0
	v_xor_b32_e32 v13, v42, v29
	v_xor_b32_e32 v13, v13, v26
	v_xor_b32_e32 v17, v43, v17
	v_xor_b32_e32 v17, v17, v24
	v_mad_u64_u32 v[24:25], s[0:1], v13, s59, 0
	v_mad_u64_u32 v[26:27], s[0:1], v17, s56, 0
	v_xor_b32_e32 v17, v45, v25
	v_xor_b32_e32 v13, v44, v27
	v_xor_b32_e32 v22, v17, v16
	v_xor_b32_e32 v13, v13, v28
	v_mad_u64_u32 v[28:29], s[0:1], v22, s56, 0
	v_mad_u64_u32 v[16:17], s[0:1], v13, s59, 0
	v_xor_b32_e32 v13, v46, v29
	v_xor_b32_e32 v13, v13, v26
	v_xor_b32_e32 v17, v47, v17
	v_xor_b32_e32 v17, v17, v24
	v_mad_u64_u32 v[26:27], s[0:1], v13, s59, 0
	v_mad_u64_u32 v[38:39], s[0:1], v17, s56, 0
	v_xor_b32_e32 v17, v49, v27
	v_xor_b32_e32 v13, v48, v39
	v_xor_b32_e32 v22, v17, v16
	v_xor_b32_e32 v13, v13, v28
	v_mad_u64_u32 v[24:25], s[0:1], v22, s56, 0
	v_mad_u64_u32 v[16:17], s[0:1], v13, s59, 0
	v_xor_b32_e32 v13, v50, v25
	v_xor_b32_e32 v13, v13, v38
	v_xor_b32_e32 v17, v51, v17
	v_xor_b32_e32 v17, v17, v26
	v_mad_u64_u32 v[26:27], s[0:1], v13, s59, 0
	v_xor_b32_e32 v13, v19, v27
	v_xor_b32_e32 v13, v13, v16
	v_mad_u64_u32 v[28:29], s[0:1], v17, s56, 0
	v_mad_u64_u32 v[16:17], s[0:1], v13, s56, 0
	v_xor_b32_e32 v13, v17, v28
	v_xor_b32_e32 v13, v21, v13
	v_cmp_lt_i32_e32 vcc, 1, v34
                                        ; implicit-def: $vgpr25
	s_and_saveexec_b64 s[0:1], vcc
	s_xor_b64 s[0:1], exec, s[0:1]
	s_cbranch_execz .LBB93_39
; %bb.34:                               ;   in Loop: Header=BB93_3 Depth=1
	v_cmp_lt_i32_e32 vcc, 2, v34
                                        ; implicit-def: $vgpr25
	s_and_saveexec_b64 s[2:3], vcc
	s_xor_b64 s[2:3], exec, s[2:3]
; %bb.35:                               ;   in Loop: Header=BB93_3 Depth=1
	v_xor_b32_e32 v17, v36, v29
	v_xor_b32_e32 v17, v17, v24
	v_mul_hi_u32 v17, v17, s59
	v_xor_b32_e32 v17, v17, v26
	v_xor_b32_e32 v25, v37, v17
                                        ; implicit-def: $vgpr35
; %bb.36:                               ;   in Loop: Header=BB93_3 Depth=1
	s_andn2_saveexec_b64 s[2:3], s[2:3]
; %bb.37:                               ;   in Loop: Header=BB93_3 Depth=1
	v_mov_b32_e32 v25, v16
	v_mov_b32_e32 v16, v13
	;; [unrolled: 1-line block ×4, first 2 shown]
; %bb.38:                               ;   in Loop: Header=BB93_3 Depth=1
	s_or_b64 exec, exec, s[2:3]
                                        ; implicit-def: $vgpr18_vgpr19
                                        ; implicit-def: $vgpr20_vgpr21
                                        ; implicit-def: $vgpr34
                                        ; implicit-def: $vgpr35
                                        ; implicit-def: $vgpr22_vgpr23
                                        ; implicit-def: $vgpr19
                                        ; implicit-def: $vgpr21
.LBB93_39:                              ;   in Loop: Header=BB93_3 Depth=1
	s_andn2_saveexec_b64 s[0:1], s[0:1]
	s_cbranch_execz .LBB93_43
; %bb.40:                               ;   in Loop: Header=BB93_3 Depth=1
	v_xor_b32_e32 v16, v19, v23
	v_xor_b32_e32 v16, v16, v18
	v_mad_u64_u32 v[18:19], s[2:3], v16, s56, 0
	v_xor_b32_e32 v16, v19, v20
	v_xor_b32_e32 v17, v21, v16
	v_cmp_eq_u32_e32 vcc, 1, v34
	v_mov_b32_e32 v25, v12
	v_mov_b32_e32 v16, v35
	;; [unrolled: 1-line block ×3, first 2 shown]
	s_and_saveexec_b64 s[2:3], vcc
; %bb.41:                               ;   in Loop: Header=BB93_3 Depth=1
	v_mov_b32_e32 v25, v13
	v_mov_b32_e32 v16, v12
	;; [unrolled: 1-line block ×4, first 2 shown]
; %bb.42:                               ;   in Loop: Header=BB93_3 Depth=1
	s_or_b64 exec, exec, s[2:3]
	v_mov_b32_e32 v12, v17
	v_mov_b32_e32 v13, v19
.LBB93_43:                              ;   in Loop: Header=BB93_3 Depth=1
	s_or_b64 exec, exec, s[0:1]
	v_min_i32_e32 v17, 4, v33
	v_cmp_lt_i32_e32 vcc, 2, v17
	s_mov_b64 s[2:3], 0
	s_mov_b64 s[50:51], 0
	;; [unrolled: 1-line block ×3, first 2 shown]
                                        ; implicit-def: $sgpr42_sgpr43
                                        ; implicit-def: $sgpr44_sgpr45
                                        ; implicit-def: $sgpr46_sgpr47
	s_and_saveexec_b64 s[0:1], vcc
	s_xor_b64 s[48:49], exec, s[0:1]
	s_cbranch_execz .LBB93_55
; %bb.44:                               ;   in Loop: Header=BB93_3 Depth=1
	v_cmp_lt_i32_e32 vcc, 3, v17
	s_mov_b64 s[0:1], -1
	s_mov_b64 s[52:53], 0
                                        ; implicit-def: $sgpr40_sgpr41
                                        ; implicit-def: $sgpr42_sgpr43
	s_and_saveexec_b64 s[44:45], vcc
	s_cbranch_execz .LBB93_50
; %bb.45:                               ;   in Loop: Header=BB93_3 Depth=1
	v_cmp_eq_u32_e32 vcc, 4, v17
	s_mov_b64 s[0:1], 0
	s_mov_b64 s[52:53], -1
                                        ; implicit-def: $sgpr40_sgpr41
                                        ; implicit-def: $sgpr42_sgpr43
	s_and_saveexec_b64 s[46:47], vcc
	s_cbranch_execz .LBB93_49
; %bb.46:                               ;   in Loop: Header=BB93_3 Depth=1
	s_waitcnt vmcnt(0)
	v_cmp_le_f32_e32 vcc, 0, v11
	v_cmp_ge_f32_e64 s[0:1], 1.0, v11
	s_and_b64 s[52:53], vcc, s[0:1]
	s_mov_b64 s[40:41], 0
	s_mov_b64 s[0:1], 0
	s_and_saveexec_b64 s[42:43], s[52:53]
	s_cbranch_execz .LBB93_48
; %bb.47:                               ;   in Loop: Header=BB93_3 Depth=1
	v_cvt_f32_u32_e32 v18, v25
	v_mov_b32_e32 v19, 0x2f800000
	v_lshlrev_b64 v[14:15], 1, v[14:15]
	v_add_co_u32_e32 v14, vcc, s12, v14
	v_fmac_f32_e32 v19, 0x2f800000, v18
	v_mov_b32_e32 v18, s13
	v_addc_co_u32_e32 v15, vcc, v18, v15, vcc
	v_cmp_le_f32_e32 vcc, v19, v11
	s_mov_b64 s[0:1], exec
	v_cndmask_b32_e32 v11, 0, v32, vcc
	global_store_short v[14:15], v11, off
.LBB93_48:                              ;   in Loop: Header=BB93_3 Depth=1
	s_or_b64 exec, exec, s[42:43]
	s_mov_b64 s[42:43], -1
	s_xor_b64 s[52:53], exec, -1
	s_and_b64 s[0:1], s[0:1], exec
.LBB93_49:                              ;   in Loop: Header=BB93_3 Depth=1
	s_or_b64 exec, exec, s[46:47]
	s_and_b64 s[52:53], s[52:53], exec
	s_orn2_b64 s[0:1], s[0:1], exec
.LBB93_50:                              ;   in Loop: Header=BB93_3 Depth=1
	s_or_b64 exec, exec, s[44:45]
	s_mov_b64 s[46:47], s[40:41]
	s_and_saveexec_b64 s[44:45], s[0:1]
	s_cbranch_execz .LBB93_54
; %bb.51:                               ;   in Loop: Header=BB93_3 Depth=1
	s_waitcnt vmcnt(1)
	v_cmp_le_f32_e32 vcc, 0, v9
	v_cmp_ge_f32_e64 s[0:1], 1.0, v9
	s_and_b64 s[46:47], vcc, s[0:1]
	s_mov_b64 s[0:1], 0
	s_and_saveexec_b64 s[50:51], s[46:47]
	s_xor_b64 s[46:47], exec, s[50:51]
	s_cbranch_execz .LBB93_53
; %bb.52:                               ;   in Loop: Header=BB93_3 Depth=1
	v_cvt_f32_u32_e32 v14, v16
	s_waitcnt vmcnt(0)
	v_mov_b32_e32 v11, v3
	v_mov_b32_e32 v15, 0x2f800000
	v_lshlrev_b64 v[10:11], 1, v[10:11]
	v_fmac_f32_e32 v15, 0x2f800000, v14
	v_mov_b32_e32 v14, s13
	v_add_co_u32_e32 v10, vcc, s12, v10
	v_addc_co_u32_e32 v11, vcc, v14, v11, vcc
	v_cmp_le_f32_e32 vcc, v15, v9
	v_cndmask_b32_e32 v9, 0, v32, vcc
	s_mov_b64 s[0:1], exec
	global_store_short v[10:11], v9, off
.LBB93_53:                              ;   in Loop: Header=BB93_3 Depth=1
	s_or_b64 exec, exec, s[46:47]
	s_andn2_b64 s[46:47], s[40:41], exec
	s_or_b64 s[40:41], s[40:41], exec
	s_andn2_b64 s[42:43], s[42:43], exec
	s_and_b64 s[50:51], s[0:1], exec
.LBB93_54:                              ;   in Loop: Header=BB93_3 Depth=1
	s_or_b64 exec, exec, s[44:45]
	s_and_b64 s[46:47], s[46:47], exec
	s_and_b64 s[44:45], s[40:41], exec
	;; [unrolled: 1-line block ×5, first 2 shown]
.LBB93_55:                              ;   in Loop: Header=BB93_3 Depth=1
	s_andn2_saveexec_b64 s[0:1], s[48:49]
; %bb.56:                               ;   in Loop: Header=BB93_3 Depth=1
	v_cmp_lt_i32_e32 vcc, 1, v17
	s_andn2_b64 s[48:49], s[50:51], exec
	s_and_b64 s[50:51], vcc, exec
	s_mov_b64 s[2:3], exec
	s_andn2_b64 s[46:47], s[46:47], exec
	s_andn2_b64 s[44:45], s[44:45], exec
	;; [unrolled: 1-line block ×3, first 2 shown]
	s_or_b64 s[50:51], s[48:49], s[50:51]
; %bb.57:                               ;   in Loop: Header=BB93_3 Depth=1
	s_or_b64 exec, exec, s[0:1]
	s_mov_b64 s[0:1], 0
	s_mov_b64 s[48:49], s[46:47]
	s_and_saveexec_b64 s[52:53], s[50:51]
	s_cbranch_execnz .LBB93_60
; %bb.58:                               ;   in Loop: Header=BB93_3 Depth=1
	s_or_b64 exec, exec, s[52:53]
	s_and_saveexec_b64 s[50:51], s[2:3]
	s_cbranch_execnz .LBB93_63
.LBB93_59:                              ;   in Loop: Header=BB93_3 Depth=1
	s_or_b64 exec, exec, s[50:51]
	s_and_saveexec_b64 s[2:3], s[0:1]
	s_cbranch_execnz .LBB93_64
	s_branch .LBB93_67
.LBB93_60:                              ;   in Loop: Header=BB93_3 Depth=1
	s_waitcnt vmcnt(2)
	v_cmp_le_f32_e32 vcc, 0, v7
	v_cmp_ge_f32_e64 s[0:1], 1.0, v7
	s_and_b64 s[48:49], vcc, s[0:1]
	s_mov_b64 s[0:1], 0
	s_and_saveexec_b64 s[50:51], s[48:49]
	s_xor_b64 s[48:49], exec, s[50:51]
	s_cbranch_execz .LBB93_62
; %bb.61:                               ;   in Loop: Header=BB93_3 Depth=1
	v_cvt_f32_u32_e32 v10, v13
	s_waitcnt vmcnt(1)
	v_mov_b32_e32 v9, v3
	s_waitcnt vmcnt(0)
	v_mov_b32_e32 v11, 0x2f800000
	v_lshlrev_b64 v[8:9], 1, v[8:9]
	v_fmac_f32_e32 v11, 0x2f800000, v10
	v_mov_b32_e32 v10, s13
	v_add_co_u32_e32 v8, vcc, s12, v8
	v_addc_co_u32_e32 v9, vcc, v10, v9, vcc
	v_cmp_le_f32_e32 vcc, v11, v7
	v_cndmask_b32_e32 v7, 0, v32, vcc
	s_mov_b64 s[0:1], exec
	global_store_short v[8:9], v7, off
.LBB93_62:                              ;   in Loop: Header=BB93_3 Depth=1
	s_or_b64 exec, exec, s[48:49]
	s_andn2_b64 s[48:49], s[46:47], exec
	s_or_b64 s[46:47], s[46:47], exec
	s_andn2_b64 s[44:45], s[44:45], exec
	s_andn2_b64 s[42:43], s[42:43], exec
	s_and_b64 s[0:1], s[0:1], exec
	s_andn2_b64 s[2:3], s[2:3], exec
	s_or_b64 exec, exec, s[52:53]
	s_and_saveexec_b64 s[50:51], s[2:3]
	s_cbranch_execz .LBB93_59
.LBB93_63:                              ;   in Loop: Header=BB93_3 Depth=1
	v_cmp_eq_u32_e32 vcc, 1, v17
	s_andn2_b64 s[0:1], s[0:1], exec
	s_and_b64 s[2:3], vcc, exec
	s_andn2_b64 s[48:49], s[48:49], exec
	s_andn2_b64 s[46:47], s[46:47], exec
	;; [unrolled: 1-line block ×4, first 2 shown]
	s_or_b64 s[40:41], s[40:41], exec
	s_or_b64 s[0:1], s[0:1], s[2:3]
	s_or_b64 exec, exec, s[50:51]
	s_and_saveexec_b64 s[2:3], s[0:1]
	s_cbranch_execz .LBB93_67
.LBB93_64:                              ;   in Loop: Header=BB93_3 Depth=1
	s_waitcnt vmcnt(3)
	v_cmp_le_f32_e32 vcc, 0, v2
	v_cmp_ge_f32_e64 s[0:1], 1.0, v2
	s_and_b64 s[52:53], vcc, s[0:1]
	s_mov_b64 s[0:1], 0
	s_and_saveexec_b64 s[50:51], s[52:53]
	s_cbranch_execz .LBB93_66
; %bb.65:                               ;   in Loop: Header=BB93_3 Depth=1
	v_cvt_f32_u32_e32 v8, v12
	s_waitcnt vmcnt(2)
	v_mov_b32_e32 v7, v3
	s_waitcnt vmcnt(1)
	v_mov_b32_e32 v9, 0x2f800000
	v_lshlrev_b64 v[6:7], 1, v[6:7]
	v_fmac_f32_e32 v9, 0x2f800000, v8
	v_mov_b32_e32 v8, s13
	v_add_co_u32_e32 v6, vcc, s12, v6
	v_addc_co_u32_e32 v7, vcc, v8, v7, vcc
	v_cmp_le_f32_e32 vcc, v9, v2
	s_mov_b64 s[0:1], exec
	v_cndmask_b32_e32 v2, 0, v32, vcc
	global_store_short v[6:7], v2, off
.LBB93_66:                              ;   in Loop: Header=BB93_3 Depth=1
	s_or_b64 exec, exec, s[50:51]
	s_andn2_b64 s[40:41], s[40:41], exec
	s_and_b64 s[0:1], s[0:1], exec
	s_or_b64 s[48:49], s[48:49], exec
	s_andn2_b64 s[46:47], s[46:47], exec
	s_andn2_b64 s[44:45], s[44:45], exec
	;; [unrolled: 1-line block ×3, first 2 shown]
	s_or_b64 s[40:41], s[40:41], s[0:1]
.LBB93_67:                              ;   in Loop: Header=BB93_3 Depth=1
	s_or_b64 exec, exec, s[2:3]
	s_andn2_b64 s[2:3], s[38:39], exec
	s_and_b64 s[38:39], s[48:49], exec
	s_or_b64 s[38:39], s[2:3], s[38:39]
	s_andn2_b64 s[2:3], s[36:37], exec
	s_and_b64 s[36:37], s[46:47], exec
	s_or_b64 s[36:37], s[2:3], s[36:37]
	;; [unrolled: 3-line block ×3, first 2 shown]
	s_andn2_b64 s[2:3], s[30:31], exec
	s_and_b64 s[30:31], s[42:43], exec
	s_mov_b64 s[0:1], -1
	s_or_b64 s[30:31], s[2:3], s[30:31]
	s_and_saveexec_b64 s[2:3], s[40:41]
	s_cbranch_execz .LBB93_2
; %bb.68:                               ;   in Loop: Header=BB93_3 Depth=1
	v_add_u32_e32 v30, s57, v30
	v_cmp_le_u32_e32 vcc, s33, v30
	s_andn2_b64 s[38:39], s[38:39], exec
	s_andn2_b64 s[36:37], s[36:37], exec
	;; [unrolled: 1-line block ×4, first 2 shown]
	s_orn2_b64 s[0:1], vcc, exec
	s_branch .LBB93_2
.LBB93_69:
	s_or_b64 exec, exec, s[22:23]
	s_xor_b64 s[6:7], s[28:29], -1
	s_xor_b64 s[8:9], s[26:27], -1
	;; [unrolled: 1-line block ×3, first 2 shown]
	s_mov_b64 s[2:3], 0
	s_and_saveexec_b64 s[4:5], s[0:1]
	s_xor_b64 s[0:1], exec, s[4:5]
	s_cbranch_execnz .LBB93_74
; %bb.70:
	s_andn2_saveexec_b64 s[0:1], s[0:1]
	s_cbranch_execnz .LBB93_82
.LBB93_71:
	s_or_b64 exec, exec, s[0:1]
	s_and_b64 exec, exec, s[2:3]
.LBB93_72:
	; divergent unreachable
.LBB93_73:
	s_endpgm
.LBB93_74:
	s_mov_b64 s[4:5], 0
	s_and_saveexec_b64 s[2:3], s[8:9]
	s_xor_b64 s[2:3], exec, s[2:3]
	s_cbranch_execz .LBB93_80
; %bb.75:
	s_and_saveexec_b64 s[8:9], s[6:7]
	s_xor_b64 s[6:7], exec, s[8:9]
	s_cbranch_execz .LBB93_78
; %bb.76:
	s_and_saveexec_b64 s[8:9], s[18:19]
	s_xor_b64 s[8:9], exec, s[8:9]
	s_cbranch_execnz .LBB93_85
.LBB93_77:
	s_or_b64 exec, exec, s[8:9]
	s_and_b64 s[4:5], s[4:5], exec
.LBB93_78:
	s_andn2_saveexec_b64 s[6:7], s[6:7]
	s_cbranch_execnz .LBB93_84
.LBB93_79:
	s_or_b64 exec, exec, s[6:7]
	s_and_b64 s[4:5], s[4:5], exec
.LBB93_80:
	s_andn2_saveexec_b64 s[2:3], s[2:3]
	s_cbranch_execnz .LBB93_83
.LBB93_81:
	s_or_b64 exec, exec, s[2:3]
	s_and_b64 s[2:3], s[4:5], exec
	s_andn2_saveexec_b64 s[0:1], s[0:1]
	s_cbranch_execz .LBB93_71
.LBB93_82:
	s_or_b64 s[2:3], s[2:3], exec
	s_trap 2
	s_or_b64 exec, exec, s[0:1]
	s_and_b64 exec, exec, s[2:3]
	s_cbranch_execnz .LBB93_72
	s_branch .LBB93_73
.LBB93_83:
	s_or_b64 s[4:5], s[4:5], exec
	s_trap 2
	s_branch .LBB93_81
.LBB93_84:
	s_trap 2
	s_or_b64 s[4:5], s[4:5], exec
	s_branch .LBB93_79
.LBB93_85:
	s_mov_b64 s[4:5], exec
	s_trap 2
	s_branch .LBB93_77
	.section	.rodata,"a",@progbits
	.p2align	6, 0x0
	.amdhsa_kernel _ZN2at4cuda12_GLOBAL__N_121kernelPointwiseApply2IZNS_6native9templates4cuda28bernoulli_tensor_cuda_kernelIN3c104HalfEfEEvRKNS_10TensorBaseESB_NS_15PhiloxCudaStateEEUliRS8_SD_SD_SD_RKfSF_SF_SF_E_S8_SE_jLi2ELin1ELi4ELi512ELi2EEEvNS0_6detail10TensorInfoIT0_T2_EENSI_IT1_SK_EESK_T_
		.amdhsa_group_segment_fixed_size 0
		.amdhsa_private_segment_fixed_size 0
		.amdhsa_kernarg_size 728
		.amdhsa_user_sgpr_count 6
		.amdhsa_user_sgpr_private_segment_buffer 1
		.amdhsa_user_sgpr_dispatch_ptr 0
		.amdhsa_user_sgpr_queue_ptr 0
		.amdhsa_user_sgpr_kernarg_segment_ptr 1
		.amdhsa_user_sgpr_dispatch_id 0
		.amdhsa_user_sgpr_flat_scratch_init 0
		.amdhsa_user_sgpr_kernarg_preload_length 0
		.amdhsa_user_sgpr_kernarg_preload_offset 0
		.amdhsa_user_sgpr_private_segment_size 0
		.amdhsa_uses_dynamic_stack 0
		.amdhsa_system_sgpr_private_segment_wavefront_offset 0
		.amdhsa_system_sgpr_workgroup_id_x 1
		.amdhsa_system_sgpr_workgroup_id_y 0
		.amdhsa_system_sgpr_workgroup_id_z 0
		.amdhsa_system_sgpr_workgroup_info 0
		.amdhsa_system_vgpr_workitem_id 0
		.amdhsa_next_free_vgpr 52
		.amdhsa_next_free_sgpr 61
		.amdhsa_accum_offset 52
		.amdhsa_reserve_vcc 1
		.amdhsa_reserve_flat_scratch 0
		.amdhsa_float_round_mode_32 0
		.amdhsa_float_round_mode_16_64 0
		.amdhsa_float_denorm_mode_32 3
		.amdhsa_float_denorm_mode_16_64 3
		.amdhsa_dx10_clamp 1
		.amdhsa_ieee_mode 1
		.amdhsa_fp16_overflow 0
		.amdhsa_tg_split 0
		.amdhsa_exception_fp_ieee_invalid_op 0
		.amdhsa_exception_fp_denorm_src 0
		.amdhsa_exception_fp_ieee_div_zero 0
		.amdhsa_exception_fp_ieee_overflow 0
		.amdhsa_exception_fp_ieee_underflow 0
		.amdhsa_exception_fp_ieee_inexact 0
		.amdhsa_exception_int_div_zero 0
	.end_amdhsa_kernel
	.section	.text._ZN2at4cuda12_GLOBAL__N_121kernelPointwiseApply2IZNS_6native9templates4cuda28bernoulli_tensor_cuda_kernelIN3c104HalfEfEEvRKNS_10TensorBaseESB_NS_15PhiloxCudaStateEEUliRS8_SD_SD_SD_RKfSF_SF_SF_E_S8_SE_jLi2ELin1ELi4ELi512ELi2EEEvNS0_6detail10TensorInfoIT0_T2_EENSI_IT1_SK_EESK_T_,"axG",@progbits,_ZN2at4cuda12_GLOBAL__N_121kernelPointwiseApply2IZNS_6native9templates4cuda28bernoulli_tensor_cuda_kernelIN3c104HalfEfEEvRKNS_10TensorBaseESB_NS_15PhiloxCudaStateEEUliRS8_SD_SD_SD_RKfSF_SF_SF_E_S8_SE_jLi2ELin1ELi4ELi512ELi2EEEvNS0_6detail10TensorInfoIT0_T2_EENSI_IT1_SK_EESK_T_,comdat
.Lfunc_end93:
	.size	_ZN2at4cuda12_GLOBAL__N_121kernelPointwiseApply2IZNS_6native9templates4cuda28bernoulli_tensor_cuda_kernelIN3c104HalfEfEEvRKNS_10TensorBaseESB_NS_15PhiloxCudaStateEEUliRS8_SD_SD_SD_RKfSF_SF_SF_E_S8_SE_jLi2ELin1ELi4ELi512ELi2EEEvNS0_6detail10TensorInfoIT0_T2_EENSI_IT1_SK_EESK_T_, .Lfunc_end93-_ZN2at4cuda12_GLOBAL__N_121kernelPointwiseApply2IZNS_6native9templates4cuda28bernoulli_tensor_cuda_kernelIN3c104HalfEfEEvRKNS_10TensorBaseESB_NS_15PhiloxCudaStateEEUliRS8_SD_SD_SD_RKfSF_SF_SF_E_S8_SE_jLi2ELin1ELi4ELi512ELi2EEEvNS0_6detail10TensorInfoIT0_T2_EENSI_IT1_SK_EESK_T_
                                        ; -- End function
	.section	.AMDGPU.csdata,"",@progbits
; Kernel info:
; codeLenInByte = 4044
; NumSgprs: 65
; NumVgprs: 52
; NumAgprs: 0
; TotalNumVgprs: 52
; ScratchSize: 0
; MemoryBound: 0
; FloatMode: 240
; IeeeMode: 1
; LDSByteSize: 0 bytes/workgroup (compile time only)
; SGPRBlocks: 8
; VGPRBlocks: 6
; NumSGPRsForWavesPerEU: 65
; NumVGPRsForWavesPerEU: 52
; AccumOffset: 52
; Occupancy: 8
; WaveLimiterHint : 1
; COMPUTE_PGM_RSRC2:SCRATCH_EN: 0
; COMPUTE_PGM_RSRC2:USER_SGPR: 6
; COMPUTE_PGM_RSRC2:TRAP_HANDLER: 0
; COMPUTE_PGM_RSRC2:TGID_X_EN: 1
; COMPUTE_PGM_RSRC2:TGID_Y_EN: 0
; COMPUTE_PGM_RSRC2:TGID_Z_EN: 0
; COMPUTE_PGM_RSRC2:TIDIG_COMP_CNT: 0
; COMPUTE_PGM_RSRC3_GFX90A:ACCUM_OFFSET: 12
; COMPUTE_PGM_RSRC3_GFX90A:TG_SPLIT: 0
	.section	.text._ZN2at4cuda12_GLOBAL__N_121kernelPointwiseApply2IZNS_6native9templates4cuda28bernoulli_tensor_cuda_kernelIN3c104HalfEfEEvRKNS_10TensorBaseESB_NS_15PhiloxCudaStateEEUliRS8_SD_SD_SD_RKfSF_SF_SF_E_S8_SE_jLin1ELi1ELi4ELi512ELi2EEEvNS0_6detail10TensorInfoIT0_T2_EENSI_IT1_SK_EESK_T_,"axG",@progbits,_ZN2at4cuda12_GLOBAL__N_121kernelPointwiseApply2IZNS_6native9templates4cuda28bernoulli_tensor_cuda_kernelIN3c104HalfEfEEvRKNS_10TensorBaseESB_NS_15PhiloxCudaStateEEUliRS8_SD_SD_SD_RKfSF_SF_SF_E_S8_SE_jLin1ELi1ELi4ELi512ELi2EEEvNS0_6detail10TensorInfoIT0_T2_EENSI_IT1_SK_EESK_T_,comdat
	.globl	_ZN2at4cuda12_GLOBAL__N_121kernelPointwiseApply2IZNS_6native9templates4cuda28bernoulli_tensor_cuda_kernelIN3c104HalfEfEEvRKNS_10TensorBaseESB_NS_15PhiloxCudaStateEEUliRS8_SD_SD_SD_RKfSF_SF_SF_E_S8_SE_jLin1ELi1ELi4ELi512ELi2EEEvNS0_6detail10TensorInfoIT0_T2_EENSI_IT1_SK_EESK_T_ ; -- Begin function _ZN2at4cuda12_GLOBAL__N_121kernelPointwiseApply2IZNS_6native9templates4cuda28bernoulli_tensor_cuda_kernelIN3c104HalfEfEEvRKNS_10TensorBaseESB_NS_15PhiloxCudaStateEEUliRS8_SD_SD_SD_RKfSF_SF_SF_E_S8_SE_jLin1ELi1ELi4ELi512ELi2EEEvNS0_6detail10TensorInfoIT0_T2_EENSI_IT1_SK_EESK_T_
	.p2align	8
	.type	_ZN2at4cuda12_GLOBAL__N_121kernelPointwiseApply2IZNS_6native9templates4cuda28bernoulli_tensor_cuda_kernelIN3c104HalfEfEEvRKNS_10TensorBaseESB_NS_15PhiloxCudaStateEEUliRS8_SD_SD_SD_RKfSF_SF_SF_E_S8_SE_jLin1ELi1ELi4ELi512ELi2EEEvNS0_6detail10TensorInfoIT0_T2_EENSI_IT1_SK_EESK_T_,@function
_ZN2at4cuda12_GLOBAL__N_121kernelPointwiseApply2IZNS_6native9templates4cuda28bernoulli_tensor_cuda_kernelIN3c104HalfEfEEvRKNS_10TensorBaseESB_NS_15PhiloxCudaStateEEUliRS8_SD_SD_SD_RKfSF_SF_SF_E_S8_SE_jLin1ELi1ELi4ELi512ELi2EEEvNS0_6detail10TensorInfoIT0_T2_EENSI_IT1_SK_EESK_T_: ; @_ZN2at4cuda12_GLOBAL__N_121kernelPointwiseApply2IZNS_6native9templates4cuda28bernoulli_tensor_cuda_kernelIN3c104HalfEfEEvRKNS_10TensorBaseESB_NS_15PhiloxCudaStateEEUliRS8_SD_SD_SD_RKfSF_SF_SF_E_S8_SE_jLin1ELi1ELi4ELi512ELi2EEEvNS0_6detail10TensorInfoIT0_T2_EENSI_IT1_SK_EESK_T_
; %bb.0:
	s_load_dword s2, s[4:5], 0x1e4
	s_load_dword s33, s[4:5], 0x1b0
	s_add_u32 s0, s4, 0x1d8
	s_addc_u32 s1, s5, 0
	s_waitcnt lgkmcnt(0)
	s_and_b32 s2, s2, 0xffff
	s_mul_i32 s6, s6, s2
	v_add_u32_e32 v5, s6, v0
	v_lshlrev_b32_e32 v30, 2, v5
	v_cmp_gt_u32_e32 vcc, s33, v30
	s_and_saveexec_b64 s[6:7], vcc
	s_cbranch_execz .LBB94_65
; %bb.1:
	s_load_dword s3, s[0:1], 0x0
	s_load_dword s54, s[4:5], 0x144
	s_load_dwordx4 s[12:15], s[4:5], 0x1b8
	s_load_dwordx2 s[10:11], s[4:5], 0xd8
	s_load_dword s6, s[4:5], 0xd0
	s_waitcnt lgkmcnt(0)
	s_mul_i32 s7, s3, s2
	s_load_dwordx2 s[16:17], s[4:5], 0x1c8
	s_load_dword s2, s[4:5], 0x1d0
	s_load_dword s55, s[4:5], 0x6c
	s_mov_b32 s56, 0xcd9e8d57
	s_load_dwordx2 s[20:21], s[4:5], 0x0
	s_cmp_gt_i32 s6, 1
	s_cselect_b64 s[0:1], -1, 0
	s_waitcnt lgkmcnt(0)
	s_bitcmp1_b32 s2, 0
	v_mad_u64_u32 v[0:1], s[2:3], v5, s56, 0
	s_cselect_b64 s[22:23], -1, 0
	s_add_i32 s2, s6, -1
	s_mov_b32 s3, 0
	s_lshl_b32 s57, s7, 2
	s_add_i32 s58, s6, 1
	s_lshl_b64 s[2:3], s[2:3], 2
	s_add_u32 s2, s2, s4
	s_addc_u32 s3, s3, s5
	v_mov_b32_e32 v4, v1
	s_add_u32 s24, s2, 8
	v_cndmask_b32_e64 v1, 0, 1, s[0:1]
	v_mov_b32_e32 v3, 0
	s_addc_u32 s25, s3, 0
	s_mov_b64 s[26:27], 0
	s_mov_b32 s59, 0xd2511f53
	v_cmp_ne_u32_e64 s[0:1], 1, v1
	s_mov_b32 s60, 0xf1bbcdc8
	v_mov_b32_e32 v1, 0x3c00
                                        ; implicit-def: $sgpr28_sgpr29
                                        ; implicit-def: $sgpr30_sgpr31
                                        ; implicit-def: $sgpr34_sgpr35
                                        ; implicit-def: $sgpr18_sgpr19
                                        ; implicit-def: $sgpr36_sgpr37
                                        ; implicit-def: $sgpr38_sgpr39
                                        ; implicit-def: $sgpr40_sgpr41
                                        ; implicit-def: $sgpr42_sgpr43
	s_branch .LBB94_3
.LBB94_2:                               ;   in Loop: Header=BB94_3 Depth=1
	s_or_b64 exec, exec, s[4:5]
	s_and_b64 s[2:3], exec, s[2:3]
	s_or_b64 s[26:27], s[2:3], s[26:27]
	s_andn2_b64 s[2:3], s[18:19], exec
	s_and_b64 s[4:5], s[42:43], exec
	s_or_b64 s[18:19], s[2:3], s[4:5]
	s_andn2_b64 s[2:3], s[34:35], exec
	s_and_b64 s[4:5], s[40:41], exec
	;; [unrolled: 3-line block ×4, first 2 shown]
	s_or_b64 s[28:29], s[2:3], s[4:5]
	s_andn2_b64 exec, exec, s[26:27]
	s_cbranch_execz .LBB94_61
.LBB94_3:                               ; =>This Loop Header: Depth=1
                                        ;     Child Loop BB94_6 Depth 2
                                        ;     Child Loop BB94_11 Depth 2
	;; [unrolled: 1-line block ×4, first 2 shown]
	v_sub_u32_e32 v31, s33, v30
	v_cmp_lt_i32_e64 s[2:3], 0, v31
	v_mov_b32_e32 v6, 0
	s_and_saveexec_b64 s[4:5], s[2:3]
	s_cbranch_execz .LBB94_8
; %bb.4:                                ;   in Loop: Header=BB94_3 Depth=1
	s_and_b64 vcc, exec, s[0:1]
	v_mov_b32_e32 v6, 0
	s_waitcnt vmcnt(3)
	v_mov_b32_e32 v2, v30
	s_cbranch_vccnz .LBB94_7
; %bb.5:                                ;   in Loop: Header=BB94_3 Depth=1
	v_mov_b32_e32 v6, 0
	s_mov_b64 s[6:7], s[24:25]
	s_mov_b32 s8, s58
	v_mov_b32_e32 v2, v30
.LBB94_6:                               ;   Parent Loop BB94_3 Depth=1
                                        ; =>  This Inner Loop Header: Depth=2
	s_load_dword s9, s[6:7], 0x0
	s_load_dword s44, s[6:7], 0x64
	s_waitcnt vmcnt(2)
	v_mov_b32_e32 v7, v2
	s_add_i32 s8, s8, -1
	s_waitcnt lgkmcnt(0)
	v_cvt_f32_u32_e32 v2, s9
	s_sub_i32 s45, 0, s9
	s_add_u32 s6, s6, -4
	s_addc_u32 s7, s7, -1
	v_rcp_iflag_f32_e32 v2, v2
	s_cmp_gt_u32 s8, 2
	v_mul_f32_e32 v2, 0x4f7ffffe, v2
	v_cvt_u32_f32_e32 v2, v2
	v_mul_lo_u32 v8, s45, v2
	v_mul_hi_u32 v8, v2, v8
	v_add_u32_e32 v2, v2, v8
	v_mul_hi_u32 v2, v7, v2
	v_mul_lo_u32 v8, v2, s9
	v_sub_u32_e32 v8, v7, v8
	v_add_u32_e32 v9, 1, v2
	v_cmp_le_u32_e32 vcc, s9, v8
	v_cndmask_b32_e32 v2, v2, v9, vcc
	v_subrev_u32_e32 v9, s9, v8
	v_cndmask_b32_e32 v8, v8, v9, vcc
	v_add_u32_e32 v9, 1, v2
	v_cmp_le_u32_e32 vcc, s9, v8
	v_cndmask_b32_e32 v2, v2, v9, vcc
	v_mul_lo_u32 v8, v2, s9
	v_sub_u32_e32 v7, v7, v8
	v_mad_u64_u32 v[6:7], s[44:45], s44, v7, v[6:7]
	s_cbranch_scc1 .LBB94_6
.LBB94_7:                               ;   in Loop: Header=BB94_3 Depth=1
	s_waitcnt vmcnt(2)
	v_mad_u64_u32 v[6:7], s[6:7], s55, v2, v[6:7]
.LBB94_8:                               ;   in Loop: Header=BB94_3 Depth=1
	s_or_b64 exec, exec, s[4:5]
	v_cmp_lt_i32_e64 s[4:5], 1, v31
	v_pk_mov_b32 v[8:9], 0, 0
	s_and_saveexec_b64 s[6:7], s[4:5]
	s_cbranch_execz .LBB94_13
; %bb.9:                                ;   in Loop: Header=BB94_3 Depth=1
	s_waitcnt vmcnt(3)
	v_or_b32_e32 v2, 1, v30
	s_and_b64 vcc, exec, s[0:1]
	v_mov_b32_e32 v8, 0
	s_cbranch_vccnz .LBB94_12
; %bb.10:                               ;   in Loop: Header=BB94_3 Depth=1
	v_mov_b32_e32 v8, 0
	s_mov_b64 s[8:9], s[24:25]
	s_mov_b32 s44, s58
.LBB94_11:                              ;   Parent Loop BB94_3 Depth=1
                                        ; =>  This Inner Loop Header: Depth=2
	s_load_dword s45, s[8:9], 0x0
	s_load_dword s46, s[8:9], 0x64
	s_waitcnt vmcnt(2)
	v_mov_b32_e32 v7, v2
	s_add_i32 s44, s44, -1
	s_waitcnt lgkmcnt(0)
	v_cvt_f32_u32_e32 v2, s45
	s_sub_i32 s47, 0, s45
	s_add_u32 s8, s8, -4
	s_addc_u32 s9, s9, -1
	v_rcp_iflag_f32_e32 v2, v2
	s_cmp_gt_u32 s44, 2
	v_mul_f32_e32 v2, 0x4f7ffffe, v2
	v_cvt_u32_f32_e32 v2, v2
	v_mul_lo_u32 v9, s47, v2
	v_mul_hi_u32 v9, v2, v9
	v_add_u32_e32 v2, v2, v9
	v_mul_hi_u32 v2, v7, v2
	v_mul_lo_u32 v9, v2, s45
	v_sub_u32_e32 v9, v7, v9
	v_add_u32_e32 v10, 1, v2
	v_cmp_le_u32_e32 vcc, s45, v9
	v_cndmask_b32_e32 v2, v2, v10, vcc
	v_subrev_u32_e32 v10, s45, v9
	v_cndmask_b32_e32 v9, v9, v10, vcc
	v_add_u32_e32 v10, 1, v2
	v_cmp_le_u32_e32 vcc, s45, v9
	v_cndmask_b32_e32 v2, v2, v10, vcc
	v_mul_lo_u32 v9, v2, s45
	v_sub_u32_e32 v7, v7, v9
	v_mad_u64_u32 v[8:9], s[46:47], s46, v7, v[8:9]
	s_cbranch_scc1 .LBB94_11
.LBB94_12:                              ;   in Loop: Header=BB94_3 Depth=1
	v_mad_u64_u32 v[8:9], s[8:9], s55, v2, v[8:9]
	v_mov_b32_e32 v9, v3
.LBB94_13:                              ;   in Loop: Header=BB94_3 Depth=1
	s_or_b64 exec, exec, s[6:7]
	v_cmp_lt_i32_e64 s[6:7], 2, v31
	v_pk_mov_b32 v[10:11], 0, 0
	s_and_saveexec_b64 s[8:9], s[6:7]
	s_cbranch_execz .LBB94_18
; %bb.14:                               ;   in Loop: Header=BB94_3 Depth=1
	s_waitcnt vmcnt(3)
	v_or_b32_e32 v2, 2, v30
	s_and_b64 vcc, exec, s[0:1]
	v_mov_b32_e32 v10, 0
	s_cbranch_vccnz .LBB94_17
; %bb.15:                               ;   in Loop: Header=BB94_3 Depth=1
	v_mov_b32_e32 v10, 0
	s_mov_b64 s[44:45], s[24:25]
	s_mov_b32 s46, s58
.LBB94_16:                              ;   Parent Loop BB94_3 Depth=1
                                        ; =>  This Inner Loop Header: Depth=2
	s_load_dword s47, s[44:45], 0x0
	s_load_dword s48, s[44:45], 0x64
	s_waitcnt vmcnt(2)
	v_mov_b32_e32 v7, v2
	s_add_i32 s46, s46, -1
	s_waitcnt lgkmcnt(0)
	v_cvt_f32_u32_e32 v2, s47
	s_sub_i32 s49, 0, s47
	s_add_u32 s44, s44, -4
	s_addc_u32 s45, s45, -1
	v_rcp_iflag_f32_e32 v2, v2
	s_cmp_gt_u32 s46, 2
	v_mul_f32_e32 v2, 0x4f7ffffe, v2
	v_cvt_u32_f32_e32 v2, v2
	v_mul_lo_u32 v11, s49, v2
	v_mul_hi_u32 v11, v2, v11
	v_add_u32_e32 v2, v2, v11
	v_mul_hi_u32 v2, v7, v2
	v_mul_lo_u32 v11, v2, s47
	v_sub_u32_e32 v11, v7, v11
	v_add_u32_e32 v12, 1, v2
	v_cmp_le_u32_e32 vcc, s47, v11
	v_cndmask_b32_e32 v2, v2, v12, vcc
	v_subrev_u32_e32 v12, s47, v11
	v_cndmask_b32_e32 v11, v11, v12, vcc
	v_add_u32_e32 v12, 1, v2
	v_cmp_le_u32_e32 vcc, s47, v11
	v_cndmask_b32_e32 v2, v2, v12, vcc
	v_mul_lo_u32 v11, v2, s47
	v_sub_u32_e32 v7, v7, v11
	v_mad_u64_u32 v[10:11], s[48:49], s48, v7, v[10:11]
	s_cbranch_scc1 .LBB94_16
.LBB94_17:                              ;   in Loop: Header=BB94_3 Depth=1
	v_mad_u64_u32 v[10:11], s[44:45], s55, v2, v[10:11]
	v_mov_b32_e32 v11, v3
.LBB94_18:                              ;   in Loop: Header=BB94_3 Depth=1
	s_or_b64 exec, exec, s[8:9]
	v_cmp_lt_i32_e64 s[8:9], 3, v31
	v_pk_mov_b32 v[14:15], 0, 0
	s_and_saveexec_b64 s[44:45], s[8:9]
	s_cbranch_execz .LBB94_23
; %bb.19:                               ;   in Loop: Header=BB94_3 Depth=1
	s_waitcnt vmcnt(3)
	v_or_b32_e32 v2, 3, v30
	s_and_b64 vcc, exec, s[0:1]
	v_mov_b32_e32 v12, 0
	s_cbranch_vccnz .LBB94_22
; %bb.20:                               ;   in Loop: Header=BB94_3 Depth=1
	v_mov_b32_e32 v12, 0
	s_mov_b64 s[46:47], s[24:25]
	s_mov_b32 s48, s58
.LBB94_21:                              ;   Parent Loop BB94_3 Depth=1
                                        ; =>  This Inner Loop Header: Depth=2
	s_load_dword s49, s[46:47], 0x0
	s_load_dword s50, s[46:47], 0x64
	s_waitcnt vmcnt(2)
	v_mov_b32_e32 v7, v2
	s_add_i32 s48, s48, -1
	s_waitcnt lgkmcnt(0)
	v_cvt_f32_u32_e32 v2, s49
	s_sub_i32 s51, 0, s49
	s_add_u32 s46, s46, -4
	s_addc_u32 s47, s47, -1
	v_rcp_iflag_f32_e32 v2, v2
	s_cmp_gt_u32 s48, 2
	v_mul_f32_e32 v2, 0x4f7ffffe, v2
	v_cvt_u32_f32_e32 v2, v2
	v_mul_lo_u32 v13, s51, v2
	v_mul_hi_u32 v13, v2, v13
	v_add_u32_e32 v2, v2, v13
	v_mul_hi_u32 v2, v7, v2
	v_mul_lo_u32 v13, v2, s49
	v_sub_u32_e32 v13, v7, v13
	v_add_u32_e32 v14, 1, v2
	v_cmp_le_u32_e32 vcc, s49, v13
	v_cndmask_b32_e32 v2, v2, v14, vcc
	v_subrev_u32_e32 v14, s49, v13
	v_cndmask_b32_e32 v13, v13, v14, vcc
	v_add_u32_e32 v14, 1, v2
	v_cmp_le_u32_e32 vcc, s49, v13
	v_cndmask_b32_e32 v2, v2, v14, vcc
	v_mul_lo_u32 v13, v2, s49
	v_sub_u32_e32 v7, v7, v13
	v_mad_u64_u32 v[12:13], s[50:51], s50, v7, v[12:13]
	s_cbranch_scc1 .LBB94_21
.LBB94_22:                              ;   in Loop: Header=BB94_3 Depth=1
	v_mad_u64_u32 v[14:15], s[46:47], s55, v2, v[12:13]
	v_mov_b32_e32 v15, v3
.LBB94_23:                              ;   in Loop: Header=BB94_3 Depth=1
	s_or_b64 exec, exec, s[44:45]
	s_waitcnt vmcnt(3)
	v_mul_lo_u32 v2, v30, s54
	s_waitcnt vmcnt(2)
	v_add_u32_e32 v7, s54, v2
	v_cndmask_b32_e64 v2, 0, v2, s[2:3]
	v_lshlrev_b64 v[12:13], 2, v[2:3]
	v_mov_b32_e32 v22, s11
	v_add_co_u32_e32 v12, vcc, s10, v12
	v_cndmask_b32_e64 v2, 0, v7, s[4:5]
	v_add_u32_e32 v18, s54, v7
	v_addc_co_u32_e32 v13, vcc, v22, v13, vcc
	v_lshlrev_b64 v[16:17], 2, v[2:3]
	v_add_co_u32_e32 v16, vcc, s10, v16
	v_cndmask_b32_e64 v2, 0, v18, s[6:7]
	v_add_u32_e32 v20, s54, v18
	v_addc_co_u32_e32 v17, vcc, v22, v17, vcc
	v_lshlrev_b64 v[18:19], 2, v[2:3]
	v_add_co_u32_e32 v18, vcc, s10, v18
	v_cndmask_b32_e64 v2, 0, v20, s[8:9]
	v_addc_co_u32_e32 v19, vcc, v22, v19, vcc
	v_lshlrev_b64 v[20:21], 2, v[2:3]
	v_add_co_u32_e32 v20, vcc, s10, v20
	v_addc_co_u32_e32 v21, vcc, v22, v21, vcc
	global_load_dword v2, v[12:13], off
	global_load_dword v7, v[16:17], off
	;; [unrolled: 1-line block ×4, first 2 shown]
	s_andn2_b64 vcc, exec, s[22:23]
	v_pk_mov_b32 v[12:13], s[14:15], s[14:15] op_sel:[0,1]
	v_pk_mov_b32 v[16:17], s[12:13], s[12:13] op_sel:[0,1]
	s_cbranch_vccnz .LBB94_25
; %bb.24:                               ;   in Loop: Header=BB94_3 Depth=1
	v_pk_mov_b32 v[12:13], s[14:15], s[14:15] op_sel:[0,1]
	flat_load_dwordx2 v[12:13], v[12:13]
	v_pk_mov_b32 v[16:17], s[12:13], s[12:13] op_sel:[0,1]
	flat_load_dwordx2 v[16:17], v[16:17]
	v_mov_b32_e32 v18, s17
	s_waitcnt vmcnt(0) lgkmcnt(0)
	v_add_co_u32_e32 v12, vcc, s16, v12
	v_addc_co_u32_e32 v13, vcc, v13, v18, vcc
.LBB94_25:                              ;   in Loop: Header=BB94_3 Depth=1
	v_alignbit_b32 v26, v13, v12, 2
	v_lshrrev_b32_e32 v27, 2, v13
	v_xor_b32_e32 v18, v4, v16
	v_and_b32_e32 v34, 3, v12
	v_mad_u64_u32 v[12:13], s[2:3], v26, s59, 0
	v_xor_b32_e32 v18, v18, v27
	v_xor_b32_e32 v13, v13, v17
	v_add_u32_e32 v39, 0xbb67ae85, v17
	v_mad_u64_u32 v[18:19], s[2:3], v18, s59, 0
	v_mad_u64_u32 v[20:21], s[2:3], v13, s56, 0
	v_xor_b32_e32 v19, v39, v19
	v_add_u32_e32 v38, 0x9e3779b9, v16
	v_xor_b32_e32 v13, v0, v21
	v_xor_b32_e32 v19, v19, v12
	v_xor_b32_e32 v13, v13, v38
	v_add_u32_e32 v40, 0x3c6ef372, v16
	v_mad_u64_u32 v[22:23], s[2:3], v19, s56, 0
	v_add_u32_e32 v41, 0x76cf5d0a, v17
	v_mad_u64_u32 v[12:13], s[2:3], v13, s59, 0
	v_xor_b32_e32 v19, v40, v23
	v_xor_b32_e32 v19, v19, v20
	v_xor_b32_e32 v13, v41, v13
	v_xor_b32_e32 v13, v13, v18
	v_add_u32_e32 v43, 0x32370b8f, v17
	v_mad_u64_u32 v[18:19], s[2:3], v19, s59, 0
	v_add_u32_e32 v42, 0xdaa66d2b, v16
	v_mad_u64_u32 v[20:21], s[2:3], v13, s56, 0
	v_xor_b32_e32 v19, v43, v19
	;; [unrolled: 8-line block ×5, first 2 shown]
	v_xor_b32_e32 v19, v19, v20
	v_xor_b32_e32 v13, v49, v13
	;; [unrolled: 1-line block ×3, first 2 shown]
	v_add_u32_e32 v51, 0x1fd5c5a3, v17
	v_mad_u64_u32 v[18:19], s[2:3], v19, s59, 0
	v_xor_b32_e32 v19, v51, v19
	v_xor_b32_e32 v12, v19, v12
	v_add_u32_e32 v50, 0x5384540f, v16
	v_mad_u64_u32 v[24:25], s[2:3], v13, s56, 0
	v_add_co_u32_e32 v36, vcc, s60, v16
	v_mad_u64_u32 v[20:21], s[2:3], v12, s56, 0
	v_xor_b32_e32 v13, v50, v25
	v_xor_b32_e32 v12, v36, v21
	;; [unrolled: 1-line block ×4, first 2 shown]
	v_mad_u64_u32 v[22:23], s[2:3], v13, s59, 0
	v_mad_u64_u32 v[12:13], s[2:3], v12, s59, 0
	v_add_u32_e32 v37, 0x96a522ad, v17
	v_xor_b32_e32 v13, v13, v22
	v_xor_b32_e32 v35, v37, v13
	v_add_co_u32_e32 v13, vcc, 1, v26
	v_cndmask_b32_e64 v22, 0, 1, vcc
	v_addc_co_u32_e32 v28, vcc, 0, v27, vcc
	v_cmp_eq_u32_e32 vcc, 0, v28
	v_cndmask_b32_e32 v22, 0, v22, vcc
	v_add_u32_e32 v26, v22, v5
	v_cmp_eq_u32_e32 vcc, 0, v26
	v_mad_u64_u32 v[24:25], s[2:3], v13, s59, 0
	v_mad_u64_u32 v[26:27], s[2:3], v26, s56, 0
	v_add_u32_e32 v21, 0x8ff34781, v16
	v_cndmask_b32_e32 v22, 0, v22, vcc
	v_xor_b32_e32 v13, v27, v16
	v_xor_b32_e32 v16, v25, v17
	;; [unrolled: 1-line block ×4, first 2 shown]
	v_mad_u64_u32 v[28:29], s[2:3], v22, s56, 0
	v_add_u32_e32 v19, 0xdb3d7428, v17
	v_mad_u64_u32 v[16:17], s[2:3], v13, s59, 0
	v_xor_b32_e32 v13, v38, v29
	v_xor_b32_e32 v13, v13, v26
	v_xor_b32_e32 v17, v39, v17
	v_xor_b32_e32 v17, v17, v24
	v_mad_u64_u32 v[24:25], s[2:3], v13, s59, 0
	v_mad_u64_u32 v[26:27], s[2:3], v17, s56, 0
	v_xor_b32_e32 v17, v41, v25
	v_xor_b32_e32 v13, v40, v27
	v_xor_b32_e32 v22, v17, v16
	v_xor_b32_e32 v13, v13, v28
	v_mad_u64_u32 v[28:29], s[2:3], v22, s56, 0
	;; [unrolled: 6-line block ×7, first 2 shown]
	v_xor_b32_e32 v13, v19, v27
	v_xor_b32_e32 v13, v13, v16
	v_mad_u64_u32 v[28:29], s[2:3], v17, s56, 0
	v_mad_u64_u32 v[16:17], s[2:3], v13, s56, 0
	v_xor_b32_e32 v13, v17, v28
	v_xor_b32_e32 v13, v21, v13
	v_cmp_lt_i32_e32 vcc, 1, v34
                                        ; implicit-def: $vgpr25
	s_and_saveexec_b64 s[2:3], vcc
	s_xor_b64 s[2:3], exec, s[2:3]
	s_cbranch_execz .LBB94_31
; %bb.26:                               ;   in Loop: Header=BB94_3 Depth=1
	v_cmp_lt_i32_e32 vcc, 2, v34
                                        ; implicit-def: $vgpr25
	s_and_saveexec_b64 s[4:5], vcc
	s_xor_b64 s[4:5], exec, s[4:5]
; %bb.27:                               ;   in Loop: Header=BB94_3 Depth=1
	v_xor_b32_e32 v17, v36, v29
	v_xor_b32_e32 v17, v17, v24
	v_mul_hi_u32 v17, v17, s59
	v_xor_b32_e32 v17, v17, v26
	v_xor_b32_e32 v25, v37, v17
                                        ; implicit-def: $vgpr35
; %bb.28:                               ;   in Loop: Header=BB94_3 Depth=1
	s_andn2_saveexec_b64 s[4:5], s[4:5]
; %bb.29:                               ;   in Loop: Header=BB94_3 Depth=1
	v_mov_b32_e32 v25, v16
	v_mov_b32_e32 v16, v13
	;; [unrolled: 1-line block ×4, first 2 shown]
; %bb.30:                               ;   in Loop: Header=BB94_3 Depth=1
	s_or_b64 exec, exec, s[4:5]
                                        ; implicit-def: $vgpr18_vgpr19
                                        ; implicit-def: $vgpr20_vgpr21
                                        ; implicit-def: $vgpr34
                                        ; implicit-def: $vgpr35
                                        ; implicit-def: $vgpr22_vgpr23
                                        ; implicit-def: $vgpr19
                                        ; implicit-def: $vgpr21
.LBB94_31:                              ;   in Loop: Header=BB94_3 Depth=1
	s_andn2_saveexec_b64 s[2:3], s[2:3]
	s_cbranch_execz .LBB94_35
; %bb.32:                               ;   in Loop: Header=BB94_3 Depth=1
	v_xor_b32_e32 v16, v19, v23
	v_xor_b32_e32 v16, v16, v18
	v_mad_u64_u32 v[18:19], s[4:5], v16, s56, 0
	v_xor_b32_e32 v16, v19, v20
	v_xor_b32_e32 v17, v21, v16
	v_cmp_eq_u32_e32 vcc, 1, v34
	v_mov_b32_e32 v25, v12
	v_mov_b32_e32 v16, v35
	;; [unrolled: 1-line block ×3, first 2 shown]
	s_and_saveexec_b64 s[4:5], vcc
; %bb.33:                               ;   in Loop: Header=BB94_3 Depth=1
	v_mov_b32_e32 v25, v13
	v_mov_b32_e32 v16, v12
	v_mov_b32_e32 v19, v35
	v_mov_b32_e32 v17, v18
; %bb.34:                               ;   in Loop: Header=BB94_3 Depth=1
	s_or_b64 exec, exec, s[4:5]
	v_mov_b32_e32 v12, v17
	v_mov_b32_e32 v13, v19
.LBB94_35:                              ;   in Loop: Header=BB94_3 Depth=1
	s_or_b64 exec, exec, s[2:3]
	v_min_i32_e32 v17, 4, v31
	v_cmp_lt_i32_e32 vcc, 2, v17
	s_mov_b64 s[4:5], 0
	s_mov_b64 s[50:51], 0
	;; [unrolled: 1-line block ×3, first 2 shown]
                                        ; implicit-def: $sgpr8_sgpr9
                                        ; implicit-def: $sgpr44_sgpr45
                                        ; implicit-def: $sgpr46_sgpr47
	s_and_saveexec_b64 s[2:3], vcc
	s_xor_b64 s[48:49], exec, s[2:3]
	s_cbranch_execz .LBB94_47
; %bb.36:                               ;   in Loop: Header=BB94_3 Depth=1
	v_cmp_lt_i32_e32 vcc, 3, v17
	s_mov_b64 s[2:3], -1
	s_mov_b64 s[52:53], 0
                                        ; implicit-def: $sgpr6_sgpr7
                                        ; implicit-def: $sgpr8_sgpr9
	s_and_saveexec_b64 s[44:45], vcc
	s_cbranch_execz .LBB94_42
; %bb.37:                               ;   in Loop: Header=BB94_3 Depth=1
	v_cmp_eq_u32_e32 vcc, 4, v17
	s_mov_b64 s[2:3], 0
	s_mov_b64 s[52:53], -1
                                        ; implicit-def: $sgpr6_sgpr7
                                        ; implicit-def: $sgpr8_sgpr9
	s_and_saveexec_b64 s[46:47], vcc
	s_cbranch_execz .LBB94_41
; %bb.38:                               ;   in Loop: Header=BB94_3 Depth=1
	s_waitcnt vmcnt(0)
	v_cmp_le_f32_e32 vcc, 0, v33
	v_cmp_ge_f32_e64 s[2:3], 1.0, v33
	s_and_b64 s[52:53], vcc, s[2:3]
	s_mov_b64 s[6:7], 0
	s_mov_b64 s[2:3], 0
	s_and_saveexec_b64 s[8:9], s[52:53]
	s_cbranch_execz .LBB94_40
; %bb.39:                               ;   in Loop: Header=BB94_3 Depth=1
	v_cvt_f32_u32_e32 v18, v25
	v_mov_b32_e32 v19, 0x2f800000
	v_lshlrev_b64 v[14:15], 1, v[14:15]
	v_add_co_u32_e32 v14, vcc, s20, v14
	v_fmac_f32_e32 v19, 0x2f800000, v18
	v_mov_b32_e32 v18, s21
	v_addc_co_u32_e32 v15, vcc, v18, v15, vcc
	v_cmp_le_f32_e32 vcc, v19, v33
	s_mov_b64 s[2:3], exec
	v_cndmask_b32_e32 v18, 0, v1, vcc
	global_store_short v[14:15], v18, off
.LBB94_40:                              ;   in Loop: Header=BB94_3 Depth=1
	s_or_b64 exec, exec, s[8:9]
	s_mov_b64 s[8:9], -1
	s_xor_b64 s[52:53], exec, -1
	s_and_b64 s[2:3], s[2:3], exec
.LBB94_41:                              ;   in Loop: Header=BB94_3 Depth=1
	s_or_b64 exec, exec, s[46:47]
	s_and_b64 s[52:53], s[52:53], exec
	s_orn2_b64 s[2:3], s[2:3], exec
.LBB94_42:                              ;   in Loop: Header=BB94_3 Depth=1
	s_or_b64 exec, exec, s[44:45]
	s_mov_b64 s[46:47], s[6:7]
	s_and_saveexec_b64 s[44:45], s[2:3]
	s_cbranch_execz .LBB94_46
; %bb.43:                               ;   in Loop: Header=BB94_3 Depth=1
	s_waitcnt vmcnt(1)
	v_cmp_le_f32_e32 vcc, 0, v32
	v_cmp_ge_f32_e64 s[2:3], 1.0, v32
	s_and_b64 s[46:47], vcc, s[2:3]
	s_mov_b64 s[2:3], 0
	s_and_saveexec_b64 s[50:51], s[46:47]
	s_xor_b64 s[46:47], exec, s[50:51]
	s_cbranch_execz .LBB94_45
; %bb.44:                               ;   in Loop: Header=BB94_3 Depth=1
	v_cvt_f32_u32_e32 v14, v16
	v_mov_b32_e32 v15, 0x2f800000
	v_lshlrev_b64 v[10:11], 1, v[10:11]
	v_add_co_u32_e32 v10, vcc, s20, v10
	v_fmac_f32_e32 v15, 0x2f800000, v14
	v_mov_b32_e32 v14, s21
	v_addc_co_u32_e32 v11, vcc, v14, v11, vcc
	v_cmp_le_f32_e32 vcc, v15, v32
	v_cndmask_b32_e32 v14, 0, v1, vcc
	s_mov_b64 s[2:3], exec
	global_store_short v[10:11], v14, off
.LBB94_45:                              ;   in Loop: Header=BB94_3 Depth=1
	s_or_b64 exec, exec, s[46:47]
	s_andn2_b64 s[46:47], s[6:7], exec
	s_or_b64 s[6:7], s[6:7], exec
	s_andn2_b64 s[8:9], s[8:9], exec
	s_and_b64 s[50:51], s[2:3], exec
.LBB94_46:                              ;   in Loop: Header=BB94_3 Depth=1
	s_or_b64 exec, exec, s[44:45]
	s_and_b64 s[46:47], s[46:47], exec
	s_and_b64 s[44:45], s[6:7], exec
	s_and_b64 s[8:9], s[8:9], exec
	s_and_b64 s[6:7], s[52:53], exec
	s_and_b64 s[50:51], s[50:51], exec
.LBB94_47:                              ;   in Loop: Header=BB94_3 Depth=1
	s_andn2_saveexec_b64 s[2:3], s[48:49]
; %bb.48:                               ;   in Loop: Header=BB94_3 Depth=1
	v_cmp_lt_i32_e32 vcc, 1, v17
	s_andn2_b64 s[48:49], s[50:51], exec
	s_and_b64 s[50:51], vcc, exec
	s_mov_b64 s[4:5], exec
	s_andn2_b64 s[46:47], s[46:47], exec
	s_andn2_b64 s[44:45], s[44:45], exec
	;; [unrolled: 1-line block ×3, first 2 shown]
	s_or_b64 s[50:51], s[48:49], s[50:51]
; %bb.49:                               ;   in Loop: Header=BB94_3 Depth=1
	s_or_b64 exec, exec, s[2:3]
	s_mov_b64 s[2:3], 0
	s_mov_b64 s[48:49], s[46:47]
	s_and_saveexec_b64 s[52:53], s[50:51]
	s_cbranch_execnz .LBB94_52
; %bb.50:                               ;   in Loop: Header=BB94_3 Depth=1
	s_or_b64 exec, exec, s[52:53]
	s_and_saveexec_b64 s[50:51], s[4:5]
	s_cbranch_execnz .LBB94_55
.LBB94_51:                              ;   in Loop: Header=BB94_3 Depth=1
	s_or_b64 exec, exec, s[50:51]
	s_and_saveexec_b64 s[4:5], s[2:3]
	s_cbranch_execnz .LBB94_56
	s_branch .LBB94_59
.LBB94_52:                              ;   in Loop: Header=BB94_3 Depth=1
	s_waitcnt vmcnt(2)
	v_cmp_le_f32_e32 vcc, 0, v7
	v_cmp_ge_f32_e64 s[2:3], 1.0, v7
	s_and_b64 s[48:49], vcc, s[2:3]
	s_mov_b64 s[2:3], 0
	s_and_saveexec_b64 s[50:51], s[48:49]
	s_xor_b64 s[48:49], exec, s[50:51]
	s_cbranch_execz .LBB94_54
; %bb.53:                               ;   in Loop: Header=BB94_3 Depth=1
	v_cvt_f32_u32_e32 v10, v13
	v_mov_b32_e32 v11, 0x2f800000
	v_lshlrev_b64 v[8:9], 1, v[8:9]
	v_add_co_u32_e32 v8, vcc, s20, v8
	v_fmac_f32_e32 v11, 0x2f800000, v10
	v_mov_b32_e32 v10, s21
	v_addc_co_u32_e32 v9, vcc, v10, v9, vcc
	v_cmp_le_f32_e32 vcc, v11, v7
	v_cndmask_b32_e32 v7, 0, v1, vcc
	s_mov_b64 s[2:3], exec
	global_store_short v[8:9], v7, off
.LBB94_54:                              ;   in Loop: Header=BB94_3 Depth=1
	s_or_b64 exec, exec, s[48:49]
	s_andn2_b64 s[48:49], s[46:47], exec
	s_or_b64 s[46:47], s[46:47], exec
	s_andn2_b64 s[44:45], s[44:45], exec
	s_andn2_b64 s[8:9], s[8:9], exec
	s_and_b64 s[2:3], s[2:3], exec
	s_andn2_b64 s[4:5], s[4:5], exec
	s_or_b64 exec, exec, s[52:53]
	s_and_saveexec_b64 s[50:51], s[4:5]
	s_cbranch_execz .LBB94_51
.LBB94_55:                              ;   in Loop: Header=BB94_3 Depth=1
	v_cmp_eq_u32_e32 vcc, 1, v17
	s_andn2_b64 s[2:3], s[2:3], exec
	s_and_b64 s[4:5], vcc, exec
	s_andn2_b64 s[48:49], s[48:49], exec
	s_andn2_b64 s[46:47], s[46:47], exec
	;; [unrolled: 1-line block ×4, first 2 shown]
	s_or_b64 s[6:7], s[6:7], exec
	s_or_b64 s[2:3], s[2:3], s[4:5]
	s_or_b64 exec, exec, s[50:51]
	s_and_saveexec_b64 s[4:5], s[2:3]
	s_cbranch_execz .LBB94_59
.LBB94_56:                              ;   in Loop: Header=BB94_3 Depth=1
	s_waitcnt vmcnt(3)
	v_cmp_le_f32_e32 vcc, 0, v2
	v_cmp_ge_f32_e64 s[2:3], 1.0, v2
	s_and_b64 s[52:53], vcc, s[2:3]
	s_mov_b64 s[2:3], 0
	s_and_saveexec_b64 s[50:51], s[52:53]
	s_cbranch_execz .LBB94_58
; %bb.57:                               ;   in Loop: Header=BB94_3 Depth=1
	v_cvt_f32_u32_e32 v8, v12
	s_waitcnt vmcnt(2)
	v_mov_b32_e32 v7, v3
	v_mov_b32_e32 v9, 0x2f800000
	v_lshlrev_b64 v[6:7], 1, v[6:7]
	v_fmac_f32_e32 v9, 0x2f800000, v8
	v_mov_b32_e32 v8, s21
	v_add_co_u32_e32 v6, vcc, s20, v6
	v_addc_co_u32_e32 v7, vcc, v8, v7, vcc
	v_cmp_le_f32_e32 vcc, v9, v2
	s_mov_b64 s[2:3], exec
	v_cndmask_b32_e32 v2, 0, v1, vcc
	global_store_short v[6:7], v2, off
.LBB94_58:                              ;   in Loop: Header=BB94_3 Depth=1
	s_or_b64 exec, exec, s[50:51]
	s_andn2_b64 s[6:7], s[6:7], exec
	s_and_b64 s[2:3], s[2:3], exec
	s_or_b64 s[48:49], s[48:49], exec
	s_andn2_b64 s[46:47], s[46:47], exec
	s_andn2_b64 s[44:45], s[44:45], exec
	;; [unrolled: 1-line block ×3, first 2 shown]
	s_or_b64 s[6:7], s[6:7], s[2:3]
.LBB94_59:                              ;   in Loop: Header=BB94_3 Depth=1
	s_or_b64 exec, exec, s[4:5]
	s_andn2_b64 s[4:5], s[42:43], exec
	s_and_b64 s[42:43], s[48:49], exec
	s_or_b64 s[42:43], s[4:5], s[42:43]
	s_andn2_b64 s[4:5], s[40:41], exec
	s_and_b64 s[40:41], s[46:47], exec
	s_or_b64 s[40:41], s[4:5], s[40:41]
	;; [unrolled: 3-line block ×3, first 2 shown]
	s_andn2_b64 s[4:5], s[36:37], exec
	s_and_b64 s[8:9], s[8:9], exec
	s_mov_b64 s[2:3], -1
	s_or_b64 s[36:37], s[4:5], s[8:9]
	s_and_saveexec_b64 s[4:5], s[6:7]
	s_cbranch_execz .LBB94_2
; %bb.60:                               ;   in Loop: Header=BB94_3 Depth=1
	v_add_u32_e32 v30, s57, v30
	v_cmp_le_u32_e32 vcc, s33, v30
	s_andn2_b64 s[42:43], s[42:43], exec
	s_andn2_b64 s[40:41], s[40:41], exec
	;; [unrolled: 1-line block ×4, first 2 shown]
	s_orn2_b64 s[2:3], vcc, exec
	s_branch .LBB94_2
.LBB94_61:
	s_or_b64 exec, exec, s[26:27]
	s_xor_b64 s[6:7], s[34:35], -1
	s_xor_b64 s[8:9], s[30:31], -1
	;; [unrolled: 1-line block ×3, first 2 shown]
	s_mov_b64 s[2:3], 0
	s_and_saveexec_b64 s[4:5], s[0:1]
	s_xor_b64 s[0:1], exec, s[4:5]
	s_cbranch_execnz .LBB94_66
; %bb.62:
	s_andn2_saveexec_b64 s[0:1], s[0:1]
	s_cbranch_execnz .LBB94_74
.LBB94_63:
	s_or_b64 exec, exec, s[0:1]
	s_and_b64 exec, exec, s[2:3]
.LBB94_64:
	; divergent unreachable
.LBB94_65:
	s_endpgm
.LBB94_66:
	s_mov_b64 s[4:5], 0
	s_and_saveexec_b64 s[2:3], s[8:9]
	s_xor_b64 s[2:3], exec, s[2:3]
	s_cbranch_execz .LBB94_72
; %bb.67:
	s_and_saveexec_b64 s[8:9], s[6:7]
	s_xor_b64 s[6:7], exec, s[8:9]
	s_cbranch_execz .LBB94_70
; %bb.68:
	s_and_saveexec_b64 s[8:9], s[18:19]
	s_xor_b64 s[8:9], exec, s[8:9]
	s_cbranch_execnz .LBB94_77
.LBB94_69:
	s_or_b64 exec, exec, s[8:9]
	s_and_b64 s[4:5], s[4:5], exec
.LBB94_70:
	s_andn2_saveexec_b64 s[6:7], s[6:7]
	s_cbranch_execnz .LBB94_76
.LBB94_71:
	s_or_b64 exec, exec, s[6:7]
	s_and_b64 s[4:5], s[4:5], exec
.LBB94_72:
	s_andn2_saveexec_b64 s[2:3], s[2:3]
	s_cbranch_execnz .LBB94_75
.LBB94_73:
	s_or_b64 exec, exec, s[2:3]
	s_and_b64 s[2:3], s[4:5], exec
	s_andn2_saveexec_b64 s[0:1], s[0:1]
	s_cbranch_execz .LBB94_63
.LBB94_74:
	s_or_b64 s[2:3], s[2:3], exec
	s_trap 2
	s_or_b64 exec, exec, s[0:1]
	s_and_b64 exec, exec, s[2:3]
	s_cbranch_execnz .LBB94_64
	s_branch .LBB94_65
.LBB94_75:
	s_or_b64 s[4:5], s[4:5], exec
	s_trap 2
	s_branch .LBB94_73
.LBB94_76:
	s_trap 2
	s_or_b64 s[4:5], s[4:5], exec
	s_branch .LBB94_71
.LBB94_77:
	s_mov_b64 s[4:5], exec
	s_trap 2
	s_branch .LBB94_69
	.section	.rodata,"a",@progbits
	.p2align	6, 0x0
	.amdhsa_kernel _ZN2at4cuda12_GLOBAL__N_121kernelPointwiseApply2IZNS_6native9templates4cuda28bernoulli_tensor_cuda_kernelIN3c104HalfEfEEvRKNS_10TensorBaseESB_NS_15PhiloxCudaStateEEUliRS8_SD_SD_SD_RKfSF_SF_SF_E_S8_SE_jLin1ELi1ELi4ELi512ELi2EEEvNS0_6detail10TensorInfoIT0_T2_EENSI_IT1_SK_EESK_T_
		.amdhsa_group_segment_fixed_size 0
		.amdhsa_private_segment_fixed_size 0
		.amdhsa_kernarg_size 728
		.amdhsa_user_sgpr_count 6
		.amdhsa_user_sgpr_private_segment_buffer 1
		.amdhsa_user_sgpr_dispatch_ptr 0
		.amdhsa_user_sgpr_queue_ptr 0
		.amdhsa_user_sgpr_kernarg_segment_ptr 1
		.amdhsa_user_sgpr_dispatch_id 0
		.amdhsa_user_sgpr_flat_scratch_init 0
		.amdhsa_user_sgpr_kernarg_preload_length 0
		.amdhsa_user_sgpr_kernarg_preload_offset 0
		.amdhsa_user_sgpr_private_segment_size 0
		.amdhsa_uses_dynamic_stack 0
		.amdhsa_system_sgpr_private_segment_wavefront_offset 0
		.amdhsa_system_sgpr_workgroup_id_x 1
		.amdhsa_system_sgpr_workgroup_id_y 0
		.amdhsa_system_sgpr_workgroup_id_z 0
		.amdhsa_system_sgpr_workgroup_info 0
		.amdhsa_system_vgpr_workitem_id 0
		.amdhsa_next_free_vgpr 52
		.amdhsa_next_free_sgpr 61
		.amdhsa_accum_offset 52
		.amdhsa_reserve_vcc 1
		.amdhsa_reserve_flat_scratch 0
		.amdhsa_float_round_mode_32 0
		.amdhsa_float_round_mode_16_64 0
		.amdhsa_float_denorm_mode_32 3
		.amdhsa_float_denorm_mode_16_64 3
		.amdhsa_dx10_clamp 1
		.amdhsa_ieee_mode 1
		.amdhsa_fp16_overflow 0
		.amdhsa_tg_split 0
		.amdhsa_exception_fp_ieee_invalid_op 0
		.amdhsa_exception_fp_denorm_src 0
		.amdhsa_exception_fp_ieee_div_zero 0
		.amdhsa_exception_fp_ieee_overflow 0
		.amdhsa_exception_fp_ieee_underflow 0
		.amdhsa_exception_fp_ieee_inexact 0
		.amdhsa_exception_int_div_zero 0
	.end_amdhsa_kernel
	.section	.text._ZN2at4cuda12_GLOBAL__N_121kernelPointwiseApply2IZNS_6native9templates4cuda28bernoulli_tensor_cuda_kernelIN3c104HalfEfEEvRKNS_10TensorBaseESB_NS_15PhiloxCudaStateEEUliRS8_SD_SD_SD_RKfSF_SF_SF_E_S8_SE_jLin1ELi1ELi4ELi512ELi2EEEvNS0_6detail10TensorInfoIT0_T2_EENSI_IT1_SK_EESK_T_,"axG",@progbits,_ZN2at4cuda12_GLOBAL__N_121kernelPointwiseApply2IZNS_6native9templates4cuda28bernoulli_tensor_cuda_kernelIN3c104HalfEfEEvRKNS_10TensorBaseESB_NS_15PhiloxCudaStateEEUliRS8_SD_SD_SD_RKfSF_SF_SF_E_S8_SE_jLin1ELi1ELi4ELi512ELi2EEEvNS0_6detail10TensorInfoIT0_T2_EENSI_IT1_SK_EESK_T_,comdat
.Lfunc_end94:
	.size	_ZN2at4cuda12_GLOBAL__N_121kernelPointwiseApply2IZNS_6native9templates4cuda28bernoulli_tensor_cuda_kernelIN3c104HalfEfEEvRKNS_10TensorBaseESB_NS_15PhiloxCudaStateEEUliRS8_SD_SD_SD_RKfSF_SF_SF_E_S8_SE_jLin1ELi1ELi4ELi512ELi2EEEvNS0_6detail10TensorInfoIT0_T2_EENSI_IT1_SK_EESK_T_, .Lfunc_end94-_ZN2at4cuda12_GLOBAL__N_121kernelPointwiseApply2IZNS_6native9templates4cuda28bernoulli_tensor_cuda_kernelIN3c104HalfEfEEvRKNS_10TensorBaseESB_NS_15PhiloxCudaStateEEUliRS8_SD_SD_SD_RKfSF_SF_SF_E_S8_SE_jLin1ELi1ELi4ELi512ELi2EEEvNS0_6detail10TensorInfoIT0_T2_EENSI_IT1_SK_EESK_T_
                                        ; -- End function
	.section	.AMDGPU.csdata,"",@progbits
; Kernel info:
; codeLenInByte = 3500
; NumSgprs: 65
; NumVgprs: 52
; NumAgprs: 0
; TotalNumVgprs: 52
; ScratchSize: 0
; MemoryBound: 0
; FloatMode: 240
; IeeeMode: 1
; LDSByteSize: 0 bytes/workgroup (compile time only)
; SGPRBlocks: 8
; VGPRBlocks: 6
; NumSGPRsForWavesPerEU: 65
; NumVGPRsForWavesPerEU: 52
; AccumOffset: 52
; Occupancy: 8
; WaveLimiterHint : 1
; COMPUTE_PGM_RSRC2:SCRATCH_EN: 0
; COMPUTE_PGM_RSRC2:USER_SGPR: 6
; COMPUTE_PGM_RSRC2:TRAP_HANDLER: 0
; COMPUTE_PGM_RSRC2:TGID_X_EN: 1
; COMPUTE_PGM_RSRC2:TGID_Y_EN: 0
; COMPUTE_PGM_RSRC2:TGID_Z_EN: 0
; COMPUTE_PGM_RSRC2:TIDIG_COMP_CNT: 0
; COMPUTE_PGM_RSRC3_GFX90A:ACCUM_OFFSET: 12
; COMPUTE_PGM_RSRC3_GFX90A:TG_SPLIT: 0
	.section	.text._ZN2at4cuda12_GLOBAL__N_121kernelPointwiseApply2IZNS_6native9templates4cuda28bernoulli_tensor_cuda_kernelIN3c104HalfEfEEvRKNS_10TensorBaseESB_NS_15PhiloxCudaStateEEUliRS8_SD_SD_SD_RKfSF_SF_SF_E_S8_SE_jLin1ELi2ELi4ELi512ELi2EEEvNS0_6detail10TensorInfoIT0_T2_EENSI_IT1_SK_EESK_T_,"axG",@progbits,_ZN2at4cuda12_GLOBAL__N_121kernelPointwiseApply2IZNS_6native9templates4cuda28bernoulli_tensor_cuda_kernelIN3c104HalfEfEEvRKNS_10TensorBaseESB_NS_15PhiloxCudaStateEEUliRS8_SD_SD_SD_RKfSF_SF_SF_E_S8_SE_jLin1ELi2ELi4ELi512ELi2EEEvNS0_6detail10TensorInfoIT0_T2_EENSI_IT1_SK_EESK_T_,comdat
	.globl	_ZN2at4cuda12_GLOBAL__N_121kernelPointwiseApply2IZNS_6native9templates4cuda28bernoulli_tensor_cuda_kernelIN3c104HalfEfEEvRKNS_10TensorBaseESB_NS_15PhiloxCudaStateEEUliRS8_SD_SD_SD_RKfSF_SF_SF_E_S8_SE_jLin1ELi2ELi4ELi512ELi2EEEvNS0_6detail10TensorInfoIT0_T2_EENSI_IT1_SK_EESK_T_ ; -- Begin function _ZN2at4cuda12_GLOBAL__N_121kernelPointwiseApply2IZNS_6native9templates4cuda28bernoulli_tensor_cuda_kernelIN3c104HalfEfEEvRKNS_10TensorBaseESB_NS_15PhiloxCudaStateEEUliRS8_SD_SD_SD_RKfSF_SF_SF_E_S8_SE_jLin1ELi2ELi4ELi512ELi2EEEvNS0_6detail10TensorInfoIT0_T2_EENSI_IT1_SK_EESK_T_
	.p2align	8
	.type	_ZN2at4cuda12_GLOBAL__N_121kernelPointwiseApply2IZNS_6native9templates4cuda28bernoulli_tensor_cuda_kernelIN3c104HalfEfEEvRKNS_10TensorBaseESB_NS_15PhiloxCudaStateEEUliRS8_SD_SD_SD_RKfSF_SF_SF_E_S8_SE_jLin1ELi2ELi4ELi512ELi2EEEvNS0_6detail10TensorInfoIT0_T2_EENSI_IT1_SK_EESK_T_,@function
_ZN2at4cuda12_GLOBAL__N_121kernelPointwiseApply2IZNS_6native9templates4cuda28bernoulli_tensor_cuda_kernelIN3c104HalfEfEEvRKNS_10TensorBaseESB_NS_15PhiloxCudaStateEEUliRS8_SD_SD_SD_RKfSF_SF_SF_E_S8_SE_jLin1ELi2ELi4ELi512ELi2EEEvNS0_6detail10TensorInfoIT0_T2_EENSI_IT1_SK_EESK_T_: ; @_ZN2at4cuda12_GLOBAL__N_121kernelPointwiseApply2IZNS_6native9templates4cuda28bernoulli_tensor_cuda_kernelIN3c104HalfEfEEvRKNS_10TensorBaseESB_NS_15PhiloxCudaStateEEUliRS8_SD_SD_SD_RKfSF_SF_SF_E_S8_SE_jLin1ELi2ELi4ELi512ELi2EEEvNS0_6detail10TensorInfoIT0_T2_EENSI_IT1_SK_EESK_T_
; %bb.0:
	s_load_dword s2, s[4:5], 0x1e4
	s_load_dword s33, s[4:5], 0x1b0
	s_add_u32 s0, s4, 0x1d8
	s_addc_u32 s1, s5, 0
	s_waitcnt lgkmcnt(0)
	s_and_b32 s2, s2, 0xffff
	s_mul_i32 s6, s6, s2
	v_add_u32_e32 v5, s6, v0
	v_lshlrev_b32_e32 v30, 2, v5
	v_cmp_gt_u32_e32 vcc, s33, v30
	s_and_saveexec_b64 s[6:7], vcc
	s_cbranch_execz .LBB95_73
; %bb.1:
	s_load_dword s56, s[4:5], 0xe4
	s_load_dwordx2 s[6:7], s[4:5], 0x144
	s_load_dword s3, s[0:1], 0x0
	s_load_dwordx2 s[12:13], s[4:5], 0xd8
	;; [unrolled: 2-line block ×3, first 2 shown]
	s_load_dwordx4 s[8:11], s[4:5], 0x1b8
	s_waitcnt lgkmcnt(0)
	v_cvt_f32_u32_e32 v0, s56
	s_mul_i32 s21, s3, s2
	s_load_dword s2, s[4:5], 0x1d0
	s_load_dword s57, s[4:5], 0x6c
	s_cmp_gt_i32 s20, 1
	v_rcp_iflag_f32_e32 v2, v0
	s_mov_b32 s58, 0xcd9e8d57
	s_cselect_b64 s[0:1], -1, 0
	s_waitcnt lgkmcnt(0)
	s_bitcmp1_b32 s2, 0
	v_mul_f32_e32 v2, 0x4f7ffffe, v2
	v_cvt_u32_f32_e32 v2, v2
	v_mad_u64_u32 v[0:1], s[2:3], v5, s58, 0
	s_cselect_b64 s[18:19], -1, 0
	s_sub_i32 s2, 0, s56
	s_mov_b32 s3, 0
	v_mov_b32_e32 v4, v1
	v_mul_lo_u32 v1, s2, v2
	s_add_i32 s2, s20, -1
	s_load_dwordx2 s[16:17], s[4:5], 0x0
	s_lshl_b32 s59, s21, 2
	s_add_i32 s60, s20, 1
	s_lshl_b64 s[2:3], s[2:3], 2
	s_add_u32 s2, s2, s4
	v_mul_hi_u32 v1, v2, v1
	s_addc_u32 s3, s3, s5
	v_add_u32_e32 v1, v2, v1
	s_add_u32 s20, s2, 8
	v_cndmask_b32_e64 v2, 0, 1, s[0:1]
	v_mov_b32_e32 v3, 0
	s_addc_u32 s21, s3, 0
	s_mov_b64 s[22:23], 0
	s_mov_b32 s61, 0xd2511f53
	v_cmp_ne_u32_e64 s[0:1], 1, v2
	s_mov_b32 s62, 0xf1bbcdc8
	v_mov_b32_e32 v31, 0x3c00
                                        ; implicit-def: $sgpr24_sgpr25
                                        ; implicit-def: $sgpr26_sgpr27
                                        ; implicit-def: $sgpr28_sgpr29
                                        ; implicit-def: $sgpr4_sgpr5
                                        ; implicit-def: $sgpr30_sgpr31
                                        ; implicit-def: $sgpr34_sgpr35
                                        ; implicit-def: $sgpr36_sgpr37
                                        ; implicit-def: $sgpr38_sgpr39
	s_branch .LBB95_3
.LBB95_2:                               ;   in Loop: Header=BB95_3 Depth=1
	s_or_b64 exec, exec, s[40:41]
	s_and_b64 s[2:3], exec, s[2:3]
	s_or_b64 s[22:23], s[2:3], s[22:23]
	s_andn2_b64 s[2:3], s[4:5], exec
	s_and_b64 s[4:5], s[38:39], exec
	s_or_b64 s[4:5], s[2:3], s[4:5]
	s_andn2_b64 s[2:3], s[28:29], exec
	s_and_b64 s[28:29], s[36:37], exec
	;; [unrolled: 3-line block ×4, first 2 shown]
	s_or_b64 s[24:25], s[2:3], s[24:25]
	s_andn2_b64 exec, exec, s[22:23]
	s_cbranch_execz .LBB95_69
.LBB95_3:                               ; =>This Loop Header: Depth=1
                                        ;     Child Loop BB95_6 Depth 2
                                        ;     Child Loop BB95_13 Depth 2
	;; [unrolled: 1-line block ×4, first 2 shown]
	v_sub_u32_e32 v32, s33, v30
	v_cmp_lt_i32_e64 s[2:3], 0, v32
	v_mov_b32_e32 v6, 0
	s_and_saveexec_b64 s[40:41], s[2:3]
	s_cbranch_execz .LBB95_8
; %bb.4:                                ;   in Loop: Header=BB95_3 Depth=1
	s_and_b64 vcc, exec, s[0:1]
	v_mov_b32_e32 v6, 0
	s_waitcnt vmcnt(3)
	v_mov_b32_e32 v2, v30
	s_cbranch_vccnz .LBB95_7
; %bb.5:                                ;   in Loop: Header=BB95_3 Depth=1
	v_mov_b32_e32 v6, 0
	s_mov_b64 s[42:43], s[20:21]
	s_mov_b32 s44, s60
	v_mov_b32_e32 v2, v30
.LBB95_6:                               ;   Parent Loop BB95_3 Depth=1
                                        ; =>  This Inner Loop Header: Depth=2
	s_load_dword s45, s[42:43], 0x0
	s_load_dword s46, s[42:43], 0x64
	s_waitcnt vmcnt(2)
	v_mov_b32_e32 v7, v2
	s_add_i32 s44, s44, -1
	s_waitcnt lgkmcnt(0)
	v_cvt_f32_u32_e32 v2, s45
	s_sub_i32 s47, 0, s45
	s_add_u32 s42, s42, -4
	s_addc_u32 s43, s43, -1
	v_rcp_iflag_f32_e32 v2, v2
	s_cmp_gt_u32 s44, 2
	v_mul_f32_e32 v2, 0x4f7ffffe, v2
	v_cvt_u32_f32_e32 v2, v2
	v_mul_lo_u32 v8, s47, v2
	v_mul_hi_u32 v8, v2, v8
	v_add_u32_e32 v2, v2, v8
	v_mul_hi_u32 v2, v7, v2
	v_mul_lo_u32 v8, v2, s45
	v_sub_u32_e32 v8, v7, v8
	s_waitcnt vmcnt(1)
	v_add_u32_e32 v9, 1, v2
	v_cmp_le_u32_e32 vcc, s45, v8
	v_cndmask_b32_e32 v2, v2, v9, vcc
	v_subrev_u32_e32 v9, s45, v8
	v_cndmask_b32_e32 v8, v8, v9, vcc
	v_add_u32_e32 v9, 1, v2
	v_cmp_le_u32_e32 vcc, s45, v8
	v_cndmask_b32_e32 v2, v2, v9, vcc
	v_mul_lo_u32 v8, v2, s45
	v_sub_u32_e32 v7, v7, v8
	v_mad_u64_u32 v[6:7], s[46:47], s46, v7, v[6:7]
	s_cbranch_scc1 .LBB95_6
.LBB95_7:                               ;   in Loop: Header=BB95_3 Depth=1
	s_waitcnt vmcnt(2)
	v_mad_u64_u32 v[6:7], s[42:43], s57, v2, v[6:7]
.LBB95_8:                               ;   in Loop: Header=BB95_3 Depth=1
	s_or_b64 exec, exec, s[40:41]
	v_mov_b32_e32 v8, 0
	s_waitcnt vmcnt(3)
	v_mov_b32_e32 v2, 0
	s_and_saveexec_b64 s[40:41], s[2:3]
	s_cbranch_execz .LBB95_10
; %bb.9:                                ;   in Loop: Header=BB95_3 Depth=1
	v_mul_hi_u32 v2, v30, v1
	s_waitcnt vmcnt(2)
	v_mul_lo_u32 v7, v2, s56
	v_sub_u32_e32 v7, v30, v7
	s_waitcnt vmcnt(1)
	v_add_u32_e32 v9, 1, v2
	v_cmp_le_u32_e32 vcc, s56, v7
	v_cndmask_b32_e32 v2, v2, v9, vcc
	v_subrev_u32_e32 v9, s56, v7
	v_cndmask_b32_e32 v7, v7, v9, vcc
	v_add_u32_e32 v9, 1, v2
	v_cmp_le_u32_e32 vcc, s56, v7
	v_cndmask_b32_e32 v7, v2, v9, vcc
	v_mul_lo_u32 v2, v7, s56
	v_sub_u32_e32 v2, v30, v2
	v_mul_lo_u32 v2, v2, s7
	v_mad_u64_u32 v[10:11], s[2:3], v7, s6, v[2:3]
	v_mov_b32_e32 v2, v10
.LBB95_10:                              ;   in Loop: Header=BB95_3 Depth=1
	s_or_b64 exec, exec, s[40:41]
	s_waitcnt vmcnt(2)
	v_or_b32_e32 v7, 1, v30
	v_cmp_lt_i32_e64 s[2:3], 1, v32
	s_and_saveexec_b64 s[40:41], s[2:3]
	s_cbranch_execz .LBB95_15
; %bb.11:                               ;   in Loop: Header=BB95_3 Depth=1
	s_and_b64 vcc, exec, s[0:1]
	v_mov_b32_e32 v8, 0
	v_mov_b32_e32 v10, v7
	s_cbranch_vccnz .LBB95_14
; %bb.12:                               ;   in Loop: Header=BB95_3 Depth=1
	v_mov_b32_e32 v8, 0
	s_mov_b64 s[42:43], s[20:21]
	s_mov_b32 s44, s60
	v_mov_b32_e32 v10, v7
.LBB95_13:                              ;   Parent Loop BB95_3 Depth=1
                                        ; =>  This Inner Loop Header: Depth=2
	s_load_dword s45, s[42:43], 0x0
	s_load_dword s46, s[42:43], 0x64
	s_waitcnt vmcnt(1)
	v_mov_b32_e32 v9, v10
	s_add_i32 s44, s44, -1
	s_waitcnt lgkmcnt(0)
	v_cvt_f32_u32_e32 v10, s45
	s_sub_i32 s47, 0, s45
	s_add_u32 s42, s42, -4
	s_addc_u32 s43, s43, -1
	v_rcp_iflag_f32_e32 v10, v10
	s_cmp_gt_u32 s44, 2
	v_mul_f32_e32 v10, 0x4f7ffffe, v10
	v_cvt_u32_f32_e32 v10, v10
	v_mul_lo_u32 v11, s47, v10
	v_mul_hi_u32 v11, v10, v11
	v_add_u32_e32 v10, v10, v11
	v_mul_hi_u32 v10, v9, v10
	v_mul_lo_u32 v11, v10, s45
	v_sub_u32_e32 v11, v9, v11
	v_add_u32_e32 v12, 1, v10
	v_cmp_le_u32_e32 vcc, s45, v11
	v_cndmask_b32_e32 v10, v10, v12, vcc
	v_subrev_u32_e32 v12, s45, v11
	v_cndmask_b32_e32 v11, v11, v12, vcc
	v_add_u32_e32 v12, 1, v10
	v_cmp_le_u32_e32 vcc, s45, v11
	v_cndmask_b32_e32 v10, v10, v12, vcc
	v_mul_lo_u32 v11, v10, s45
	v_sub_u32_e32 v9, v9, v11
	v_mad_u64_u32 v[8:9], s[46:47], s46, v9, v[8:9]
	s_cbranch_scc1 .LBB95_13
.LBB95_14:                              ;   in Loop: Header=BB95_3 Depth=1
	s_waitcnt vmcnt(1)
	v_mad_u64_u32 v[8:9], s[42:43], s57, v10, v[8:9]
.LBB95_15:                              ;   in Loop: Header=BB95_3 Depth=1
	s_or_b64 exec, exec, s[40:41]
	v_mov_b32_e32 v12, 0
	s_and_saveexec_b64 s[40:41], s[2:3]
	s_cbranch_execz .LBB95_17
; %bb.16:                               ;   in Loop: Header=BB95_3 Depth=1
	s_waitcnt vmcnt(1)
	v_mul_hi_u32 v9, v7, v1
	v_mul_lo_u32 v10, v9, s56
	v_sub_u32_e32 v10, v7, v10
	v_add_u32_e32 v11, 1, v9
	v_cmp_le_u32_e32 vcc, s56, v10
	v_cndmask_b32_e32 v9, v9, v11, vcc
	v_subrev_u32_e32 v11, s56, v10
	v_cndmask_b32_e32 v10, v10, v11, vcc
	v_add_u32_e32 v11, 1, v9
	v_cmp_le_u32_e32 vcc, s56, v10
	v_cndmask_b32_e32 v9, v9, v11, vcc
	v_mul_lo_u32 v10, v9, s56
	v_sub_u32_e32 v7, v7, v10
	v_mul_lo_u32 v10, v7, s7
	v_mad_u64_u32 v[12:13], s[2:3], v9, s6, v[10:11]
.LBB95_17:                              ;   in Loop: Header=BB95_3 Depth=1
	s_or_b64 exec, exec, s[40:41]
	v_or_b32_e32 v7, 2, v30
	v_cmp_lt_i32_e64 s[2:3], 2, v32
	v_pk_mov_b32 v[10:11], 0, 0
	s_and_saveexec_b64 s[40:41], s[2:3]
	s_cbranch_execz .LBB95_22
; %bb.18:                               ;   in Loop: Header=BB95_3 Depth=1
	s_and_b64 vcc, exec, s[0:1]
	v_mov_b32_e32 v10, 0
	s_waitcnt vmcnt(1)
	v_mov_b32_e32 v9, v7
	s_cbranch_vccnz .LBB95_21
; %bb.19:                               ;   in Loop: Header=BB95_3 Depth=1
	v_mov_b32_e32 v10, 0
	s_mov_b64 s[42:43], s[20:21]
	s_mov_b32 s44, s60
	v_mov_b32_e32 v9, v7
.LBB95_20:                              ;   Parent Loop BB95_3 Depth=1
                                        ; =>  This Inner Loop Header: Depth=2
	s_load_dword s45, s[42:43], 0x0
	s_load_dword s46, s[42:43], 0x64
	v_mov_b32_e32 v11, v9
	s_add_i32 s44, s44, -1
	s_waitcnt lgkmcnt(0)
	v_cvt_f32_u32_e32 v9, s45
	s_sub_i32 s47, 0, s45
	s_add_u32 s42, s42, -4
	s_addc_u32 s43, s43, -1
	v_rcp_iflag_f32_e32 v9, v9
	s_cmp_gt_u32 s44, 2
	v_mul_f32_e32 v9, 0x4f7ffffe, v9
	v_cvt_u32_f32_e32 v9, v9
	v_mul_lo_u32 v13, s47, v9
	v_mul_hi_u32 v13, v9, v13
	v_add_u32_e32 v9, v9, v13
	v_mul_hi_u32 v9, v11, v9
	v_mul_lo_u32 v13, v9, s45
	v_sub_u32_e32 v13, v11, v13
	v_add_u32_e32 v14, 1, v9
	v_cmp_le_u32_e32 vcc, s45, v13
	v_cndmask_b32_e32 v9, v9, v14, vcc
	v_subrev_u32_e32 v14, s45, v13
	v_cndmask_b32_e32 v13, v13, v14, vcc
	v_add_u32_e32 v14, 1, v9
	v_cmp_le_u32_e32 vcc, s45, v13
	v_cndmask_b32_e32 v9, v9, v14, vcc
	v_mul_lo_u32 v13, v9, s45
	v_sub_u32_e32 v11, v11, v13
	v_mad_u64_u32 v[10:11], s[46:47], s46, v11, v[10:11]
	s_cbranch_scc1 .LBB95_20
.LBB95_21:                              ;   in Loop: Header=BB95_3 Depth=1
	v_mad_u64_u32 v[10:11], s[42:43], s57, v9, v[10:11]
	v_mov_b32_e32 v11, v3
.LBB95_22:                              ;   in Loop: Header=BB95_3 Depth=1
	s_or_b64 exec, exec, s[40:41]
	v_pk_mov_b32 v[14:15], 0, 0
	v_pk_mov_b32 v[16:17], v[14:15], v[14:15] op_sel:[0,1]
	s_and_saveexec_b64 s[40:41], s[2:3]
	s_cbranch_execz .LBB95_24
; %bb.23:                               ;   in Loop: Header=BB95_3 Depth=1
	s_waitcnt vmcnt(1)
	v_mul_hi_u32 v9, v7, v1
	v_mul_lo_u32 v13, v9, s56
	v_sub_u32_e32 v13, v7, v13
	v_add_u32_e32 v16, 1, v9
	v_cmp_le_u32_e32 vcc, s56, v13
	v_cndmask_b32_e32 v9, v9, v16, vcc
	v_subrev_u32_e32 v16, s56, v13
	v_cndmask_b32_e32 v13, v13, v16, vcc
	v_add_u32_e32 v16, 1, v9
	v_cmp_le_u32_e32 vcc, s56, v13
	v_cndmask_b32_e32 v9, v9, v16, vcc
	v_mul_lo_u32 v13, v9, s56
	v_sub_u32_e32 v7, v7, v13
	v_mul_lo_u32 v16, v7, s7
	v_mad_u64_u32 v[16:17], s[2:3], v9, s6, v[16:17]
	v_mov_b32_e32 v17, v3
.LBB95_24:                              ;   in Loop: Header=BB95_3 Depth=1
	s_or_b64 exec, exec, s[40:41]
	v_or_b32_e32 v7, 3, v30
	v_cmp_lt_i32_e64 s[2:3], 3, v32
	s_and_saveexec_b64 s[40:41], s[2:3]
	s_cbranch_execz .LBB95_29
; %bb.25:                               ;   in Loop: Header=BB95_3 Depth=1
	s_and_b64 vcc, exec, s[0:1]
	v_mov_b32_e32 v14, 0
	s_waitcnt vmcnt(1)
	v_mov_b32_e32 v9, v7
	s_cbranch_vccnz .LBB95_28
; %bb.26:                               ;   in Loop: Header=BB95_3 Depth=1
	v_mov_b32_e32 v14, 0
	s_mov_b64 s[42:43], s[20:21]
	s_mov_b32 s44, s60
	v_mov_b32_e32 v9, v7
.LBB95_27:                              ;   Parent Loop BB95_3 Depth=1
                                        ; =>  This Inner Loop Header: Depth=2
	s_load_dword s45, s[42:43], 0x0
	s_load_dword s46, s[42:43], 0x64
	v_mov_b32_e32 v13, v9
	s_add_i32 s44, s44, -1
	s_waitcnt lgkmcnt(0)
	v_cvt_f32_u32_e32 v9, s45
	s_sub_i32 s47, 0, s45
	s_add_u32 s42, s42, -4
	s_addc_u32 s43, s43, -1
	v_rcp_iflag_f32_e32 v9, v9
	s_cmp_gt_u32 s44, 2
	v_mul_f32_e32 v9, 0x4f7ffffe, v9
	v_cvt_u32_f32_e32 v9, v9
	v_mul_lo_u32 v15, s47, v9
	v_mul_hi_u32 v15, v9, v15
	v_add_u32_e32 v9, v9, v15
	v_mul_hi_u32 v9, v13, v9
	v_mul_lo_u32 v15, v9, s45
	v_sub_u32_e32 v15, v13, v15
	v_add_u32_e32 v18, 1, v9
	v_cmp_le_u32_e32 vcc, s45, v15
	v_cndmask_b32_e32 v9, v9, v18, vcc
	v_subrev_u32_e32 v18, s45, v15
	v_cndmask_b32_e32 v15, v15, v18, vcc
	v_add_u32_e32 v18, 1, v9
	v_cmp_le_u32_e32 vcc, s45, v15
	v_cndmask_b32_e32 v9, v9, v18, vcc
	v_mul_lo_u32 v15, v9, s45
	v_sub_u32_e32 v13, v13, v15
	v_mad_u64_u32 v[14:15], s[46:47], s46, v13, v[14:15]
	s_cbranch_scc1 .LBB95_27
.LBB95_28:                              ;   in Loop: Header=BB95_3 Depth=1
	v_mad_u64_u32 v[14:15], s[42:43], s57, v9, v[14:15]
	v_mov_b32_e32 v15, v3
.LBB95_29:                              ;   in Loop: Header=BB95_3 Depth=1
	s_or_b64 exec, exec, s[40:41]
	v_pk_mov_b32 v[18:19], 0, 0
	s_and_saveexec_b64 s[40:41], s[2:3]
	s_cbranch_execz .LBB95_31
; %bb.30:                               ;   in Loop: Header=BB95_3 Depth=1
	s_waitcnt vmcnt(1)
	v_mul_hi_u32 v9, v7, v1
	v_mul_lo_u32 v13, v9, s56
	v_sub_u32_e32 v13, v7, v13
	v_add_u32_e32 v18, 1, v9
	v_cmp_le_u32_e32 vcc, s56, v13
	v_cndmask_b32_e32 v9, v9, v18, vcc
	v_subrev_u32_e32 v18, s56, v13
	v_cndmask_b32_e32 v13, v13, v18, vcc
	v_add_u32_e32 v18, 1, v9
	v_cmp_le_u32_e32 vcc, s56, v13
	v_cndmask_b32_e32 v9, v9, v18, vcc
	v_mul_lo_u32 v13, v9, s56
	v_sub_u32_e32 v7, v7, v13
	v_mul_lo_u32 v18, v7, s7
	v_mad_u64_u32 v[18:19], s[2:3], v9, s6, v[18:19]
	v_mov_b32_e32 v19, v3
.LBB95_31:                              ;   in Loop: Header=BB95_3 Depth=1
	s_or_b64 exec, exec, s[40:41]
	v_lshlrev_b64 v[20:21], 2, v[2:3]
	v_mov_b32_e32 v2, s13
	v_add_co_u32_e32 v20, vcc, s12, v20
	v_mov_b32_e32 v13, v3
	v_addc_co_u32_e32 v21, vcc, v2, v21, vcc
	v_lshlrev_b64 v[12:13], 2, v[12:13]
	v_add_co_u32_e32 v12, vcc, s12, v12
	v_addc_co_u32_e32 v13, vcc, v2, v13, vcc
	v_lshlrev_b64 v[16:17], 2, v[16:17]
	v_add_co_u32_e32 v16, vcc, s12, v16
	;; [unrolled: 3-line block ×3, first 2 shown]
	v_addc_co_u32_e32 v19, vcc, v2, v19, vcc
	global_load_dword v2, v[20:21], off
	global_load_dword v7, v[12:13], off
	;; [unrolled: 1-line block ×4, first 2 shown]
	s_andn2_b64 vcc, exec, s[18:19]
	v_pk_mov_b32 v[12:13], s[10:11], s[10:11] op_sel:[0,1]
	v_pk_mov_b32 v[16:17], s[8:9], s[8:9] op_sel:[0,1]
	s_cbranch_vccnz .LBB95_33
; %bb.32:                               ;   in Loop: Header=BB95_3 Depth=1
	v_pk_mov_b32 v[12:13], s[10:11], s[10:11] op_sel:[0,1]
	flat_load_dwordx2 v[12:13], v[12:13]
	v_pk_mov_b32 v[16:17], s[8:9], s[8:9] op_sel:[0,1]
	flat_load_dwordx2 v[16:17], v[16:17]
	v_mov_b32_e32 v18, s15
	s_waitcnt vmcnt(0) lgkmcnt(0)
	v_add_co_u32_e32 v12, vcc, s14, v12
	v_addc_co_u32_e32 v13, vcc, v13, v18, vcc
.LBB95_33:                              ;   in Loop: Header=BB95_3 Depth=1
	v_alignbit_b32 v26, v13, v12, 2
	v_lshrrev_b32_e32 v27, 2, v13
	v_xor_b32_e32 v18, v4, v16
	v_and_b32_e32 v34, 3, v12
	v_mad_u64_u32 v[12:13], s[2:3], v26, s61, 0
	v_xor_b32_e32 v18, v18, v27
	v_xor_b32_e32 v13, v13, v17
	v_add_u32_e32 v39, 0xbb67ae85, v17
	v_mad_u64_u32 v[18:19], s[2:3], v18, s61, 0
	v_mad_u64_u32 v[20:21], s[2:3], v13, s58, 0
	v_xor_b32_e32 v19, v39, v19
	v_add_u32_e32 v38, 0x9e3779b9, v16
	v_xor_b32_e32 v13, v0, v21
	v_xor_b32_e32 v19, v19, v12
	v_xor_b32_e32 v13, v13, v38
	v_add_u32_e32 v40, 0x3c6ef372, v16
	v_mad_u64_u32 v[22:23], s[2:3], v19, s58, 0
	v_add_u32_e32 v41, 0x76cf5d0a, v17
	v_mad_u64_u32 v[12:13], s[2:3], v13, s61, 0
	v_xor_b32_e32 v19, v40, v23
	v_xor_b32_e32 v19, v19, v20
	v_xor_b32_e32 v13, v41, v13
	v_xor_b32_e32 v13, v13, v18
	v_add_u32_e32 v43, 0x32370b8f, v17
	v_mad_u64_u32 v[18:19], s[2:3], v19, s61, 0
	v_add_u32_e32 v42, 0xdaa66d2b, v16
	v_mad_u64_u32 v[20:21], s[2:3], v13, s58, 0
	v_xor_b32_e32 v19, v43, v19
	;; [unrolled: 8-line block ×5, first 2 shown]
	v_xor_b32_e32 v19, v19, v20
	v_xor_b32_e32 v13, v49, v13
	;; [unrolled: 1-line block ×3, first 2 shown]
	v_add_u32_e32 v51, 0x1fd5c5a3, v17
	v_mad_u64_u32 v[18:19], s[2:3], v19, s61, 0
	v_xor_b32_e32 v19, v51, v19
	v_xor_b32_e32 v12, v19, v12
	v_add_u32_e32 v50, 0x5384540f, v16
	v_mad_u64_u32 v[24:25], s[2:3], v13, s58, 0
	v_add_co_u32_e32 v36, vcc, s62, v16
	v_mad_u64_u32 v[20:21], s[2:3], v12, s58, 0
	v_xor_b32_e32 v13, v50, v25
	v_xor_b32_e32 v12, v36, v21
	;; [unrolled: 1-line block ×4, first 2 shown]
	v_mad_u64_u32 v[22:23], s[2:3], v13, s61, 0
	v_mad_u64_u32 v[12:13], s[2:3], v12, s61, 0
	v_add_u32_e32 v37, 0x96a522ad, v17
	v_xor_b32_e32 v13, v13, v22
	v_xor_b32_e32 v35, v37, v13
	v_add_co_u32_e32 v13, vcc, 1, v26
	v_cndmask_b32_e64 v22, 0, 1, vcc
	v_addc_co_u32_e32 v28, vcc, 0, v27, vcc
	v_cmp_eq_u32_e32 vcc, 0, v28
	v_cndmask_b32_e32 v22, 0, v22, vcc
	v_add_u32_e32 v26, v22, v5
	v_cmp_eq_u32_e32 vcc, 0, v26
	v_mad_u64_u32 v[24:25], s[2:3], v13, s61, 0
	v_mad_u64_u32 v[26:27], s[2:3], v26, s58, 0
	v_add_u32_e32 v21, 0x8ff34781, v16
	v_cndmask_b32_e32 v22, 0, v22, vcc
	v_xor_b32_e32 v13, v27, v16
	v_xor_b32_e32 v16, v25, v17
	;; [unrolled: 1-line block ×4, first 2 shown]
	v_mad_u64_u32 v[28:29], s[2:3], v22, s58, 0
	v_add_u32_e32 v19, 0xdb3d7428, v17
	v_mad_u64_u32 v[16:17], s[2:3], v13, s61, 0
	v_xor_b32_e32 v13, v38, v29
	v_xor_b32_e32 v13, v13, v26
	v_xor_b32_e32 v17, v39, v17
	v_xor_b32_e32 v17, v17, v24
	v_mad_u64_u32 v[24:25], s[2:3], v13, s61, 0
	v_mad_u64_u32 v[26:27], s[2:3], v17, s58, 0
	v_xor_b32_e32 v17, v41, v25
	v_xor_b32_e32 v13, v40, v27
	v_xor_b32_e32 v22, v17, v16
	v_xor_b32_e32 v13, v13, v28
	v_mad_u64_u32 v[28:29], s[2:3], v22, s58, 0
	;; [unrolled: 6-line block ×7, first 2 shown]
	v_xor_b32_e32 v13, v19, v27
	v_xor_b32_e32 v13, v13, v16
	v_mad_u64_u32 v[28:29], s[2:3], v17, s58, 0
	v_mad_u64_u32 v[16:17], s[2:3], v13, s58, 0
	v_xor_b32_e32 v13, v17, v28
	v_xor_b32_e32 v13, v21, v13
	v_cmp_lt_i32_e32 vcc, 1, v34
                                        ; implicit-def: $vgpr25
	s_and_saveexec_b64 s[2:3], vcc
	s_xor_b64 s[2:3], exec, s[2:3]
	s_cbranch_execz .LBB95_39
; %bb.34:                               ;   in Loop: Header=BB95_3 Depth=1
	v_cmp_lt_i32_e32 vcc, 2, v34
                                        ; implicit-def: $vgpr25
	s_and_saveexec_b64 s[40:41], vcc
	s_xor_b64 s[40:41], exec, s[40:41]
; %bb.35:                               ;   in Loop: Header=BB95_3 Depth=1
	v_xor_b32_e32 v17, v36, v29
	v_xor_b32_e32 v17, v17, v24
	v_mul_hi_u32 v17, v17, s61
	v_xor_b32_e32 v17, v17, v26
	v_xor_b32_e32 v25, v37, v17
                                        ; implicit-def: $vgpr35
; %bb.36:                               ;   in Loop: Header=BB95_3 Depth=1
	s_andn2_saveexec_b64 s[40:41], s[40:41]
; %bb.37:                               ;   in Loop: Header=BB95_3 Depth=1
	v_mov_b32_e32 v25, v16
	v_mov_b32_e32 v16, v13
	;; [unrolled: 1-line block ×4, first 2 shown]
; %bb.38:                               ;   in Loop: Header=BB95_3 Depth=1
	s_or_b64 exec, exec, s[40:41]
                                        ; implicit-def: $vgpr18_vgpr19
                                        ; implicit-def: $vgpr20_vgpr21
                                        ; implicit-def: $vgpr34
                                        ; implicit-def: $vgpr35
                                        ; implicit-def: $vgpr22_vgpr23
                                        ; implicit-def: $vgpr19
                                        ; implicit-def: $vgpr21
.LBB95_39:                              ;   in Loop: Header=BB95_3 Depth=1
	s_andn2_saveexec_b64 s[2:3], s[2:3]
	s_cbranch_execz .LBB95_43
; %bb.40:                               ;   in Loop: Header=BB95_3 Depth=1
	v_xor_b32_e32 v16, v19, v23
	v_xor_b32_e32 v16, v16, v18
	v_mad_u64_u32 v[18:19], s[40:41], v16, s58, 0
	v_xor_b32_e32 v16, v19, v20
	v_xor_b32_e32 v17, v21, v16
	v_cmp_eq_u32_e32 vcc, 1, v34
	v_mov_b32_e32 v25, v12
	v_mov_b32_e32 v16, v35
	v_mov_b32_e32 v19, v18
	s_and_saveexec_b64 s[40:41], vcc
; %bb.41:                               ;   in Loop: Header=BB95_3 Depth=1
	v_mov_b32_e32 v25, v13
	v_mov_b32_e32 v16, v12
	;; [unrolled: 1-line block ×4, first 2 shown]
; %bb.42:                               ;   in Loop: Header=BB95_3 Depth=1
	s_or_b64 exec, exec, s[40:41]
	v_mov_b32_e32 v12, v17
	v_mov_b32_e32 v13, v19
.LBB95_43:                              ;   in Loop: Header=BB95_3 Depth=1
	s_or_b64 exec, exec, s[2:3]
	v_min_i32_e32 v17, 4, v32
	v_cmp_lt_i32_e32 vcc, 2, v17
	s_mov_b64 s[40:41], 0
	s_mov_b64 s[52:53], 0
	;; [unrolled: 1-line block ×3, first 2 shown]
                                        ; implicit-def: $sgpr44_sgpr45
                                        ; implicit-def: $sgpr46_sgpr47
                                        ; implicit-def: $sgpr48_sgpr49
	s_and_saveexec_b64 s[2:3], vcc
	s_xor_b64 s[50:51], exec, s[2:3]
	s_cbranch_execz .LBB95_55
; %bb.44:                               ;   in Loop: Header=BB95_3 Depth=1
	v_cmp_lt_i32_e32 vcc, 3, v17
	s_mov_b64 s[2:3], -1
	s_mov_b64 s[54:55], 0
                                        ; implicit-def: $sgpr42_sgpr43
                                        ; implicit-def: $sgpr44_sgpr45
	s_and_saveexec_b64 s[46:47], vcc
	s_cbranch_execz .LBB95_50
; %bb.45:                               ;   in Loop: Header=BB95_3 Depth=1
	v_cmp_eq_u32_e32 vcc, 4, v17
	s_mov_b64 s[2:3], 0
	s_mov_b64 s[54:55], -1
                                        ; implicit-def: $sgpr42_sgpr43
                                        ; implicit-def: $sgpr44_sgpr45
	s_and_saveexec_b64 s[48:49], vcc
	s_cbranch_execz .LBB95_49
; %bb.46:                               ;   in Loop: Header=BB95_3 Depth=1
	s_waitcnt vmcnt(0)
	v_cmp_le_f32_e32 vcc, 0, v33
	v_cmp_ge_f32_e64 s[2:3], 1.0, v33
	s_and_b64 s[54:55], vcc, s[2:3]
	s_mov_b64 s[42:43], 0
	s_mov_b64 s[2:3], 0
	s_and_saveexec_b64 s[44:45], s[54:55]
	s_cbranch_execz .LBB95_48
; %bb.47:                               ;   in Loop: Header=BB95_3 Depth=1
	v_cvt_f32_u32_e32 v18, v25
	v_mov_b32_e32 v19, 0x2f800000
	v_lshlrev_b64 v[14:15], 1, v[14:15]
	s_waitcnt lgkmcnt(0)
	v_add_co_u32_e32 v14, vcc, s16, v14
	v_fmac_f32_e32 v19, 0x2f800000, v18
	v_mov_b32_e32 v18, s17
	v_addc_co_u32_e32 v15, vcc, v18, v15, vcc
	v_cmp_le_f32_e32 vcc, v19, v33
	s_mov_b64 s[2:3], exec
	v_cndmask_b32_e32 v18, 0, v31, vcc
	global_store_short v[14:15], v18, off
.LBB95_48:                              ;   in Loop: Header=BB95_3 Depth=1
	s_or_b64 exec, exec, s[44:45]
	s_mov_b64 s[44:45], -1
	s_xor_b64 s[54:55], exec, -1
	s_and_b64 s[2:3], s[2:3], exec
.LBB95_49:                              ;   in Loop: Header=BB95_3 Depth=1
	s_or_b64 exec, exec, s[48:49]
	s_and_b64 s[54:55], s[54:55], exec
	s_orn2_b64 s[2:3], s[2:3], exec
.LBB95_50:                              ;   in Loop: Header=BB95_3 Depth=1
	s_or_b64 exec, exec, s[46:47]
	s_mov_b64 s[48:49], s[42:43]
	s_and_saveexec_b64 s[46:47], s[2:3]
	s_cbranch_execz .LBB95_54
; %bb.51:                               ;   in Loop: Header=BB95_3 Depth=1
	s_waitcnt vmcnt(1)
	v_cmp_le_f32_e32 vcc, 0, v9
	v_cmp_ge_f32_e64 s[2:3], 1.0, v9
	s_and_b64 s[48:49], vcc, s[2:3]
	s_mov_b64 s[2:3], 0
	s_and_saveexec_b64 s[52:53], s[48:49]
	s_xor_b64 s[48:49], exec, s[52:53]
	s_cbranch_execz .LBB95_53
; %bb.52:                               ;   in Loop: Header=BB95_3 Depth=1
	v_cvt_f32_u32_e32 v14, v16
	v_mov_b32_e32 v15, 0x2f800000
	v_lshlrev_b64 v[10:11], 1, v[10:11]
	s_waitcnt lgkmcnt(0)
	v_add_co_u32_e32 v10, vcc, s16, v10
	v_fmac_f32_e32 v15, 0x2f800000, v14
	v_mov_b32_e32 v14, s17
	v_addc_co_u32_e32 v11, vcc, v14, v11, vcc
	v_cmp_le_f32_e32 vcc, v15, v9
	v_cndmask_b32_e32 v9, 0, v31, vcc
	s_mov_b64 s[2:3], exec
	global_store_short v[10:11], v9, off
.LBB95_53:                              ;   in Loop: Header=BB95_3 Depth=1
	s_or_b64 exec, exec, s[48:49]
	s_andn2_b64 s[48:49], s[42:43], exec
	s_or_b64 s[42:43], s[42:43], exec
	s_andn2_b64 s[44:45], s[44:45], exec
	s_and_b64 s[52:53], s[2:3], exec
.LBB95_54:                              ;   in Loop: Header=BB95_3 Depth=1
	s_or_b64 exec, exec, s[46:47]
	s_and_b64 s[48:49], s[48:49], exec
	s_and_b64 s[46:47], s[42:43], exec
	;; [unrolled: 1-line block ×5, first 2 shown]
.LBB95_55:                              ;   in Loop: Header=BB95_3 Depth=1
	s_andn2_saveexec_b64 s[2:3], s[50:51]
; %bb.56:                               ;   in Loop: Header=BB95_3 Depth=1
	v_cmp_lt_i32_e32 vcc, 1, v17
	s_andn2_b64 s[50:51], s[52:53], exec
	s_and_b64 s[52:53], vcc, exec
	s_mov_b64 s[40:41], exec
	s_andn2_b64 s[48:49], s[48:49], exec
	s_andn2_b64 s[46:47], s[46:47], exec
	;; [unrolled: 1-line block ×3, first 2 shown]
	s_or_b64 s[52:53], s[50:51], s[52:53]
; %bb.57:                               ;   in Loop: Header=BB95_3 Depth=1
	s_or_b64 exec, exec, s[2:3]
	s_mov_b64 s[2:3], 0
	s_mov_b64 s[50:51], s[48:49]
	s_and_saveexec_b64 s[54:55], s[52:53]
	s_cbranch_execnz .LBB95_60
; %bb.58:                               ;   in Loop: Header=BB95_3 Depth=1
	s_or_b64 exec, exec, s[54:55]
	s_and_saveexec_b64 s[52:53], s[40:41]
	s_cbranch_execnz .LBB95_63
.LBB95_59:                              ;   in Loop: Header=BB95_3 Depth=1
	s_or_b64 exec, exec, s[52:53]
	s_and_saveexec_b64 s[40:41], s[2:3]
	s_cbranch_execnz .LBB95_64
	s_branch .LBB95_67
.LBB95_60:                              ;   in Loop: Header=BB95_3 Depth=1
	s_waitcnt vmcnt(2)
	v_cmp_le_f32_e32 vcc, 0, v7
	v_cmp_ge_f32_e64 s[2:3], 1.0, v7
	s_and_b64 s[50:51], vcc, s[2:3]
	s_mov_b64 s[2:3], 0
	s_and_saveexec_b64 s[52:53], s[50:51]
	s_xor_b64 s[50:51], exec, s[52:53]
	s_cbranch_execz .LBB95_62
; %bb.61:                               ;   in Loop: Header=BB95_3 Depth=1
	v_cvt_f32_u32_e32 v10, v13
	s_waitcnt vmcnt(1)
	v_mov_b32_e32 v9, v3
	v_mov_b32_e32 v11, 0x2f800000
	v_lshlrev_b64 v[8:9], 1, v[8:9]
	v_fmac_f32_e32 v11, 0x2f800000, v10
	s_waitcnt lgkmcnt(0)
	v_mov_b32_e32 v10, s17
	v_add_co_u32_e32 v8, vcc, s16, v8
	v_addc_co_u32_e32 v9, vcc, v10, v9, vcc
	v_cmp_le_f32_e32 vcc, v11, v7
	v_cndmask_b32_e32 v7, 0, v31, vcc
	s_mov_b64 s[2:3], exec
	global_store_short v[8:9], v7, off
.LBB95_62:                              ;   in Loop: Header=BB95_3 Depth=1
	s_or_b64 exec, exec, s[50:51]
	s_andn2_b64 s[50:51], s[48:49], exec
	s_or_b64 s[48:49], s[48:49], exec
	s_andn2_b64 s[46:47], s[46:47], exec
	s_andn2_b64 s[44:45], s[44:45], exec
	s_and_b64 s[2:3], s[2:3], exec
	s_andn2_b64 s[40:41], s[40:41], exec
	s_or_b64 exec, exec, s[54:55]
	s_and_saveexec_b64 s[52:53], s[40:41]
	s_cbranch_execz .LBB95_59
.LBB95_63:                              ;   in Loop: Header=BB95_3 Depth=1
	v_cmp_eq_u32_e32 vcc, 1, v17
	s_andn2_b64 s[2:3], s[2:3], exec
	s_and_b64 s[40:41], vcc, exec
	s_andn2_b64 s[50:51], s[50:51], exec
	s_andn2_b64 s[48:49], s[48:49], exec
	;; [unrolled: 1-line block ×4, first 2 shown]
	s_or_b64 s[42:43], s[42:43], exec
	s_or_b64 s[2:3], s[2:3], s[40:41]
	s_or_b64 exec, exec, s[52:53]
	s_and_saveexec_b64 s[40:41], s[2:3]
	s_cbranch_execz .LBB95_67
.LBB95_64:                              ;   in Loop: Header=BB95_3 Depth=1
	s_waitcnt vmcnt(3)
	v_cmp_le_f32_e32 vcc, 0, v2
	v_cmp_ge_f32_e64 s[2:3], 1.0, v2
	s_and_b64 s[54:55], vcc, s[2:3]
	s_mov_b64 s[2:3], 0
	s_and_saveexec_b64 s[52:53], s[54:55]
	s_cbranch_execz .LBB95_66
; %bb.65:                               ;   in Loop: Header=BB95_3 Depth=1
	v_cvt_f32_u32_e32 v8, v12
	s_waitcnt vmcnt(2)
	v_mov_b32_e32 v7, v3
	s_waitcnt vmcnt(1)
	v_mov_b32_e32 v9, 0x2f800000
	v_lshlrev_b64 v[6:7], 1, v[6:7]
	v_fmac_f32_e32 v9, 0x2f800000, v8
	s_waitcnt lgkmcnt(0)
	v_mov_b32_e32 v8, s17
	v_add_co_u32_e32 v6, vcc, s16, v6
	v_addc_co_u32_e32 v7, vcc, v8, v7, vcc
	v_cmp_le_f32_e32 vcc, v9, v2
	s_mov_b64 s[2:3], exec
	v_cndmask_b32_e32 v2, 0, v31, vcc
	global_store_short v[6:7], v2, off
.LBB95_66:                              ;   in Loop: Header=BB95_3 Depth=1
	s_or_b64 exec, exec, s[52:53]
	s_andn2_b64 s[42:43], s[42:43], exec
	s_and_b64 s[2:3], s[2:3], exec
	s_or_b64 s[50:51], s[50:51], exec
	s_andn2_b64 s[48:49], s[48:49], exec
	s_andn2_b64 s[46:47], s[46:47], exec
	;; [unrolled: 1-line block ×3, first 2 shown]
	s_or_b64 s[42:43], s[42:43], s[2:3]
.LBB95_67:                              ;   in Loop: Header=BB95_3 Depth=1
	s_or_b64 exec, exec, s[40:41]
	s_andn2_b64 s[38:39], s[38:39], exec
	s_and_b64 s[40:41], s[50:51], exec
	s_or_b64 s[38:39], s[38:39], s[40:41]
	s_andn2_b64 s[36:37], s[36:37], exec
	s_and_b64 s[40:41], s[48:49], exec
	s_or_b64 s[36:37], s[36:37], s[40:41]
	s_andn2_b64 s[34:35], s[34:35], exec
	s_and_b64 s[40:41], s[46:47], exec
	s_or_b64 s[34:35], s[34:35], s[40:41]
	s_andn2_b64 s[30:31], s[30:31], exec
	s_and_b64 s[40:41], s[44:45], exec
	s_mov_b64 s[2:3], -1
	s_or_b64 s[30:31], s[30:31], s[40:41]
	s_and_saveexec_b64 s[40:41], s[42:43]
	s_cbranch_execz .LBB95_2
; %bb.68:                               ;   in Loop: Header=BB95_3 Depth=1
	v_add_u32_e32 v30, s59, v30
	v_cmp_le_u32_e32 vcc, s33, v30
	s_andn2_b64 s[38:39], s[38:39], exec
	s_andn2_b64 s[36:37], s[36:37], exec
	;; [unrolled: 1-line block ×4, first 2 shown]
	s_orn2_b64 s[2:3], vcc, exec
	s_branch .LBB95_2
.LBB95_69:
	s_or_b64 exec, exec, s[22:23]
	s_xor_b64 s[8:9], s[28:29], -1
	s_xor_b64 s[10:11], s[26:27], -1
	;; [unrolled: 1-line block ×3, first 2 shown]
	s_mov_b64 s[2:3], 0
	s_and_saveexec_b64 s[6:7], s[0:1]
	s_xor_b64 s[0:1], exec, s[6:7]
	s_cbranch_execnz .LBB95_74
; %bb.70:
	s_andn2_saveexec_b64 s[0:1], s[0:1]
	s_cbranch_execnz .LBB95_82
.LBB95_71:
	s_or_b64 exec, exec, s[0:1]
	s_and_b64 exec, exec, s[2:3]
.LBB95_72:
	; divergent unreachable
.LBB95_73:
	s_endpgm
.LBB95_74:
	s_mov_b64 s[6:7], 0
	s_and_saveexec_b64 s[2:3], s[10:11]
	s_xor_b64 s[2:3], exec, s[2:3]
	s_cbranch_execz .LBB95_80
; %bb.75:
	s_and_saveexec_b64 s[10:11], s[8:9]
	s_xor_b64 s[8:9], exec, s[10:11]
	s_cbranch_execz .LBB95_78
; %bb.76:
	s_and_saveexec_b64 s[10:11], s[4:5]
	s_xor_b64 s[4:5], exec, s[10:11]
	s_cbranch_execnz .LBB95_85
.LBB95_77:
	s_or_b64 exec, exec, s[4:5]
	s_and_b64 s[6:7], s[6:7], exec
.LBB95_78:
	s_andn2_saveexec_b64 s[4:5], s[8:9]
	s_cbranch_execnz .LBB95_84
.LBB95_79:
	s_or_b64 exec, exec, s[4:5]
	s_and_b64 s[6:7], s[6:7], exec
.LBB95_80:
	s_andn2_saveexec_b64 s[2:3], s[2:3]
	s_cbranch_execnz .LBB95_83
.LBB95_81:
	s_or_b64 exec, exec, s[2:3]
	s_and_b64 s[2:3], s[6:7], exec
	s_andn2_saveexec_b64 s[0:1], s[0:1]
	s_cbranch_execz .LBB95_71
.LBB95_82:
	s_or_b64 s[2:3], s[2:3], exec
	s_trap 2
	s_or_b64 exec, exec, s[0:1]
	s_and_b64 exec, exec, s[2:3]
	s_cbranch_execnz .LBB95_72
	s_branch .LBB95_73
.LBB95_83:
	s_or_b64 s[6:7], s[6:7], exec
	s_trap 2
	s_branch .LBB95_81
.LBB95_84:
	s_trap 2
	s_or_b64 s[6:7], s[6:7], exec
	s_branch .LBB95_79
.LBB95_85:
	s_mov_b64 s[6:7], exec
	s_trap 2
	s_branch .LBB95_77
	.section	.rodata,"a",@progbits
	.p2align	6, 0x0
	.amdhsa_kernel _ZN2at4cuda12_GLOBAL__N_121kernelPointwiseApply2IZNS_6native9templates4cuda28bernoulli_tensor_cuda_kernelIN3c104HalfEfEEvRKNS_10TensorBaseESB_NS_15PhiloxCudaStateEEUliRS8_SD_SD_SD_RKfSF_SF_SF_E_S8_SE_jLin1ELi2ELi4ELi512ELi2EEEvNS0_6detail10TensorInfoIT0_T2_EENSI_IT1_SK_EESK_T_
		.amdhsa_group_segment_fixed_size 0
		.amdhsa_private_segment_fixed_size 0
		.amdhsa_kernarg_size 728
		.amdhsa_user_sgpr_count 6
		.amdhsa_user_sgpr_private_segment_buffer 1
		.amdhsa_user_sgpr_dispatch_ptr 0
		.amdhsa_user_sgpr_queue_ptr 0
		.amdhsa_user_sgpr_kernarg_segment_ptr 1
		.amdhsa_user_sgpr_dispatch_id 0
		.amdhsa_user_sgpr_flat_scratch_init 0
		.amdhsa_user_sgpr_kernarg_preload_length 0
		.amdhsa_user_sgpr_kernarg_preload_offset 0
		.amdhsa_user_sgpr_private_segment_size 0
		.amdhsa_uses_dynamic_stack 0
		.amdhsa_system_sgpr_private_segment_wavefront_offset 0
		.amdhsa_system_sgpr_workgroup_id_x 1
		.amdhsa_system_sgpr_workgroup_id_y 0
		.amdhsa_system_sgpr_workgroup_id_z 0
		.amdhsa_system_sgpr_workgroup_info 0
		.amdhsa_system_vgpr_workitem_id 0
		.amdhsa_next_free_vgpr 52
		.amdhsa_next_free_sgpr 63
		.amdhsa_accum_offset 52
		.amdhsa_reserve_vcc 1
		.amdhsa_reserve_flat_scratch 0
		.amdhsa_float_round_mode_32 0
		.amdhsa_float_round_mode_16_64 0
		.amdhsa_float_denorm_mode_32 3
		.amdhsa_float_denorm_mode_16_64 3
		.amdhsa_dx10_clamp 1
		.amdhsa_ieee_mode 1
		.amdhsa_fp16_overflow 0
		.amdhsa_tg_split 0
		.amdhsa_exception_fp_ieee_invalid_op 0
		.amdhsa_exception_fp_denorm_src 0
		.amdhsa_exception_fp_ieee_div_zero 0
		.amdhsa_exception_fp_ieee_overflow 0
		.amdhsa_exception_fp_ieee_underflow 0
		.amdhsa_exception_fp_ieee_inexact 0
		.amdhsa_exception_int_div_zero 0
	.end_amdhsa_kernel
	.section	.text._ZN2at4cuda12_GLOBAL__N_121kernelPointwiseApply2IZNS_6native9templates4cuda28bernoulli_tensor_cuda_kernelIN3c104HalfEfEEvRKNS_10TensorBaseESB_NS_15PhiloxCudaStateEEUliRS8_SD_SD_SD_RKfSF_SF_SF_E_S8_SE_jLin1ELi2ELi4ELi512ELi2EEEvNS0_6detail10TensorInfoIT0_T2_EENSI_IT1_SK_EESK_T_,"axG",@progbits,_ZN2at4cuda12_GLOBAL__N_121kernelPointwiseApply2IZNS_6native9templates4cuda28bernoulli_tensor_cuda_kernelIN3c104HalfEfEEvRKNS_10TensorBaseESB_NS_15PhiloxCudaStateEEUliRS8_SD_SD_SD_RKfSF_SF_SF_E_S8_SE_jLin1ELi2ELi4ELi512ELi2EEEvNS0_6detail10TensorInfoIT0_T2_EENSI_IT1_SK_EESK_T_,comdat
.Lfunc_end95:
	.size	_ZN2at4cuda12_GLOBAL__N_121kernelPointwiseApply2IZNS_6native9templates4cuda28bernoulli_tensor_cuda_kernelIN3c104HalfEfEEvRKNS_10TensorBaseESB_NS_15PhiloxCudaStateEEUliRS8_SD_SD_SD_RKfSF_SF_SF_E_S8_SE_jLin1ELi2ELi4ELi512ELi2EEEvNS0_6detail10TensorInfoIT0_T2_EENSI_IT1_SK_EESK_T_, .Lfunc_end95-_ZN2at4cuda12_GLOBAL__N_121kernelPointwiseApply2IZNS_6native9templates4cuda28bernoulli_tensor_cuda_kernelIN3c104HalfEfEEvRKNS_10TensorBaseESB_NS_15PhiloxCudaStateEEUliRS8_SD_SD_SD_RKfSF_SF_SF_E_S8_SE_jLin1ELi2ELi4ELi512ELi2EEEvNS0_6detail10TensorInfoIT0_T2_EENSI_IT1_SK_EESK_T_
                                        ; -- End function
	.section	.AMDGPU.csdata,"",@progbits
; Kernel info:
; codeLenInByte = 3968
; NumSgprs: 67
; NumVgprs: 52
; NumAgprs: 0
; TotalNumVgprs: 52
; ScratchSize: 0
; MemoryBound: 0
; FloatMode: 240
; IeeeMode: 1
; LDSByteSize: 0 bytes/workgroup (compile time only)
; SGPRBlocks: 8
; VGPRBlocks: 6
; NumSGPRsForWavesPerEU: 67
; NumVGPRsForWavesPerEU: 52
; AccumOffset: 52
; Occupancy: 8
; WaveLimiterHint : 1
; COMPUTE_PGM_RSRC2:SCRATCH_EN: 0
; COMPUTE_PGM_RSRC2:USER_SGPR: 6
; COMPUTE_PGM_RSRC2:TRAP_HANDLER: 0
; COMPUTE_PGM_RSRC2:TGID_X_EN: 1
; COMPUTE_PGM_RSRC2:TGID_Y_EN: 0
; COMPUTE_PGM_RSRC2:TGID_Z_EN: 0
; COMPUTE_PGM_RSRC2:TIDIG_COMP_CNT: 0
; COMPUTE_PGM_RSRC3_GFX90A:ACCUM_OFFSET: 12
; COMPUTE_PGM_RSRC3_GFX90A:TG_SPLIT: 0
	.section	.text._ZN2at4cuda12_GLOBAL__N_121kernelPointwiseApply2IZNS_6native9templates4cuda28bernoulli_tensor_cuda_kernelIN3c104HalfEfEEvRKNS_10TensorBaseESB_NS_15PhiloxCudaStateEEUliRS8_SD_SD_SD_RKfSF_SF_SF_E_S8_SE_jLin1ELin1ELi4ELi512ELi2EEEvNS0_6detail10TensorInfoIT0_T2_EENSI_IT1_SK_EESK_T_,"axG",@progbits,_ZN2at4cuda12_GLOBAL__N_121kernelPointwiseApply2IZNS_6native9templates4cuda28bernoulli_tensor_cuda_kernelIN3c104HalfEfEEvRKNS_10TensorBaseESB_NS_15PhiloxCudaStateEEUliRS8_SD_SD_SD_RKfSF_SF_SF_E_S8_SE_jLin1ELin1ELi4ELi512ELi2EEEvNS0_6detail10TensorInfoIT0_T2_EENSI_IT1_SK_EESK_T_,comdat
	.globl	_ZN2at4cuda12_GLOBAL__N_121kernelPointwiseApply2IZNS_6native9templates4cuda28bernoulli_tensor_cuda_kernelIN3c104HalfEfEEvRKNS_10TensorBaseESB_NS_15PhiloxCudaStateEEUliRS8_SD_SD_SD_RKfSF_SF_SF_E_S8_SE_jLin1ELin1ELi4ELi512ELi2EEEvNS0_6detail10TensorInfoIT0_T2_EENSI_IT1_SK_EESK_T_ ; -- Begin function _ZN2at4cuda12_GLOBAL__N_121kernelPointwiseApply2IZNS_6native9templates4cuda28bernoulli_tensor_cuda_kernelIN3c104HalfEfEEvRKNS_10TensorBaseESB_NS_15PhiloxCudaStateEEUliRS8_SD_SD_SD_RKfSF_SF_SF_E_S8_SE_jLin1ELin1ELi4ELi512ELi2EEEvNS0_6detail10TensorInfoIT0_T2_EENSI_IT1_SK_EESK_T_
	.p2align	8
	.type	_ZN2at4cuda12_GLOBAL__N_121kernelPointwiseApply2IZNS_6native9templates4cuda28bernoulli_tensor_cuda_kernelIN3c104HalfEfEEvRKNS_10TensorBaseESB_NS_15PhiloxCudaStateEEUliRS8_SD_SD_SD_RKfSF_SF_SF_E_S8_SE_jLin1ELin1ELi4ELi512ELi2EEEvNS0_6detail10TensorInfoIT0_T2_EENSI_IT1_SK_EESK_T_,@function
_ZN2at4cuda12_GLOBAL__N_121kernelPointwiseApply2IZNS_6native9templates4cuda28bernoulli_tensor_cuda_kernelIN3c104HalfEfEEvRKNS_10TensorBaseESB_NS_15PhiloxCudaStateEEUliRS8_SD_SD_SD_RKfSF_SF_SF_E_S8_SE_jLin1ELin1ELi4ELi512ELi2EEEvNS0_6detail10TensorInfoIT0_T2_EENSI_IT1_SK_EESK_T_: ; @_ZN2at4cuda12_GLOBAL__N_121kernelPointwiseApply2IZNS_6native9templates4cuda28bernoulli_tensor_cuda_kernelIN3c104HalfEfEEvRKNS_10TensorBaseESB_NS_15PhiloxCudaStateEEUliRS8_SD_SD_SD_RKfSF_SF_SF_E_S8_SE_jLin1ELin1ELi4ELi512ELi2EEEvNS0_6detail10TensorInfoIT0_T2_EENSI_IT1_SK_EESK_T_
; %bb.0:
	s_load_dword s2, s[4:5], 0x1e4
	s_load_dword s33, s[4:5], 0x1b0
	s_add_u32 s0, s4, 0x1d8
	s_addc_u32 s1, s5, 0
	s_waitcnt lgkmcnt(0)
	s_and_b32 s2, s2, 0xffff
	s_mul_i32 s6, s6, s2
	v_add_u32_e32 v5, s6, v0
	v_lshlrev_b32_e32 v30, 2, v5
	v_cmp_gt_u32_e32 vcc, s33, v30
	s_and_saveexec_b64 s[6:7], vcc
	s_cbranch_execz .LBB96_85
; %bb.1:
	s_load_dword s0, s[0:1], 0x0
	s_nop 0
	s_load_dword s16, s[4:5], 0x1d0
	s_load_dword s20, s[4:5], 0xd0
	s_add_u32 s22, s4, 0xd8
	s_load_dwordx2 s[6:7], s[4:5], 0x1c8
	s_load_dwordx4 s[8:11], s[4:5], 0x1b8
	s_load_dword s24, s[4:5], 0x1a8
	s_load_dwordx2 s[12:13], s[4:5], 0xd8
	s_load_dword s56, s[4:5], 0x6c
	s_addc_u32 s23, s5, 0
	s_waitcnt lgkmcnt(0)
	s_mul_i32 s21, s0, s2
	s_cmp_gt_i32 s20, 1
	s_cselect_b64 s[0:1], -1, 0
	s_cmp_gt_i32 s24, 1
	s_mov_b32 s58, 0xcd9e8d57
	s_cselect_b64 s[2:3], -1, 0
	s_bitcmp1_b32 s16, 0
	v_mad_u64_u32 v[0:1], s[18:19], v5, s58, 0
	s_cselect_b64 s[16:17], -1, 0
	s_add_i32 s18, s20, -1
	s_mov_b32 s19, 0
	s_lshl_b32 s59, s21, 2
	s_add_i32 s60, s20, 1
	s_lshl_b64 s[20:21], s[18:19], 2
	s_load_dword s57, s[4:5], 0x144
	s_load_dwordx2 s[14:15], s[4:5], 0x0
	s_add_u32 s4, s20, s4
	s_addc_u32 s5, s21, s5
	s_add_u32 s20, s4, 8
	s_addc_u32 s21, s5, 0
	s_add_i32 s18, s24, -1
	s_add_i32 s61, s24, 1
	s_lshl_b64 s[4:5], s[18:19], 2
	s_add_u32 s4, s4, s22
	s_addc_u32 s5, s5, s23
	s_add_u32 s22, s4, 8
	v_cndmask_b32_e64 v2, 0, 1, s[0:1]
	v_mov_b32_e32 v3, 0
	v_mov_b32_e32 v4, v1
	s_addc_u32 s23, s5, 0
	s_mov_b64 s[24:25], 0
	v_cndmask_b32_e64 v1, 0, 1, s[2:3]
	s_mov_b32 s62, 0xd2511f53
	v_cmp_ne_u32_e64 s[0:1], 1, v2
	s_mov_b32 s63, 0xf1bbcdc8
	v_mov_b32_e32 v31, 0x3c00
                                        ; implicit-def: $sgpr26_sgpr27
                                        ; implicit-def: $sgpr28_sgpr29
                                        ; implicit-def: $sgpr30_sgpr31
                                        ; implicit-def: $sgpr18_sgpr19
                                        ; implicit-def: $sgpr34_sgpr35
                                        ; implicit-def: $sgpr36_sgpr37
                                        ; implicit-def: $sgpr38_sgpr39
                                        ; implicit-def: $sgpr40_sgpr41
	s_branch .LBB96_3
.LBB96_2:                               ;   in Loop: Header=BB96_3 Depth=1
	s_or_b64 exec, exec, s[4:5]
	s_and_b64 s[2:3], exec, s[2:3]
	s_or_b64 s[24:25], s[2:3], s[24:25]
	s_andn2_b64 s[2:3], s[18:19], exec
	s_and_b64 s[4:5], s[40:41], exec
	s_or_b64 s[18:19], s[2:3], s[4:5]
	s_andn2_b64 s[2:3], s[30:31], exec
	s_and_b64 s[4:5], s[38:39], exec
	;; [unrolled: 3-line block ×4, first 2 shown]
	s_or_b64 s[26:27], s[2:3], s[4:5]
	s_andn2_b64 exec, exec, s[24:25]
	s_cbranch_execz .LBB96_81
.LBB96_3:                               ; =>This Loop Header: Depth=1
                                        ;     Child Loop BB96_6 Depth 2
                                        ;     Child Loop BB96_11 Depth 2
	;; [unrolled: 1-line block ×8, first 2 shown]
	v_sub_u32_e32 v32, s33, v30
	v_cmp_lt_i32_e64 s[4:5], 0, v32
	v_mov_b32_e32 v6, 0
	s_and_saveexec_b64 s[2:3], s[4:5]
	s_cbranch_execz .LBB96_8
; %bb.4:                                ;   in Loop: Header=BB96_3 Depth=1
	s_and_b64 vcc, exec, s[0:1]
	v_mov_b32_e32 v6, 0
	s_waitcnt vmcnt(3)
	v_mov_b32_e32 v2, v30
	s_cbranch_vccnz .LBB96_7
; %bb.5:                                ;   in Loop: Header=BB96_3 Depth=1
	v_mov_b32_e32 v6, 0
	s_mov_b64 s[42:43], s[20:21]
	s_mov_b32 s44, s60
	v_mov_b32_e32 v2, v30
.LBB96_6:                               ;   Parent Loop BB96_3 Depth=1
                                        ; =>  This Inner Loop Header: Depth=2
	s_load_dword s45, s[42:43], 0x0
	s_load_dword s46, s[42:43], 0x64
	s_waitcnt vmcnt(2)
	v_mov_b32_e32 v7, v2
	s_add_i32 s44, s44, -1
	s_waitcnt lgkmcnt(0)
	v_cvt_f32_u32_e32 v2, s45
	s_sub_i32 s47, 0, s45
	s_add_u32 s42, s42, -4
	s_addc_u32 s43, s43, -1
	v_rcp_iflag_f32_e32 v2, v2
	s_cmp_gt_u32 s44, 2
	v_mul_f32_e32 v2, 0x4f7ffffe, v2
	v_cvt_u32_f32_e32 v2, v2
	v_mul_lo_u32 v8, s47, v2
	v_mul_hi_u32 v8, v2, v8
	v_add_u32_e32 v2, v2, v8
	v_mul_hi_u32 v2, v7, v2
	v_mul_lo_u32 v8, v2, s45
	v_sub_u32_e32 v8, v7, v8
	s_waitcnt vmcnt(1)
	v_add_u32_e32 v9, 1, v2
	v_cmp_le_u32_e32 vcc, s45, v8
	v_cndmask_b32_e32 v2, v2, v9, vcc
	v_subrev_u32_e32 v9, s45, v8
	v_cndmask_b32_e32 v8, v8, v9, vcc
	v_add_u32_e32 v9, 1, v2
	v_cmp_le_u32_e32 vcc, s45, v8
	v_cndmask_b32_e32 v2, v2, v9, vcc
	v_mul_lo_u32 v8, v2, s45
	v_sub_u32_e32 v7, v7, v8
	v_mad_u64_u32 v[6:7], s[46:47], s46, v7, v[6:7]
	s_cbranch_scc1 .LBB96_6
.LBB96_7:                               ;   in Loop: Header=BB96_3 Depth=1
	s_waitcnt vmcnt(2)
	v_mad_u64_u32 v[6:7], s[42:43], s56, v2, v[6:7]
.LBB96_8:                               ;   in Loop: Header=BB96_3 Depth=1
	s_or_b64 exec, exec, s[2:3]
	s_waitcnt vmcnt(3)
	v_mov_b32_e32 v2, 0
	v_cmp_ne_u32_e64 s[2:3], 1, v1
	s_and_saveexec_b64 s[42:43], s[4:5]
	s_cbranch_execz .LBB96_13
; %bb.9:                                ;   in Loop: Header=BB96_3 Depth=1
	s_and_b64 vcc, exec, s[2:3]
	v_mov_b32_e32 v8, 0
	v_mov_b32_e32 v2, v30
	s_cbranch_vccnz .LBB96_12
; %bb.10:                               ;   in Loop: Header=BB96_3 Depth=1
	v_mov_b32_e32 v8, 0
	s_mov_b64 s[4:5], s[22:23]
	s_mov_b32 s44, s61
	v_mov_b32_e32 v2, v30
.LBB96_11:                              ;   Parent Loop BB96_3 Depth=1
                                        ; =>  This Inner Loop Header: Depth=2
	s_load_dword s45, s[4:5], 0x0
	s_load_dword s46, s[4:5], 0x64
	s_waitcnt vmcnt(2)
	v_mov_b32_e32 v7, v2
	s_add_i32 s44, s44, -1
	s_waitcnt lgkmcnt(0)
	v_cvt_f32_u32_e32 v2, s45
	s_sub_i32 s47, 0, s45
	s_add_u32 s4, s4, -4
	s_addc_u32 s5, s5, -1
	v_rcp_iflag_f32_e32 v2, v2
	s_cmp_gt_u32 s44, 2
	v_mul_f32_e32 v2, 0x4f7ffffe, v2
	v_cvt_u32_f32_e32 v2, v2
	s_waitcnt vmcnt(1)
	v_mul_lo_u32 v9, s47, v2
	v_mul_hi_u32 v9, v2, v9
	v_add_u32_e32 v2, v2, v9
	v_mul_hi_u32 v2, v7, v2
	v_mul_lo_u32 v9, v2, s45
	v_sub_u32_e32 v9, v7, v9
	v_add_u32_e32 v10, 1, v2
	v_cmp_le_u32_e32 vcc, s45, v9
	v_cndmask_b32_e32 v2, v2, v10, vcc
	v_subrev_u32_e32 v10, s45, v9
	v_cndmask_b32_e32 v9, v9, v10, vcc
	v_add_u32_e32 v10, 1, v2
	v_cmp_le_u32_e32 vcc, s45, v9
	v_cndmask_b32_e32 v2, v2, v10, vcc
	v_mul_lo_u32 v9, v2, s45
	v_sub_u32_e32 v7, v7, v9
	v_mad_u64_u32 v[8:9], s[46:47], s46, v7, v[8:9]
	s_cbranch_scc1 .LBB96_11
.LBB96_12:                              ;   in Loop: Header=BB96_3 Depth=1
	s_waitcnt vmcnt(1) lgkmcnt(0)
	v_mad_u64_u32 v[8:9], s[4:5], s57, v2, v[8:9]
	v_mov_b32_e32 v2, v8
.LBB96_13:                              ;   in Loop: Header=BB96_3 Depth=1
	s_or_b64 exec, exec, s[42:43]
	s_waitcnt vmcnt(2)
	v_or_b32_e32 v7, 1, v30
	v_cmp_lt_i32_e64 s[4:5], 1, v32
	v_mov_b32_e32 v8, 0
	s_and_saveexec_b64 s[42:43], s[4:5]
	s_cbranch_execz .LBB96_18
; %bb.14:                               ;   in Loop: Header=BB96_3 Depth=1
	s_and_b64 vcc, exec, s[0:1]
	v_mov_b32_e32 v8, 0
	v_mov_b32_e32 v10, v7
	s_cbranch_vccnz .LBB96_17
; %bb.15:                               ;   in Loop: Header=BB96_3 Depth=1
	v_mov_b32_e32 v8, 0
	s_mov_b64 s[44:45], s[20:21]
	s_mov_b32 s46, s60
	v_mov_b32_e32 v10, v7
.LBB96_16:                              ;   Parent Loop BB96_3 Depth=1
                                        ; =>  This Inner Loop Header: Depth=2
	s_load_dword s47, s[44:45], 0x0
	s_load_dword s48, s[44:45], 0x64
	s_waitcnt vmcnt(1)
	v_mov_b32_e32 v9, v10
	s_add_i32 s46, s46, -1
	s_waitcnt lgkmcnt(0)
	v_cvt_f32_u32_e32 v10, s47
	s_sub_i32 s49, 0, s47
	s_add_u32 s44, s44, -4
	s_addc_u32 s45, s45, -1
	v_rcp_iflag_f32_e32 v10, v10
	s_cmp_gt_u32 s46, 2
	v_mul_f32_e32 v10, 0x4f7ffffe, v10
	v_cvt_u32_f32_e32 v10, v10
	s_waitcnt vmcnt(0)
	v_mul_lo_u32 v11, s49, v10
	v_mul_hi_u32 v11, v10, v11
	v_add_u32_e32 v10, v10, v11
	v_mul_hi_u32 v10, v9, v10
	v_mul_lo_u32 v11, v10, s47
	v_sub_u32_e32 v11, v9, v11
	v_add_u32_e32 v12, 1, v10
	v_cmp_le_u32_e32 vcc, s47, v11
	v_cndmask_b32_e32 v10, v10, v12, vcc
	v_subrev_u32_e32 v12, s47, v11
	v_cndmask_b32_e32 v11, v11, v12, vcc
	v_add_u32_e32 v12, 1, v10
	v_cmp_le_u32_e32 vcc, s47, v11
	v_cndmask_b32_e32 v10, v10, v12, vcc
	v_mul_lo_u32 v11, v10, s47
	v_sub_u32_e32 v9, v9, v11
	v_mad_u64_u32 v[8:9], s[48:49], s48, v9, v[8:9]
	s_cbranch_scc1 .LBB96_16
.LBB96_17:                              ;   in Loop: Header=BB96_3 Depth=1
	s_waitcnt vmcnt(1)
	v_mad_u64_u32 v[8:9], s[44:45], s56, v10, v[8:9]
.LBB96_18:                              ;   in Loop: Header=BB96_3 Depth=1
	s_or_b64 exec, exec, s[42:43]
	v_mov_b32_e32 v12, 0
	s_and_saveexec_b64 s[42:43], s[4:5]
	s_cbranch_execz .LBB96_23
; %bb.19:                               ;   in Loop: Header=BB96_3 Depth=1
	s_and_b64 vcc, exec, s[2:3]
	v_mov_b32_e32 v10, 0
	s_cbranch_vccnz .LBB96_22
; %bb.20:                               ;   in Loop: Header=BB96_3 Depth=1
	v_mov_b32_e32 v10, 0
	s_mov_b64 s[4:5], s[22:23]
	s_mov_b32 s44, s61
.LBB96_21:                              ;   Parent Loop BB96_3 Depth=1
                                        ; =>  This Inner Loop Header: Depth=2
	s_load_dword s45, s[4:5], 0x0
	s_load_dword s46, s[4:5], 0x64
	s_waitcnt vmcnt(1)
	v_mov_b32_e32 v9, v7
	s_add_i32 s44, s44, -1
	s_waitcnt lgkmcnt(0)
	v_cvt_f32_u32_e32 v7, s45
	s_sub_i32 s47, 0, s45
	s_add_u32 s4, s4, -4
	s_addc_u32 s5, s5, -1
	v_rcp_iflag_f32_e32 v7, v7
	s_cmp_gt_u32 s44, 2
	v_mul_f32_e32 v7, 0x4f7ffffe, v7
	v_cvt_u32_f32_e32 v7, v7
	s_waitcnt vmcnt(0)
	v_mul_lo_u32 v11, s47, v7
	v_mul_hi_u32 v11, v7, v11
	v_add_u32_e32 v7, v7, v11
	v_mul_hi_u32 v7, v9, v7
	v_mul_lo_u32 v11, v7, s45
	v_sub_u32_e32 v11, v9, v11
	v_add_u32_e32 v12, 1, v7
	v_cmp_le_u32_e32 vcc, s45, v11
	v_cndmask_b32_e32 v7, v7, v12, vcc
	v_subrev_u32_e32 v12, s45, v11
	v_cndmask_b32_e32 v11, v11, v12, vcc
	v_add_u32_e32 v12, 1, v7
	v_cmp_le_u32_e32 vcc, s45, v11
	v_cndmask_b32_e32 v7, v7, v12, vcc
	v_mul_lo_u32 v11, v7, s45
	v_sub_u32_e32 v9, v9, v11
	v_mad_u64_u32 v[10:11], s[46:47], s46, v9, v[10:11]
	s_cbranch_scc1 .LBB96_21
.LBB96_22:                              ;   in Loop: Header=BB96_3 Depth=1
	s_waitcnt vmcnt(0) lgkmcnt(0)
	v_mad_u64_u32 v[12:13], s[4:5], s57, v7, v[10:11]
.LBB96_23:                              ;   in Loop: Header=BB96_3 Depth=1
	s_or_b64 exec, exec, s[42:43]
	v_or_b32_e32 v7, 2, v30
	v_cmp_lt_i32_e64 s[4:5], 2, v32
	v_mov_b32_e32 v10, 0
	s_and_saveexec_b64 s[42:43], s[4:5]
	s_cbranch_execz .LBB96_28
; %bb.24:                               ;   in Loop: Header=BB96_3 Depth=1
	s_and_b64 vcc, exec, s[0:1]
	v_mov_b32_e32 v10, 0
	s_waitcnt vmcnt(1)
	v_mov_b32_e32 v9, v7
	s_cbranch_vccnz .LBB96_27
; %bb.25:                               ;   in Loop: Header=BB96_3 Depth=1
	v_mov_b32_e32 v10, 0
	s_mov_b64 s[44:45], s[20:21]
	s_mov_b32 s46, s60
	v_mov_b32_e32 v9, v7
.LBB96_26:                              ;   Parent Loop BB96_3 Depth=1
                                        ; =>  This Inner Loop Header: Depth=2
	s_load_dword s47, s[44:45], 0x0
	s_load_dword s48, s[44:45], 0x64
	s_waitcnt vmcnt(0)
	v_mov_b32_e32 v11, v9
	s_add_i32 s46, s46, -1
	s_waitcnt lgkmcnt(0)
	v_cvt_f32_u32_e32 v9, s47
	s_sub_i32 s49, 0, s47
	s_add_u32 s44, s44, -4
	s_addc_u32 s45, s45, -1
	v_rcp_iflag_f32_e32 v9, v9
	s_cmp_gt_u32 s46, 2
	v_mul_f32_e32 v9, 0x4f7ffffe, v9
	v_cvt_u32_f32_e32 v9, v9
	v_mul_lo_u32 v13, s49, v9
	v_mul_hi_u32 v13, v9, v13
	v_add_u32_e32 v9, v9, v13
	v_mul_hi_u32 v9, v11, v9
	v_mul_lo_u32 v13, v9, s47
	v_sub_u32_e32 v13, v11, v13
	v_add_u32_e32 v14, 1, v9
	v_cmp_le_u32_e32 vcc, s47, v13
	v_cndmask_b32_e32 v9, v9, v14, vcc
	v_subrev_u32_e32 v14, s47, v13
	v_cndmask_b32_e32 v13, v13, v14, vcc
	v_add_u32_e32 v14, 1, v9
	v_cmp_le_u32_e32 vcc, s47, v13
	v_cndmask_b32_e32 v9, v9, v14, vcc
	v_mul_lo_u32 v13, v9, s47
	v_sub_u32_e32 v11, v11, v13
	v_mad_u64_u32 v[10:11], s[48:49], s48, v11, v[10:11]
	s_cbranch_scc1 .LBB96_26
.LBB96_27:                              ;   in Loop: Header=BB96_3 Depth=1
	s_waitcnt vmcnt(0)
	v_mad_u64_u32 v[10:11], s[44:45], s56, v9, v[10:11]
.LBB96_28:                              ;   in Loop: Header=BB96_3 Depth=1
	s_or_b64 exec, exec, s[42:43]
	v_pk_mov_b32 v[16:17], 0, 0
	s_and_saveexec_b64 s[42:43], s[4:5]
	s_cbranch_execz .LBB96_33
; %bb.29:                               ;   in Loop: Header=BB96_3 Depth=1
	s_and_b64 vcc, exec, s[2:3]
	v_mov_b32_e32 v14, 0
	s_cbranch_vccnz .LBB96_32
; %bb.30:                               ;   in Loop: Header=BB96_3 Depth=1
	v_mov_b32_e32 v14, 0
	s_mov_b64 s[4:5], s[22:23]
	s_mov_b32 s44, s61
.LBB96_31:                              ;   Parent Loop BB96_3 Depth=1
                                        ; =>  This Inner Loop Header: Depth=2
	s_load_dword s45, s[4:5], 0x0
	s_load_dword s46, s[4:5], 0x64
	s_waitcnt vmcnt(1)
	v_mov_b32_e32 v9, v7
	s_add_i32 s44, s44, -1
	s_waitcnt lgkmcnt(0)
	v_cvt_f32_u32_e32 v7, s45
	s_sub_i32 s47, 0, s45
	s_add_u32 s4, s4, -4
	s_addc_u32 s5, s5, -1
	v_rcp_iflag_f32_e32 v7, v7
	s_cmp_gt_u32 s44, 2
	v_mul_f32_e32 v7, 0x4f7ffffe, v7
	v_cvt_u32_f32_e32 v7, v7
	s_waitcnt vmcnt(0)
	v_mul_lo_u32 v11, s47, v7
	v_mul_hi_u32 v11, v7, v11
	v_add_u32_e32 v7, v7, v11
	v_mul_hi_u32 v7, v9, v7
	v_mul_lo_u32 v11, v7, s45
	v_sub_u32_e32 v11, v9, v11
	v_add_u32_e32 v13, 1, v7
	v_cmp_le_u32_e32 vcc, s45, v11
	v_cndmask_b32_e32 v7, v7, v13, vcc
	v_subrev_u32_e32 v13, s45, v11
	v_cndmask_b32_e32 v11, v11, v13, vcc
	v_add_u32_e32 v13, 1, v7
	v_cmp_le_u32_e32 vcc, s45, v11
	v_cndmask_b32_e32 v7, v7, v13, vcc
	v_mul_lo_u32 v11, v7, s45
	v_sub_u32_e32 v9, v9, v11
	v_mad_u64_u32 v[14:15], s[46:47], s46, v9, v[14:15]
	s_cbranch_scc1 .LBB96_31
.LBB96_32:                              ;   in Loop: Header=BB96_3 Depth=1
	s_waitcnt lgkmcnt(0)
	v_mad_u64_u32 v[16:17], s[4:5], s57, v7, v[14:15]
	v_mov_b32_e32 v17, v3
.LBB96_33:                              ;   in Loop: Header=BB96_3 Depth=1
	s_or_b64 exec, exec, s[42:43]
	v_or_b32_e32 v7, 3, v30
	v_cmp_lt_i32_e64 s[4:5], 3, v32
	v_pk_mov_b32 v[14:15], 0, 0
	s_and_saveexec_b64 s[42:43], s[4:5]
	s_cbranch_execz .LBB96_38
; %bb.34:                               ;   in Loop: Header=BB96_3 Depth=1
	s_and_b64 vcc, exec, s[0:1]
	v_mov_b32_e32 v14, 0
	s_waitcnt vmcnt(1)
	v_mov_b32_e32 v9, v7
	s_cbranch_vccnz .LBB96_37
; %bb.35:                               ;   in Loop: Header=BB96_3 Depth=1
	v_mov_b32_e32 v14, 0
	s_mov_b64 s[44:45], s[20:21]
	s_mov_b32 s46, s60
	v_mov_b32_e32 v9, v7
.LBB96_36:                              ;   Parent Loop BB96_3 Depth=1
                                        ; =>  This Inner Loop Header: Depth=2
	s_load_dword s47, s[44:45], 0x0
	s_load_dword s48, s[44:45], 0x64
	s_waitcnt vmcnt(0)
	v_mov_b32_e32 v11, v9
	s_add_i32 s46, s46, -1
	s_waitcnt lgkmcnt(0)
	v_cvt_f32_u32_e32 v9, s47
	s_sub_i32 s49, 0, s47
	s_add_u32 s44, s44, -4
	s_addc_u32 s45, s45, -1
	v_rcp_iflag_f32_e32 v9, v9
	s_cmp_gt_u32 s46, 2
	v_mul_f32_e32 v9, 0x4f7ffffe, v9
	v_cvt_u32_f32_e32 v9, v9
	v_mul_lo_u32 v13, s49, v9
	v_mul_hi_u32 v13, v9, v13
	v_add_u32_e32 v9, v9, v13
	v_mul_hi_u32 v9, v11, v9
	v_mul_lo_u32 v13, v9, s47
	v_sub_u32_e32 v13, v11, v13
	v_add_u32_e32 v15, 1, v9
	v_cmp_le_u32_e32 vcc, s47, v13
	v_cndmask_b32_e32 v9, v9, v15, vcc
	v_subrev_u32_e32 v15, s47, v13
	v_cndmask_b32_e32 v13, v13, v15, vcc
	v_add_u32_e32 v15, 1, v9
	v_cmp_le_u32_e32 vcc, s47, v13
	v_cndmask_b32_e32 v9, v9, v15, vcc
	v_mul_lo_u32 v13, v9, s47
	v_sub_u32_e32 v11, v11, v13
	v_mad_u64_u32 v[14:15], s[48:49], s48, v11, v[14:15]
	s_cbranch_scc1 .LBB96_36
.LBB96_37:                              ;   in Loop: Header=BB96_3 Depth=1
	v_mad_u64_u32 v[14:15], s[44:45], s56, v9, v[14:15]
	v_mov_b32_e32 v15, v3
.LBB96_38:                              ;   in Loop: Header=BB96_3 Depth=1
	s_or_b64 exec, exec, s[42:43]
	v_pk_mov_b32 v[18:19], 0, 0
	s_and_saveexec_b64 s[42:43], s[4:5]
	s_cbranch_execz .LBB96_43
; %bb.39:                               ;   in Loop: Header=BB96_3 Depth=1
	s_and_b64 vcc, exec, s[2:3]
	v_mov_b32_e32 v18, 0
	s_cbranch_vccnz .LBB96_42
; %bb.40:                               ;   in Loop: Header=BB96_3 Depth=1
	v_mov_b32_e32 v18, 0
	s_mov_b64 s[2:3], s[22:23]
	s_mov_b32 s4, s61
.LBB96_41:                              ;   Parent Loop BB96_3 Depth=1
                                        ; =>  This Inner Loop Header: Depth=2
	s_load_dword s5, s[2:3], 0x0
	s_load_dword s44, s[2:3], 0x64
	s_waitcnt vmcnt(1)
	v_mov_b32_e32 v9, v7
	s_add_i32 s4, s4, -1
	s_waitcnt lgkmcnt(0)
	v_cvt_f32_u32_e32 v7, s5
	s_sub_i32 s45, 0, s5
	s_add_u32 s2, s2, -4
	s_addc_u32 s3, s3, -1
	v_rcp_iflag_f32_e32 v7, v7
	s_cmp_gt_u32 s4, 2
	v_mul_f32_e32 v7, 0x4f7ffffe, v7
	v_cvt_u32_f32_e32 v7, v7
	s_waitcnt vmcnt(0)
	v_mul_lo_u32 v11, s45, v7
	v_mul_hi_u32 v11, v7, v11
	v_add_u32_e32 v7, v7, v11
	v_mul_hi_u32 v7, v9, v7
	v_mul_lo_u32 v11, v7, s5
	v_sub_u32_e32 v11, v9, v11
	v_add_u32_e32 v13, 1, v7
	v_cmp_le_u32_e32 vcc, s5, v11
	v_cndmask_b32_e32 v7, v7, v13, vcc
	v_subrev_u32_e32 v13, s5, v11
	v_cndmask_b32_e32 v11, v11, v13, vcc
	v_add_u32_e32 v13, 1, v7
	v_cmp_le_u32_e32 vcc, s5, v11
	v_cndmask_b32_e32 v7, v7, v13, vcc
	v_mul_lo_u32 v11, v7, s5
	v_sub_u32_e32 v9, v9, v11
	v_mad_u64_u32 v[18:19], s[44:45], s44, v9, v[18:19]
	s_cbranch_scc1 .LBB96_41
.LBB96_42:                              ;   in Loop: Header=BB96_3 Depth=1
	s_waitcnt lgkmcnt(0)
	v_mad_u64_u32 v[18:19], s[2:3], s57, v7, v[18:19]
	v_mov_b32_e32 v19, v3
.LBB96_43:                              ;   in Loop: Header=BB96_3 Depth=1
	s_or_b64 exec, exec, s[42:43]
	v_lshlrev_b64 v[20:21], 2, v[2:3]
	v_mov_b32_e32 v2, s13
	v_add_co_u32_e32 v20, vcc, s12, v20
	v_mov_b32_e32 v13, v3
	v_addc_co_u32_e32 v21, vcc, v2, v21, vcc
	v_lshlrev_b64 v[12:13], 2, v[12:13]
	v_add_co_u32_e32 v12, vcc, s12, v12
	v_addc_co_u32_e32 v13, vcc, v2, v13, vcc
	v_lshlrev_b64 v[16:17], 2, v[16:17]
	v_add_co_u32_e32 v16, vcc, s12, v16
	v_addc_co_u32_e32 v17, vcc, v2, v17, vcc
	v_lshlrev_b64 v[18:19], 2, v[18:19]
	v_add_co_u32_e32 v18, vcc, s12, v18
	v_addc_co_u32_e32 v19, vcc, v2, v19, vcc
	global_load_dword v2, v[20:21], off
	global_load_dword v7, v[12:13], off
	;; [unrolled: 1-line block ×4, first 2 shown]
	s_andn2_b64 vcc, exec, s[16:17]
	v_pk_mov_b32 v[12:13], s[10:11], s[10:11] op_sel:[0,1]
	v_pk_mov_b32 v[16:17], s[8:9], s[8:9] op_sel:[0,1]
	s_cbranch_vccnz .LBB96_45
; %bb.44:                               ;   in Loop: Header=BB96_3 Depth=1
	v_pk_mov_b32 v[12:13], s[10:11], s[10:11] op_sel:[0,1]
	flat_load_dwordx2 v[12:13], v[12:13]
	v_pk_mov_b32 v[16:17], s[8:9], s[8:9] op_sel:[0,1]
	flat_load_dwordx2 v[16:17], v[16:17]
	v_mov_b32_e32 v18, s7
	s_waitcnt vmcnt(0) lgkmcnt(0)
	v_add_co_u32_e32 v12, vcc, s6, v12
	v_addc_co_u32_e32 v13, vcc, v13, v18, vcc
.LBB96_45:                              ;   in Loop: Header=BB96_3 Depth=1
	v_alignbit_b32 v26, v13, v12, 2
	v_lshrrev_b32_e32 v27, 2, v13
	v_xor_b32_e32 v18, v4, v16
	v_and_b32_e32 v33, 3, v12
	v_mad_u64_u32 v[12:13], s[2:3], v26, s62, 0
	v_xor_b32_e32 v18, v18, v27
	v_xor_b32_e32 v13, v13, v17
	v_add_u32_e32 v38, 0xbb67ae85, v17
	v_mad_u64_u32 v[18:19], s[2:3], v18, s62, 0
	v_mad_u64_u32 v[20:21], s[2:3], v13, s58, 0
	v_xor_b32_e32 v19, v38, v19
	v_add_u32_e32 v37, 0x9e3779b9, v16
	v_xor_b32_e32 v13, v0, v21
	v_xor_b32_e32 v19, v19, v12
	v_xor_b32_e32 v13, v13, v37
	v_add_u32_e32 v39, 0x3c6ef372, v16
	v_mad_u64_u32 v[22:23], s[2:3], v19, s58, 0
	v_add_u32_e32 v40, 0x76cf5d0a, v17
	v_mad_u64_u32 v[12:13], s[2:3], v13, s62, 0
	v_xor_b32_e32 v19, v39, v23
	v_xor_b32_e32 v19, v19, v20
	v_xor_b32_e32 v13, v40, v13
	v_xor_b32_e32 v13, v13, v18
	v_add_u32_e32 v42, 0x32370b8f, v17
	v_mad_u64_u32 v[18:19], s[2:3], v19, s62, 0
	v_add_u32_e32 v41, 0xdaa66d2b, v16
	v_mad_u64_u32 v[20:21], s[2:3], v13, s58, 0
	v_xor_b32_e32 v19, v42, v19
	;; [unrolled: 8-line block ×5, first 2 shown]
	v_xor_b32_e32 v19, v19, v20
	v_xor_b32_e32 v13, v48, v13
	;; [unrolled: 1-line block ×3, first 2 shown]
	v_add_u32_e32 v50, 0x1fd5c5a3, v17
	v_mad_u64_u32 v[18:19], s[2:3], v19, s62, 0
	v_xor_b32_e32 v19, v50, v19
	v_xor_b32_e32 v12, v19, v12
	v_add_u32_e32 v49, 0x5384540f, v16
	v_mad_u64_u32 v[24:25], s[2:3], v13, s58, 0
	v_add_co_u32_e32 v35, vcc, s63, v16
	v_mad_u64_u32 v[20:21], s[2:3], v12, s58, 0
	v_xor_b32_e32 v13, v49, v25
	v_xor_b32_e32 v12, v35, v21
	;; [unrolled: 1-line block ×4, first 2 shown]
	v_mad_u64_u32 v[22:23], s[2:3], v13, s62, 0
	v_mad_u64_u32 v[12:13], s[2:3], v12, s62, 0
	v_add_u32_e32 v36, 0x96a522ad, v17
	v_xor_b32_e32 v13, v13, v22
	v_xor_b32_e32 v34, v36, v13
	v_add_co_u32_e32 v13, vcc, 1, v26
	v_cndmask_b32_e64 v22, 0, 1, vcc
	v_addc_co_u32_e32 v28, vcc, 0, v27, vcc
	v_cmp_eq_u32_e32 vcc, 0, v28
	v_cndmask_b32_e32 v22, 0, v22, vcc
	v_add_u32_e32 v26, v22, v5
	v_cmp_eq_u32_e32 vcc, 0, v26
	v_mad_u64_u32 v[24:25], s[2:3], v13, s62, 0
	v_mad_u64_u32 v[26:27], s[2:3], v26, s58, 0
	v_add_u32_e32 v21, 0x8ff34781, v16
	v_cndmask_b32_e32 v22, 0, v22, vcc
	v_xor_b32_e32 v13, v27, v16
	v_xor_b32_e32 v16, v25, v17
	;; [unrolled: 1-line block ×4, first 2 shown]
	v_mad_u64_u32 v[28:29], s[2:3], v22, s58, 0
	v_add_u32_e32 v19, 0xdb3d7428, v17
	v_mad_u64_u32 v[16:17], s[2:3], v13, s62, 0
	v_xor_b32_e32 v13, v37, v29
	v_xor_b32_e32 v13, v13, v26
	v_xor_b32_e32 v17, v38, v17
	v_xor_b32_e32 v17, v17, v24
	v_mad_u64_u32 v[24:25], s[2:3], v13, s62, 0
	v_mad_u64_u32 v[26:27], s[2:3], v17, s58, 0
	v_xor_b32_e32 v17, v40, v25
	v_xor_b32_e32 v13, v39, v27
	v_xor_b32_e32 v22, v17, v16
	v_xor_b32_e32 v13, v13, v28
	v_mad_u64_u32 v[28:29], s[2:3], v22, s58, 0
	;; [unrolled: 6-line block ×7, first 2 shown]
	v_xor_b32_e32 v13, v19, v27
	v_xor_b32_e32 v13, v13, v16
	v_mad_u64_u32 v[28:29], s[2:3], v17, s58, 0
	v_mad_u64_u32 v[16:17], s[2:3], v13, s58, 0
	v_xor_b32_e32 v13, v17, v28
	v_xor_b32_e32 v13, v21, v13
	v_cmp_lt_i32_e32 vcc, 1, v33
                                        ; implicit-def: $vgpr25
	s_and_saveexec_b64 s[2:3], vcc
	s_xor_b64 s[2:3], exec, s[2:3]
	s_cbranch_execz .LBB96_51
; %bb.46:                               ;   in Loop: Header=BB96_3 Depth=1
	v_cmp_lt_i32_e32 vcc, 2, v33
                                        ; implicit-def: $vgpr25
	s_and_saveexec_b64 s[4:5], vcc
	s_xor_b64 s[4:5], exec, s[4:5]
; %bb.47:                               ;   in Loop: Header=BB96_3 Depth=1
	v_xor_b32_e32 v17, v35, v29
	v_xor_b32_e32 v17, v17, v24
	v_mul_hi_u32 v17, v17, s62
	v_xor_b32_e32 v17, v17, v26
	v_xor_b32_e32 v25, v36, v17
                                        ; implicit-def: $vgpr34
; %bb.48:                               ;   in Loop: Header=BB96_3 Depth=1
	s_andn2_saveexec_b64 s[4:5], s[4:5]
; %bb.49:                               ;   in Loop: Header=BB96_3 Depth=1
	v_mov_b32_e32 v25, v16
	v_mov_b32_e32 v16, v13
	;; [unrolled: 1-line block ×4, first 2 shown]
; %bb.50:                               ;   in Loop: Header=BB96_3 Depth=1
	s_or_b64 exec, exec, s[4:5]
                                        ; implicit-def: $vgpr18_vgpr19
                                        ; implicit-def: $vgpr20_vgpr21
                                        ; implicit-def: $vgpr33
                                        ; implicit-def: $vgpr34
                                        ; implicit-def: $vgpr22_vgpr23
                                        ; implicit-def: $vgpr19
                                        ; implicit-def: $vgpr21
.LBB96_51:                              ;   in Loop: Header=BB96_3 Depth=1
	s_andn2_saveexec_b64 s[2:3], s[2:3]
	s_cbranch_execz .LBB96_55
; %bb.52:                               ;   in Loop: Header=BB96_3 Depth=1
	v_xor_b32_e32 v16, v19, v23
	v_xor_b32_e32 v16, v16, v18
	v_mad_u64_u32 v[18:19], s[4:5], v16, s58, 0
	v_xor_b32_e32 v16, v19, v20
	v_xor_b32_e32 v17, v21, v16
	v_cmp_eq_u32_e32 vcc, 1, v33
	v_mov_b32_e32 v25, v12
	v_mov_b32_e32 v16, v34
	;; [unrolled: 1-line block ×3, first 2 shown]
	s_and_saveexec_b64 s[4:5], vcc
; %bb.53:                               ;   in Loop: Header=BB96_3 Depth=1
	v_mov_b32_e32 v25, v13
	v_mov_b32_e32 v16, v12
	;; [unrolled: 1-line block ×4, first 2 shown]
; %bb.54:                               ;   in Loop: Header=BB96_3 Depth=1
	s_or_b64 exec, exec, s[4:5]
	v_mov_b32_e32 v12, v17
	v_mov_b32_e32 v13, v19
.LBB96_55:                              ;   in Loop: Header=BB96_3 Depth=1
	s_or_b64 exec, exec, s[2:3]
	v_min_i32_e32 v17, 4, v32
	v_cmp_lt_i32_e32 vcc, 2, v17
	s_mov_b64 s[4:5], 0
	s_mov_b64 s[52:53], 0
	;; [unrolled: 1-line block ×3, first 2 shown]
                                        ; implicit-def: $sgpr44_sgpr45
                                        ; implicit-def: $sgpr46_sgpr47
                                        ; implicit-def: $sgpr48_sgpr49
	s_and_saveexec_b64 s[2:3], vcc
	s_xor_b64 s[50:51], exec, s[2:3]
	s_cbranch_execz .LBB96_67
; %bb.56:                               ;   in Loop: Header=BB96_3 Depth=1
	v_cmp_lt_i32_e32 vcc, 3, v17
	s_mov_b64 s[2:3], -1
	s_mov_b64 s[54:55], 0
                                        ; implicit-def: $sgpr42_sgpr43
                                        ; implicit-def: $sgpr44_sgpr45
	s_and_saveexec_b64 s[46:47], vcc
	s_cbranch_execz .LBB96_62
; %bb.57:                               ;   in Loop: Header=BB96_3 Depth=1
	v_cmp_eq_u32_e32 vcc, 4, v17
	s_mov_b64 s[2:3], 0
	s_mov_b64 s[54:55], -1
                                        ; implicit-def: $sgpr42_sgpr43
                                        ; implicit-def: $sgpr44_sgpr45
	s_and_saveexec_b64 s[48:49], vcc
	s_cbranch_execz .LBB96_61
; %bb.58:                               ;   in Loop: Header=BB96_3 Depth=1
	s_waitcnt vmcnt(0)
	v_cmp_le_f32_e32 vcc, 0, v11
	v_cmp_ge_f32_e64 s[2:3], 1.0, v11
	s_and_b64 s[54:55], vcc, s[2:3]
	s_mov_b64 s[42:43], 0
	s_mov_b64 s[2:3], 0
	s_and_saveexec_b64 s[44:45], s[54:55]
	s_cbranch_execz .LBB96_60
; %bb.59:                               ;   in Loop: Header=BB96_3 Depth=1
	v_cvt_f32_u32_e32 v18, v25
	v_mov_b32_e32 v19, 0x2f800000
	v_lshlrev_b64 v[14:15], 1, v[14:15]
	s_waitcnt lgkmcnt(0)
	v_add_co_u32_e32 v14, vcc, s14, v14
	v_fmac_f32_e32 v19, 0x2f800000, v18
	v_mov_b32_e32 v18, s15
	v_addc_co_u32_e32 v15, vcc, v18, v15, vcc
	v_cmp_le_f32_e32 vcc, v19, v11
	s_mov_b64 s[2:3], exec
	v_cndmask_b32_e32 v11, 0, v31, vcc
	global_store_short v[14:15], v11, off
.LBB96_60:                              ;   in Loop: Header=BB96_3 Depth=1
	s_or_b64 exec, exec, s[44:45]
	s_mov_b64 s[44:45], -1
	s_xor_b64 s[54:55], exec, -1
	s_and_b64 s[2:3], s[2:3], exec
.LBB96_61:                              ;   in Loop: Header=BB96_3 Depth=1
	s_or_b64 exec, exec, s[48:49]
	s_and_b64 s[54:55], s[54:55], exec
	s_orn2_b64 s[2:3], s[2:3], exec
.LBB96_62:                              ;   in Loop: Header=BB96_3 Depth=1
	s_or_b64 exec, exec, s[46:47]
	s_mov_b64 s[48:49], s[42:43]
	s_and_saveexec_b64 s[46:47], s[2:3]
	s_cbranch_execz .LBB96_66
; %bb.63:                               ;   in Loop: Header=BB96_3 Depth=1
	s_waitcnt vmcnt(1)
	v_cmp_le_f32_e32 vcc, 0, v9
	v_cmp_ge_f32_e64 s[2:3], 1.0, v9
	s_and_b64 s[48:49], vcc, s[2:3]
	s_mov_b64 s[2:3], 0
	s_and_saveexec_b64 s[52:53], s[48:49]
	s_xor_b64 s[48:49], exec, s[52:53]
	s_cbranch_execz .LBB96_65
; %bb.64:                               ;   in Loop: Header=BB96_3 Depth=1
	v_cvt_f32_u32_e32 v14, v16
	s_waitcnt vmcnt(0)
	v_mov_b32_e32 v11, v3
	v_mov_b32_e32 v15, 0x2f800000
	v_lshlrev_b64 v[10:11], 1, v[10:11]
	v_fmac_f32_e32 v15, 0x2f800000, v14
	s_waitcnt lgkmcnt(0)
	v_mov_b32_e32 v14, s15
	v_add_co_u32_e32 v10, vcc, s14, v10
	v_addc_co_u32_e32 v11, vcc, v14, v11, vcc
	v_cmp_le_f32_e32 vcc, v15, v9
	v_cndmask_b32_e32 v9, 0, v31, vcc
	s_mov_b64 s[2:3], exec
	global_store_short v[10:11], v9, off
.LBB96_65:                              ;   in Loop: Header=BB96_3 Depth=1
	s_or_b64 exec, exec, s[48:49]
	s_andn2_b64 s[48:49], s[42:43], exec
	s_or_b64 s[42:43], s[42:43], exec
	s_andn2_b64 s[44:45], s[44:45], exec
	s_and_b64 s[52:53], s[2:3], exec
.LBB96_66:                              ;   in Loop: Header=BB96_3 Depth=1
	s_or_b64 exec, exec, s[46:47]
	s_and_b64 s[48:49], s[48:49], exec
	s_and_b64 s[46:47], s[42:43], exec
	;; [unrolled: 1-line block ×5, first 2 shown]
.LBB96_67:                              ;   in Loop: Header=BB96_3 Depth=1
	s_andn2_saveexec_b64 s[2:3], s[50:51]
; %bb.68:                               ;   in Loop: Header=BB96_3 Depth=1
	v_cmp_lt_i32_e32 vcc, 1, v17
	s_andn2_b64 s[50:51], s[52:53], exec
	s_and_b64 s[52:53], vcc, exec
	s_mov_b64 s[4:5], exec
	s_andn2_b64 s[48:49], s[48:49], exec
	s_andn2_b64 s[46:47], s[46:47], exec
	;; [unrolled: 1-line block ×3, first 2 shown]
	s_or_b64 s[52:53], s[50:51], s[52:53]
; %bb.69:                               ;   in Loop: Header=BB96_3 Depth=1
	s_or_b64 exec, exec, s[2:3]
	s_mov_b64 s[2:3], 0
	s_mov_b64 s[50:51], s[48:49]
	s_and_saveexec_b64 s[54:55], s[52:53]
	s_cbranch_execnz .LBB96_72
; %bb.70:                               ;   in Loop: Header=BB96_3 Depth=1
	s_or_b64 exec, exec, s[54:55]
	s_and_saveexec_b64 s[52:53], s[4:5]
	s_cbranch_execnz .LBB96_75
.LBB96_71:                              ;   in Loop: Header=BB96_3 Depth=1
	s_or_b64 exec, exec, s[52:53]
	s_and_saveexec_b64 s[4:5], s[2:3]
	s_cbranch_execnz .LBB96_76
	s_branch .LBB96_79
.LBB96_72:                              ;   in Loop: Header=BB96_3 Depth=1
	s_waitcnt vmcnt(2)
	v_cmp_le_f32_e32 vcc, 0, v7
	v_cmp_ge_f32_e64 s[2:3], 1.0, v7
	s_and_b64 s[50:51], vcc, s[2:3]
	s_mov_b64 s[2:3], 0
	s_and_saveexec_b64 s[52:53], s[50:51]
	s_xor_b64 s[50:51], exec, s[52:53]
	s_cbranch_execz .LBB96_74
; %bb.73:                               ;   in Loop: Header=BB96_3 Depth=1
	v_cvt_f32_u32_e32 v10, v13
	s_waitcnt vmcnt(1)
	v_mov_b32_e32 v9, v3
	s_waitcnt vmcnt(0)
	v_mov_b32_e32 v11, 0x2f800000
	v_lshlrev_b64 v[8:9], 1, v[8:9]
	v_fmac_f32_e32 v11, 0x2f800000, v10
	s_waitcnt lgkmcnt(0)
	v_mov_b32_e32 v10, s15
	v_add_co_u32_e32 v8, vcc, s14, v8
	v_addc_co_u32_e32 v9, vcc, v10, v9, vcc
	v_cmp_le_f32_e32 vcc, v11, v7
	v_cndmask_b32_e32 v7, 0, v31, vcc
	s_mov_b64 s[2:3], exec
	global_store_short v[8:9], v7, off
.LBB96_74:                              ;   in Loop: Header=BB96_3 Depth=1
	s_or_b64 exec, exec, s[50:51]
	s_andn2_b64 s[50:51], s[48:49], exec
	s_or_b64 s[48:49], s[48:49], exec
	s_andn2_b64 s[46:47], s[46:47], exec
	s_andn2_b64 s[44:45], s[44:45], exec
	s_and_b64 s[2:3], s[2:3], exec
	s_andn2_b64 s[4:5], s[4:5], exec
	s_or_b64 exec, exec, s[54:55]
	s_and_saveexec_b64 s[52:53], s[4:5]
	s_cbranch_execz .LBB96_71
.LBB96_75:                              ;   in Loop: Header=BB96_3 Depth=1
	v_cmp_eq_u32_e32 vcc, 1, v17
	s_andn2_b64 s[2:3], s[2:3], exec
	s_and_b64 s[4:5], vcc, exec
	s_andn2_b64 s[50:51], s[50:51], exec
	s_andn2_b64 s[48:49], s[48:49], exec
	s_andn2_b64 s[46:47], s[46:47], exec
	s_andn2_b64 s[44:45], s[44:45], exec
	s_or_b64 s[42:43], s[42:43], exec
	s_or_b64 s[2:3], s[2:3], s[4:5]
	s_or_b64 exec, exec, s[52:53]
	s_and_saveexec_b64 s[4:5], s[2:3]
	s_cbranch_execz .LBB96_79
.LBB96_76:                              ;   in Loop: Header=BB96_3 Depth=1
	s_waitcnt vmcnt(3)
	v_cmp_le_f32_e32 vcc, 0, v2
	v_cmp_ge_f32_e64 s[2:3], 1.0, v2
	s_and_b64 s[54:55], vcc, s[2:3]
	s_mov_b64 s[2:3], 0
	s_and_saveexec_b64 s[52:53], s[54:55]
	s_cbranch_execz .LBB96_78
; %bb.77:                               ;   in Loop: Header=BB96_3 Depth=1
	v_cvt_f32_u32_e32 v8, v12
	s_waitcnt vmcnt(2)
	v_mov_b32_e32 v7, v3
	s_waitcnt vmcnt(1)
	v_mov_b32_e32 v9, 0x2f800000
	v_lshlrev_b64 v[6:7], 1, v[6:7]
	v_fmac_f32_e32 v9, 0x2f800000, v8
	s_waitcnt lgkmcnt(0)
	v_mov_b32_e32 v8, s15
	v_add_co_u32_e32 v6, vcc, s14, v6
	v_addc_co_u32_e32 v7, vcc, v8, v7, vcc
	v_cmp_le_f32_e32 vcc, v9, v2
	s_mov_b64 s[2:3], exec
	v_cndmask_b32_e32 v2, 0, v31, vcc
	global_store_short v[6:7], v2, off
.LBB96_78:                              ;   in Loop: Header=BB96_3 Depth=1
	s_or_b64 exec, exec, s[52:53]
	s_andn2_b64 s[42:43], s[42:43], exec
	s_and_b64 s[2:3], s[2:3], exec
	s_or_b64 s[50:51], s[50:51], exec
	s_andn2_b64 s[48:49], s[48:49], exec
	s_andn2_b64 s[46:47], s[46:47], exec
	;; [unrolled: 1-line block ×3, first 2 shown]
	s_or_b64 s[42:43], s[42:43], s[2:3]
.LBB96_79:                              ;   in Loop: Header=BB96_3 Depth=1
	s_or_b64 exec, exec, s[4:5]
	s_andn2_b64 s[4:5], s[40:41], exec
	s_and_b64 s[40:41], s[50:51], exec
	s_or_b64 s[40:41], s[4:5], s[40:41]
	s_andn2_b64 s[4:5], s[38:39], exec
	s_and_b64 s[38:39], s[48:49], exec
	s_or_b64 s[38:39], s[4:5], s[38:39]
	;; [unrolled: 3-line block ×3, first 2 shown]
	s_andn2_b64 s[4:5], s[34:35], exec
	s_and_b64 s[34:35], s[44:45], exec
	s_mov_b64 s[2:3], -1
	s_or_b64 s[34:35], s[4:5], s[34:35]
	s_and_saveexec_b64 s[4:5], s[42:43]
	s_cbranch_execz .LBB96_2
; %bb.80:                               ;   in Loop: Header=BB96_3 Depth=1
	v_add_u32_e32 v30, s59, v30
	v_cmp_le_u32_e32 vcc, s33, v30
	s_andn2_b64 s[40:41], s[40:41], exec
	s_andn2_b64 s[38:39], s[38:39], exec
	s_andn2_b64 s[36:37], s[36:37], exec
	s_andn2_b64 s[34:35], s[34:35], exec
	s_orn2_b64 s[2:3], vcc, exec
	s_branch .LBB96_2
.LBB96_81:
	s_or_b64 exec, exec, s[24:25]
	s_xor_b64 s[6:7], s[30:31], -1
	s_xor_b64 s[8:9], s[28:29], -1
	;; [unrolled: 1-line block ×3, first 2 shown]
	s_mov_b64 s[2:3], 0
	s_and_saveexec_b64 s[4:5], s[0:1]
	s_xor_b64 s[0:1], exec, s[4:5]
	s_cbranch_execnz .LBB96_86
; %bb.82:
	s_andn2_saveexec_b64 s[0:1], s[0:1]
	s_cbranch_execnz .LBB96_94
.LBB96_83:
	s_or_b64 exec, exec, s[0:1]
	s_and_b64 exec, exec, s[2:3]
.LBB96_84:
	; divergent unreachable
.LBB96_85:
	s_endpgm
.LBB96_86:
	s_mov_b64 s[4:5], 0
	s_and_saveexec_b64 s[2:3], s[8:9]
	s_xor_b64 s[2:3], exec, s[2:3]
	s_cbranch_execz .LBB96_92
; %bb.87:
	s_and_saveexec_b64 s[8:9], s[6:7]
	s_xor_b64 s[6:7], exec, s[8:9]
	s_cbranch_execz .LBB96_90
; %bb.88:
	s_and_saveexec_b64 s[8:9], s[18:19]
	s_xor_b64 s[8:9], exec, s[8:9]
	s_cbranch_execnz .LBB96_97
.LBB96_89:
	s_or_b64 exec, exec, s[8:9]
	s_and_b64 s[4:5], s[4:5], exec
.LBB96_90:
	s_andn2_saveexec_b64 s[6:7], s[6:7]
	s_cbranch_execnz .LBB96_96
.LBB96_91:
	s_or_b64 exec, exec, s[6:7]
	s_and_b64 s[4:5], s[4:5], exec
.LBB96_92:
	s_andn2_saveexec_b64 s[2:3], s[2:3]
	s_cbranch_execnz .LBB96_95
.LBB96_93:
	s_or_b64 exec, exec, s[2:3]
	s_and_b64 s[2:3], s[4:5], exec
	s_andn2_saveexec_b64 s[0:1], s[0:1]
	s_cbranch_execz .LBB96_83
.LBB96_94:
	s_or_b64 s[2:3], s[2:3], exec
	s_trap 2
	s_or_b64 exec, exec, s[0:1]
	s_and_b64 exec, exec, s[2:3]
	s_cbranch_execnz .LBB96_84
	s_branch .LBB96_85
.LBB96_95:
	s_or_b64 s[4:5], s[4:5], exec
	s_trap 2
	s_branch .LBB96_93
.LBB96_96:
	s_trap 2
	s_or_b64 s[4:5], s[4:5], exec
	s_branch .LBB96_91
.LBB96_97:
	s_mov_b64 s[4:5], exec
	s_trap 2
	s_branch .LBB96_89
	.section	.rodata,"a",@progbits
	.p2align	6, 0x0
	.amdhsa_kernel _ZN2at4cuda12_GLOBAL__N_121kernelPointwiseApply2IZNS_6native9templates4cuda28bernoulli_tensor_cuda_kernelIN3c104HalfEfEEvRKNS_10TensorBaseESB_NS_15PhiloxCudaStateEEUliRS8_SD_SD_SD_RKfSF_SF_SF_E_S8_SE_jLin1ELin1ELi4ELi512ELi2EEEvNS0_6detail10TensorInfoIT0_T2_EENSI_IT1_SK_EESK_T_
		.amdhsa_group_segment_fixed_size 0
		.amdhsa_private_segment_fixed_size 0
		.amdhsa_kernarg_size 728
		.amdhsa_user_sgpr_count 6
		.amdhsa_user_sgpr_private_segment_buffer 1
		.amdhsa_user_sgpr_dispatch_ptr 0
		.amdhsa_user_sgpr_queue_ptr 0
		.amdhsa_user_sgpr_kernarg_segment_ptr 1
		.amdhsa_user_sgpr_dispatch_id 0
		.amdhsa_user_sgpr_flat_scratch_init 0
		.amdhsa_user_sgpr_kernarg_preload_length 0
		.amdhsa_user_sgpr_kernarg_preload_offset 0
		.amdhsa_user_sgpr_private_segment_size 0
		.amdhsa_uses_dynamic_stack 0
		.amdhsa_system_sgpr_private_segment_wavefront_offset 0
		.amdhsa_system_sgpr_workgroup_id_x 1
		.amdhsa_system_sgpr_workgroup_id_y 0
		.amdhsa_system_sgpr_workgroup_id_z 0
		.amdhsa_system_sgpr_workgroup_info 0
		.amdhsa_system_vgpr_workitem_id 0
		.amdhsa_next_free_vgpr 51
		.amdhsa_next_free_sgpr 64
		.amdhsa_accum_offset 52
		.amdhsa_reserve_vcc 1
		.amdhsa_reserve_flat_scratch 0
		.amdhsa_float_round_mode_32 0
		.amdhsa_float_round_mode_16_64 0
		.amdhsa_float_denorm_mode_32 3
		.amdhsa_float_denorm_mode_16_64 3
		.amdhsa_dx10_clamp 1
		.amdhsa_ieee_mode 1
		.amdhsa_fp16_overflow 0
		.amdhsa_tg_split 0
		.amdhsa_exception_fp_ieee_invalid_op 0
		.amdhsa_exception_fp_denorm_src 0
		.amdhsa_exception_fp_ieee_div_zero 0
		.amdhsa_exception_fp_ieee_overflow 0
		.amdhsa_exception_fp_ieee_underflow 0
		.amdhsa_exception_fp_ieee_inexact 0
		.amdhsa_exception_int_div_zero 0
	.end_amdhsa_kernel
	.section	.text._ZN2at4cuda12_GLOBAL__N_121kernelPointwiseApply2IZNS_6native9templates4cuda28bernoulli_tensor_cuda_kernelIN3c104HalfEfEEvRKNS_10TensorBaseESB_NS_15PhiloxCudaStateEEUliRS8_SD_SD_SD_RKfSF_SF_SF_E_S8_SE_jLin1ELin1ELi4ELi512ELi2EEEvNS0_6detail10TensorInfoIT0_T2_EENSI_IT1_SK_EESK_T_,"axG",@progbits,_ZN2at4cuda12_GLOBAL__N_121kernelPointwiseApply2IZNS_6native9templates4cuda28bernoulli_tensor_cuda_kernelIN3c104HalfEfEEvRKNS_10TensorBaseESB_NS_15PhiloxCudaStateEEUliRS8_SD_SD_SD_RKfSF_SF_SF_E_S8_SE_jLin1ELin1ELi4ELi512ELi2EEEvNS0_6detail10TensorInfoIT0_T2_EENSI_IT1_SK_EESK_T_,comdat
.Lfunc_end96:
	.size	_ZN2at4cuda12_GLOBAL__N_121kernelPointwiseApply2IZNS_6native9templates4cuda28bernoulli_tensor_cuda_kernelIN3c104HalfEfEEvRKNS_10TensorBaseESB_NS_15PhiloxCudaStateEEUliRS8_SD_SD_SD_RKfSF_SF_SF_E_S8_SE_jLin1ELin1ELi4ELi512ELi2EEEvNS0_6detail10TensorInfoIT0_T2_EENSI_IT1_SK_EESK_T_, .Lfunc_end96-_ZN2at4cuda12_GLOBAL__N_121kernelPointwiseApply2IZNS_6native9templates4cuda28bernoulli_tensor_cuda_kernelIN3c104HalfEfEEvRKNS_10TensorBaseESB_NS_15PhiloxCudaStateEEUliRS8_SD_SD_SD_RKfSF_SF_SF_E_S8_SE_jLin1ELin1ELi4ELi512ELi2EEEvNS0_6detail10TensorInfoIT0_T2_EENSI_IT1_SK_EESK_T_
                                        ; -- End function
	.section	.AMDGPU.csdata,"",@progbits
; Kernel info:
; codeLenInByte = 4492
; NumSgprs: 68
; NumVgprs: 51
; NumAgprs: 0
; TotalNumVgprs: 51
; ScratchSize: 0
; MemoryBound: 0
; FloatMode: 240
; IeeeMode: 1
; LDSByteSize: 0 bytes/workgroup (compile time only)
; SGPRBlocks: 8
; VGPRBlocks: 6
; NumSGPRsForWavesPerEU: 68
; NumVGPRsForWavesPerEU: 51
; AccumOffset: 52
; Occupancy: 8
; WaveLimiterHint : 1
; COMPUTE_PGM_RSRC2:SCRATCH_EN: 0
; COMPUTE_PGM_RSRC2:USER_SGPR: 6
; COMPUTE_PGM_RSRC2:TRAP_HANDLER: 0
; COMPUTE_PGM_RSRC2:TGID_X_EN: 1
; COMPUTE_PGM_RSRC2:TGID_Y_EN: 0
; COMPUTE_PGM_RSRC2:TGID_Z_EN: 0
; COMPUTE_PGM_RSRC2:TIDIG_COMP_CNT: 0
; COMPUTE_PGM_RSRC3_GFX90A:ACCUM_OFFSET: 12
; COMPUTE_PGM_RSRC3_GFX90A:TG_SPLIT: 0
	.section	.text._ZN2at4cuda12_GLOBAL__N_121kernelPointwiseApply2IZNS_6native9templates4cuda28bernoulli_tensor_cuda_kernelIN3c104HalfEfEEvRKNS_10TensorBaseESB_NS_15PhiloxCudaStateEEUliRS8_SD_SD_SD_RKfSF_SF_SF_E_S8_SE_mLi1ELi1ELi4ELi512ELi2EEEvNS0_6detail10TensorInfoIT0_T2_EENSI_IT1_SK_EESK_T_,"axG",@progbits,_ZN2at4cuda12_GLOBAL__N_121kernelPointwiseApply2IZNS_6native9templates4cuda28bernoulli_tensor_cuda_kernelIN3c104HalfEfEEvRKNS_10TensorBaseESB_NS_15PhiloxCudaStateEEUliRS8_SD_SD_SD_RKfSF_SF_SF_E_S8_SE_mLi1ELi1ELi4ELi512ELi2EEEvNS0_6detail10TensorInfoIT0_T2_EENSI_IT1_SK_EESK_T_,comdat
	.globl	_ZN2at4cuda12_GLOBAL__N_121kernelPointwiseApply2IZNS_6native9templates4cuda28bernoulli_tensor_cuda_kernelIN3c104HalfEfEEvRKNS_10TensorBaseESB_NS_15PhiloxCudaStateEEUliRS8_SD_SD_SD_RKfSF_SF_SF_E_S8_SE_mLi1ELi1ELi4ELi512ELi2EEEvNS0_6detail10TensorInfoIT0_T2_EENSI_IT1_SK_EESK_T_ ; -- Begin function _ZN2at4cuda12_GLOBAL__N_121kernelPointwiseApply2IZNS_6native9templates4cuda28bernoulli_tensor_cuda_kernelIN3c104HalfEfEEvRKNS_10TensorBaseESB_NS_15PhiloxCudaStateEEUliRS8_SD_SD_SD_RKfSF_SF_SF_E_S8_SE_mLi1ELi1ELi4ELi512ELi2EEEvNS0_6detail10TensorInfoIT0_T2_EENSI_IT1_SK_EESK_T_
	.p2align	8
	.type	_ZN2at4cuda12_GLOBAL__N_121kernelPointwiseApply2IZNS_6native9templates4cuda28bernoulli_tensor_cuda_kernelIN3c104HalfEfEEvRKNS_10TensorBaseESB_NS_15PhiloxCudaStateEEUliRS8_SD_SD_SD_RKfSF_SF_SF_E_S8_SE_mLi1ELi1ELi4ELi512ELi2EEEvNS0_6detail10TensorInfoIT0_T2_EENSI_IT1_SK_EESK_T_,@function
_ZN2at4cuda12_GLOBAL__N_121kernelPointwiseApply2IZNS_6native9templates4cuda28bernoulli_tensor_cuda_kernelIN3c104HalfEfEEvRKNS_10TensorBaseESB_NS_15PhiloxCudaStateEEUliRS8_SD_SD_SD_RKfSF_SF_SF_E_S8_SE_mLi1ELi1ELi4ELi512ELi2EEEvNS0_6detail10TensorInfoIT0_T2_EENSI_IT1_SK_EESK_T_: ; @_ZN2at4cuda12_GLOBAL__N_121kernelPointwiseApply2IZNS_6native9templates4cuda28bernoulli_tensor_cuda_kernelIN3c104HalfEfEEvRKNS_10TensorBaseESB_NS_15PhiloxCudaStateEEUliRS8_SD_SD_SD_RKfSF_SF_SF_E_S8_SE_mLi1ELi1ELi4ELi512ELi2EEEvNS0_6detail10TensorInfoIT0_T2_EENSI_IT1_SK_EESK_T_
; %bb.0:
	s_load_dword s2, s[4:5], 0x374
	s_load_dwordx8 s[12:19], s[4:5], 0x340
	s_add_u32 s0, s4, 0x368
	s_addc_u32 s1, s5, 0
	v_mov_b32_e32 v1, 0
	s_waitcnt lgkmcnt(0)
	s_and_b32 s2, s2, 0xffff
	s_mul_i32 s6, s6, s2
	v_add_u32_e32 v5, s6, v0
	v_lshlrev_b32_e32 v0, 2, v5
	v_cmp_gt_u64_e32 vcc, s[12:13], v[0:1]
	s_and_saveexec_b64 s[6:7], vcc
	s_cbranch_execz .LBB97_43
; %bb.1:
	s_load_dword s3, s[0:1], 0x0
	s_load_dword s22, s[4:5], 0x360
	s_load_dwordx2 s[10:11], s[4:5], 0x0
	s_load_dwordx2 s[6:7], s[4:5], 0xd0
	s_load_dwordx2 s[20:21], s[4:5], 0x1a0
	s_load_dwordx2 s[8:9], s[4:5], 0x270
	s_waitcnt lgkmcnt(0)
	s_mul_i32 s3, s3, s2
	s_bitcmp1_b32 s22, 0
	s_mov_b32 s33, 0xcd9e8d57
	v_pk_mov_b32 v[6:7], s[6:7], s[6:7] op_sel:[0,1]
	s_cselect_b64 s[22:23], -1, 0
	v_mad_u64_u32 v[2:3], s[0:1], v5, s33, 0
	s_lshl_b32 s60, s3, 2
	v_mad_u64_u32 v[6:7], s[0:1], s6, v0, v[6:7]
	s_mul_i32 s0, s7, s60
	s_mul_hi_u32 s1, s6, s60
	v_add_co_u32_e32 v16, vcc, 2, v0
	s_add_i32 s62, s1, s0
	v_addc_co_u32_e64 v17, s[0:1], 0, 0, vcc
	v_add_co_u32_e32 v18, vcc, 3, v0
	v_mul_lo_u32 v10, s7, v16
	v_mul_lo_u32 v11, s6, v17
	v_mad_u64_u32 v[8:9], s[0:1], s6, v16, 0
	v_addc_co_u32_e64 v19, s[0:1], 0, 0, vcc
	v_add3_u32 v9, v9, v11, v10
	v_mul_lo_u32 v12, s7, v18
	v_mul_lo_u32 v13, s6, v19
	v_mad_u64_u32 v[10:11], s[0:1], s6, v18, 0
	v_mul_lo_u32 v14, s7, v0
	v_add3_u32 v11, v11, v13, v12
	v_mad_u64_u32 v[12:13], s[0:1], s6, v0, 0
	v_add_u32_e32 v7, v14, v7
	v_add_u32_e32 v13, v13, v14
	v_pk_mov_b32 v[14:15], s[8:9], s[8:9] op_sel:[0,1]
	v_mad_u64_u32 v[14:15], s[0:1], s8, v0, v[14:15]
	s_mul_i32 s0, s9, s60
	s_mul_hi_u32 s1, s8, s60
	s_add_i32 s64, s1, s0
	v_mul_lo_u32 v20, s9, v16
	v_mul_lo_u32 v21, s8, v17
	v_mad_u64_u32 v[16:17], s[0:1], s8, v16, 0
	v_add3_u32 v17, v17, v21, v20
	v_mul_lo_u32 v20, s9, v18
	v_mul_lo_u32 v21, s8, v19
	v_mad_u64_u32 v[18:19], s[0:1], s8, v18, 0
	v_mul_lo_u32 v22, s9, v0
	v_add3_u32 v19, v19, v21, v20
	v_mad_u64_u32 v[20:21], s[0:1], s8, v0, 0
	v_mov_b32_e32 v4, v3
	s_mov_b32 s61, 0
	v_sub_u32_e32 v3, s12, v0
	s_mul_i32 s63, s6, s60
	v_add_u32_e32 v15, v22, v15
	s_mul_i32 s65, s8, s60
	v_add_u32_e32 v21, v21, v22
	s_mov_b64 s[26:27], 0
	s_mov_b32 s66, 0xd2511f53
	v_mov_b32_e32 v38, s21
	s_mov_b32 s21, 0xf1bbcdc8
	v_mov_b32_e32 v39, 0x3c00
	s_mov_b64 s[42:43], 0
	s_mov_b64 s[46:47], 0
                                        ; implicit-def: $sgpr28_sgpr29
                                        ; implicit-def: $sgpr30_sgpr31
                                        ; implicit-def: $sgpr34_sgpr35
                                        ; implicit-def: $sgpr24_sgpr25
                                        ; implicit-def: $sgpr36_sgpr37
                                        ; implicit-def: $sgpr38_sgpr39
                                        ; implicit-def: $sgpr40_sgpr41
                                        ; implicit-def: $sgpr44_sgpr45
	s_branch .LBB97_3
.LBB97_2:                               ;   in Loop: Header=BB97_3 Depth=1
	s_or_b64 exec, exec, s[2:3]
	s_and_b64 s[0:1], exec, s[0:1]
	s_or_b64 s[26:27], s[0:1], s[26:27]
	s_andn2_b64 s[0:1], s[24:25], exec
	s_and_b64 s[2:3], s[44:45], exec
	s_or_b64 s[24:25], s[0:1], s[2:3]
	s_andn2_b64 s[0:1], s[34:35], exec
	s_and_b64 s[2:3], s[40:41], exec
	;; [unrolled: 3-line block ×4, first 2 shown]
	s_or_b64 s[28:29], s[0:1], s[2:3]
	s_andn2_b64 exec, exec, s[26:27]
	s_cbranch_execz .LBB97_39
.LBB97_3:                               ; =>This Inner Loop Header: Depth=1
	v_mov_b32_e32 v28, s43
	v_add_co_u32_e32 v22, vcc, s42, v20
	v_addc_co_u32_e32 v23, vcc, v21, v28, vcc
	v_add_co_u32_e32 v24, vcc, s42, v14
	v_addc_co_u32_e32 v25, vcc, v15, v28, vcc
	v_add_co_u32_e32 v26, vcc, s42, v16
	v_cmp_lt_i32_e64 s[0:1], 0, v3
	v_addc_co_u32_e32 v27, vcc, v17, v28, vcc
	v_cndmask_b32_e64 v23, 0, v23, s[0:1]
	v_cndmask_b32_e64 v22, 0, v22, s[0:1]
	v_add_co_u32_e32 v30, vcc, s42, v18
	v_cmp_lt_i32_e64 s[2:3], 1, v3
	v_addc_co_u32_e32 v28, vcc, v19, v28, vcc
	v_lshlrev_b64 v[22:23], 2, v[22:23]
	v_cndmask_b32_e64 v25, 0, v25, s[2:3]
	v_cndmask_b32_e64 v24, 0, v24, s[2:3]
	v_add_co_u32_e32 v22, vcc, s20, v22
	v_cmp_lt_i32_e64 s[4:5], 2, v3
	v_addc_co_u32_e32 v23, vcc, v38, v23, vcc
	v_lshlrev_b64 v[24:25], 2, v[24:25]
	;; [unrolled: 6-line block ×3, first 2 shown]
	v_cndmask_b32_e64 v29, 0, v28, s[6:7]
	v_cndmask_b32_e64 v28, 0, v30, s[6:7]
	v_add_co_u32_e32 v26, vcc, s20, v26
	v_addc_co_u32_e32 v27, vcc, v38, v27, vcc
	v_lshlrev_b64 v[28:29], 2, v[28:29]
	v_add_co_u32_e32 v28, vcc, s20, v28
	v_addc_co_u32_e32 v29, vcc, v38, v29, vcc
	global_load_dword v40, v[22:23], off
	global_load_dword v41, v[24:25], off
	global_load_dword v42, v[26:27], off
	global_load_dword v43, v[28:29], off
	s_andn2_b64 vcc, exec, s[22:23]
	v_pk_mov_b32 v[22:23], s[16:17], s[16:17] op_sel:[0,1]
	v_pk_mov_b32 v[24:25], s[14:15], s[14:15] op_sel:[0,1]
	s_cbranch_vccnz .LBB97_5
; %bb.4:                                ;   in Loop: Header=BB97_3 Depth=1
	v_pk_mov_b32 v[22:23], s[16:17], s[16:17] op_sel:[0,1]
	flat_load_dwordx2 v[22:23], v[22:23]
	v_pk_mov_b32 v[24:25], s[14:15], s[14:15] op_sel:[0,1]
	flat_load_dwordx2 v[24:25], v[24:25]
	v_mov_b32_e32 v26, s19
	s_waitcnt vmcnt(0) lgkmcnt(0)
	v_add_co_u32_e32 v22, vcc, s18, v22
	v_addc_co_u32_e32 v23, vcc, v23, v26, vcc
.LBB97_5:                               ;   in Loop: Header=BB97_3 Depth=1
	v_alignbit_b32 v34, v23, v22, 2
	v_lshrrev_b32_e32 v35, 2, v23
	v_xor_b32_e32 v26, v4, v24
	v_and_b32_e32 v44, 3, v22
	v_mad_u64_u32 v[22:23], s[8:9], v34, s66, 0
	v_xor_b32_e32 v26, v26, v35
	v_xor_b32_e32 v23, v23, v25
	v_add_u32_e32 v49, 0xbb67ae85, v25
	v_mad_u64_u32 v[26:27], s[8:9], v26, s66, 0
	v_mad_u64_u32 v[28:29], s[8:9], v23, s33, 0
	v_xor_b32_e32 v27, v49, v27
	v_add_u32_e32 v48, 0x9e3779b9, v24
	v_xor_b32_e32 v23, v2, v29
	v_xor_b32_e32 v27, v27, v22
	v_xor_b32_e32 v23, v23, v48
	v_add_u32_e32 v50, 0x3c6ef372, v24
	v_mad_u64_u32 v[30:31], s[8:9], v27, s33, 0
	v_add_u32_e32 v51, 0x76cf5d0a, v25
	v_mad_u64_u32 v[22:23], s[8:9], v23, s66, 0
	v_xor_b32_e32 v27, v50, v31
	v_xor_b32_e32 v27, v27, v28
	v_xor_b32_e32 v23, v51, v23
	v_xor_b32_e32 v23, v23, v26
	v_add_u32_e32 v53, 0x32370b8f, v25
	v_mad_u64_u32 v[26:27], s[8:9], v27, s66, 0
	v_add_u32_e32 v52, 0xdaa66d2b, v24
	v_mad_u64_u32 v[28:29], s[8:9], v23, s33, 0
	v_xor_b32_e32 v27, v53, v27
	;; [unrolled: 8-line block ×5, first 2 shown]
	v_xor_b32_e32 v27, v27, v28
	v_xor_b32_e32 v23, v59, v23
	;; [unrolled: 1-line block ×3, first 2 shown]
	v_add_u32_e32 v61, 0x1fd5c5a3, v25
	v_mad_u64_u32 v[26:27], s[8:9], v27, s66, 0
	v_xor_b32_e32 v27, v61, v27
	v_xor_b32_e32 v22, v27, v22
	v_add_u32_e32 v60, 0x5384540f, v24
	v_mad_u64_u32 v[32:33], s[8:9], v23, s33, 0
	v_add_co_u32_e32 v46, vcc, s21, v24
	v_mad_u64_u32 v[28:29], s[8:9], v22, s33, 0
	v_xor_b32_e32 v23, v60, v33
	v_xor_b32_e32 v22, v46, v29
	;; [unrolled: 1-line block ×4, first 2 shown]
	v_mad_u64_u32 v[30:31], s[8:9], v23, s66, 0
	v_mad_u64_u32 v[22:23], s[8:9], v22, s66, 0
	v_add_u32_e32 v47, 0x96a522ad, v25
	v_xor_b32_e32 v23, v23, v30
	v_xor_b32_e32 v45, v47, v23
	v_add_co_u32_e32 v23, vcc, 1, v34
	v_cndmask_b32_e64 v30, 0, 1, vcc
	v_addc_co_u32_e32 v36, vcc, 0, v35, vcc
	v_cmp_eq_u32_e32 vcc, 0, v36
	v_cndmask_b32_e32 v30, 0, v30, vcc
	v_add_u32_e32 v34, v30, v5
	v_cmp_eq_u32_e32 vcc, 0, v34
	v_mad_u64_u32 v[32:33], s[8:9], v23, s66, 0
	v_mad_u64_u32 v[34:35], s[8:9], v34, s33, 0
	v_add_u32_e32 v29, 0x8ff34781, v24
	v_cndmask_b32_e32 v30, 0, v30, vcc
	v_xor_b32_e32 v23, v35, v24
	v_xor_b32_e32 v24, v33, v25
	;; [unrolled: 1-line block ×4, first 2 shown]
	v_mad_u64_u32 v[36:37], s[8:9], v30, s33, 0
	v_add_u32_e32 v27, 0xdb3d7428, v25
	v_mad_u64_u32 v[24:25], s[8:9], v23, s66, 0
	v_xor_b32_e32 v23, v48, v37
	v_xor_b32_e32 v23, v23, v34
	v_xor_b32_e32 v25, v49, v25
	v_xor_b32_e32 v25, v25, v32
	v_mad_u64_u32 v[32:33], s[8:9], v23, s66, 0
	v_mad_u64_u32 v[34:35], s[8:9], v25, s33, 0
	v_xor_b32_e32 v25, v51, v33
	v_xor_b32_e32 v23, v50, v35
	v_xor_b32_e32 v30, v25, v24
	v_xor_b32_e32 v23, v23, v36
	v_mad_u64_u32 v[36:37], s[8:9], v30, s33, 0
	;; [unrolled: 6-line block ×7, first 2 shown]
	v_xor_b32_e32 v23, v27, v35
	v_xor_b32_e32 v23, v23, v24
	v_mad_u64_u32 v[36:37], s[8:9], v25, s33, 0
	v_mad_u64_u32 v[24:25], s[8:9], v23, s33, 0
	v_xor_b32_e32 v23, v25, v36
	v_xor_b32_e32 v23, v29, v23
	v_cmp_lt_i32_e32 vcc, 1, v44
                                        ; implicit-def: $vgpr33
	s_and_saveexec_b64 s[8:9], vcc
	s_xor_b64 s[8:9], exec, s[8:9]
	s_cbranch_execz .LBB97_11
; %bb.6:                                ;   in Loop: Header=BB97_3 Depth=1
	v_cmp_lt_i32_e32 vcc, 2, v44
                                        ; implicit-def: $vgpr33
	s_and_saveexec_b64 s[48:49], vcc
	s_xor_b64 s[48:49], exec, s[48:49]
; %bb.7:                                ;   in Loop: Header=BB97_3 Depth=1
	v_xor_b32_e32 v25, v46, v37
	v_xor_b32_e32 v25, v25, v32
	v_mul_hi_u32 v25, v25, s66
	v_xor_b32_e32 v25, v25, v34
	v_xor_b32_e32 v33, v47, v25
                                        ; implicit-def: $vgpr45
; %bb.8:                                ;   in Loop: Header=BB97_3 Depth=1
	s_andn2_saveexec_b64 s[48:49], s[48:49]
; %bb.9:                                ;   in Loop: Header=BB97_3 Depth=1
	v_mov_b32_e32 v33, v24
	v_mov_b32_e32 v24, v23
	;; [unrolled: 1-line block ×4, first 2 shown]
; %bb.10:                               ;   in Loop: Header=BB97_3 Depth=1
	s_or_b64 exec, exec, s[48:49]
                                        ; implicit-def: $vgpr26_vgpr27
                                        ; implicit-def: $vgpr28_vgpr29
                                        ; implicit-def: $vgpr44
                                        ; implicit-def: $vgpr45
                                        ; implicit-def: $vgpr30_vgpr31
                                        ; implicit-def: $vgpr27
                                        ; implicit-def: $vgpr29
.LBB97_11:                              ;   in Loop: Header=BB97_3 Depth=1
	s_andn2_saveexec_b64 s[8:9], s[8:9]
	s_cbranch_execz .LBB97_15
; %bb.12:                               ;   in Loop: Header=BB97_3 Depth=1
	v_xor_b32_e32 v24, v27, v31
	v_xor_b32_e32 v24, v24, v26
	v_mad_u64_u32 v[26:27], s[48:49], v24, s33, 0
	v_xor_b32_e32 v24, v27, v28
	v_xor_b32_e32 v25, v29, v24
	v_cmp_eq_u32_e32 vcc, 1, v44
	v_mov_b32_e32 v33, v22
	v_mov_b32_e32 v24, v45
	;; [unrolled: 1-line block ×3, first 2 shown]
	s_and_saveexec_b64 s[48:49], vcc
; %bb.13:                               ;   in Loop: Header=BB97_3 Depth=1
	v_mov_b32_e32 v33, v23
	v_mov_b32_e32 v24, v22
	;; [unrolled: 1-line block ×4, first 2 shown]
; %bb.14:                               ;   in Loop: Header=BB97_3 Depth=1
	s_or_b64 exec, exec, s[48:49]
	v_mov_b32_e32 v22, v25
	v_mov_b32_e32 v23, v27
.LBB97_15:                              ;   in Loop: Header=BB97_3 Depth=1
	s_or_b64 exec, exec, s[8:9]
	v_min_i32_e32 v25, 4, v3
	v_cmp_lt_i32_e32 vcc, 2, v25
	s_mov_b64 s[48:49], 0
	s_mov_b64 s[58:59], 0
                                        ; implicit-def: $sgpr8_sgpr9
                                        ; implicit-def: $sgpr50_sgpr51
                                        ; implicit-def: $sgpr52_sgpr53
	s_and_saveexec_b64 s[54:55], vcc
	s_xor_b64 s[54:55], exec, s[54:55]
	s_cbranch_execz .LBB97_25
; %bb.16:                               ;   in Loop: Header=BB97_3 Depth=1
	v_cmp_lt_i32_e32 vcc, 3, v25
	s_mov_b64 s[52:53], -1
                                        ; implicit-def: $sgpr8_sgpr9
                                        ; implicit-def: $sgpr56_sgpr57
	s_and_saveexec_b64 s[50:51], vcc
	s_cbranch_execz .LBB97_20
; %bb.17:                               ;   in Loop: Header=BB97_3 Depth=1
	s_waitcnt vmcnt(0)
	v_cmp_le_f32_e32 vcc, 0, v43
	v_cmp_ge_f32_e64 s[8:9], 1.0, v43
	s_and_b64 s[58:59], vcc, s[8:9]
	s_mov_b64 s[8:9], 0
	s_mov_b64 s[52:53], 0
	s_and_saveexec_b64 s[56:57], s[58:59]
	s_cbranch_execz .LBB97_19
; %bb.18:                               ;   in Loop: Header=BB97_3 Depth=1
	v_cvt_f32_u32_e32 v26, v33
	v_mov_b32_e32 v28, 0x2f800000
	v_mov_b32_e32 v27, s47
	;; [unrolled: 1-line block ×3, first 2 shown]
	v_fmac_f32_e32 v28, 0x2f800000, v26
	v_add_co_u32_e32 v26, vcc, s46, v10
	v_addc_co_u32_e32 v27, vcc, v11, v27, vcc
	v_cndmask_b32_e64 v27, 0, v27, s[6:7]
	v_cndmask_b32_e64 v26, 0, v26, s[6:7]
	v_lshlrev_b64 v[26:27], 1, v[26:27]
	v_add_co_u32_e32 v26, vcc, s10, v26
	v_addc_co_u32_e32 v27, vcc, v29, v27, vcc
	v_cmp_le_f32_e32 vcc, v28, v43
	s_mov_b64 s[52:53], exec
	v_cndmask_b32_e32 v28, 0, v39, vcc
	global_store_short v[26:27], v28, off
.LBB97_19:                              ;   in Loop: Header=BB97_3 Depth=1
	s_or_b64 exec, exec, s[56:57]
	s_mov_b64 s[56:57], -1
	s_orn2_b64 s[52:53], s[52:53], exec
.LBB97_20:                              ;   in Loop: Header=BB97_3 Depth=1
	s_or_b64 exec, exec, s[50:51]
	s_mov_b64 s[6:7], 0
	s_mov_b64 s[58:59], s[8:9]
	s_and_saveexec_b64 s[50:51], s[52:53]
	s_cbranch_execz .LBB97_24
; %bb.21:                               ;   in Loop: Header=BB97_3 Depth=1
	s_waitcnt vmcnt(1)
	v_cmp_le_f32_e32 vcc, 0, v42
	v_cmp_ge_f32_e64 s[6:7], 1.0, v42
	s_and_b64 s[52:53], vcc, s[6:7]
	s_mov_b64 s[6:7], 0
	s_and_saveexec_b64 s[58:59], s[52:53]
	s_xor_b64 s[52:53], exec, s[58:59]
	s_cbranch_execz .LBB97_23
; %bb.22:                               ;   in Loop: Header=BB97_3 Depth=1
	v_cvt_f32_u32_e32 v24, v24
	v_mov_b32_e32 v28, 0x2f800000
	v_mov_b32_e32 v26, s47
	s_mov_b64 s[6:7], exec
	v_fmac_f32_e32 v28, 0x2f800000, v24
	v_add_co_u32_e32 v24, vcc, s46, v8
	v_addc_co_u32_e32 v26, vcc, v9, v26, vcc
	v_cndmask_b32_e64 v27, 0, v26, s[4:5]
	v_cndmask_b32_e64 v26, 0, v24, s[4:5]
	v_lshlrev_b64 v[26:27], 1, v[26:27]
	v_mov_b32_e32 v24, s11
	v_add_co_u32_e32 v26, vcc, s10, v26
	v_addc_co_u32_e32 v27, vcc, v24, v27, vcc
	v_cmp_le_f32_e32 vcc, v28, v42
	v_cndmask_b32_e32 v24, 0, v39, vcc
	global_store_short v[26:27], v24, off
.LBB97_23:                              ;   in Loop: Header=BB97_3 Depth=1
	s_or_b64 exec, exec, s[52:53]
	s_andn2_b64 s[58:59], s[8:9], exec
	s_or_b64 s[8:9], s[8:9], exec
	s_andn2_b64 s[56:57], s[56:57], exec
	s_and_b64 s[6:7], s[6:7], exec
.LBB97_24:                              ;   in Loop: Header=BB97_3 Depth=1
	s_or_b64 exec, exec, s[50:51]
	s_and_b64 s[52:53], s[58:59], exec
	s_and_b64 s[50:51], s[8:9], exec
	s_and_b64 s[8:9], s[56:57], exec
	s_and_b64 s[58:59], s[6:7], exec
.LBB97_25:                              ;   in Loop: Header=BB97_3 Depth=1
	s_andn2_saveexec_b64 s[4:5], s[54:55]
; %bb.26:                               ;   in Loop: Header=BB97_3 Depth=1
	v_cmp_lt_i32_e32 vcc, 1, v25
	s_andn2_b64 s[6:7], s[58:59], exec
	s_and_b64 s[54:55], vcc, exec
	s_mov_b64 s[48:49], exec
	s_andn2_b64 s[52:53], s[52:53], exec
	s_andn2_b64 s[50:51], s[50:51], exec
	;; [unrolled: 1-line block ×3, first 2 shown]
	s_or_b64 s[58:59], s[6:7], s[54:55]
; %bb.27:                               ;   in Loop: Header=BB97_3 Depth=1
	s_or_b64 exec, exec, s[4:5]
	s_mov_b64 s[6:7], 0
	s_mov_b64 s[54:55], 0
	;; [unrolled: 1-line block ×3, first 2 shown]
	s_and_saveexec_b64 s[56:57], s[58:59]
	s_cbranch_execnz .LBB97_30
; %bb.28:                               ;   in Loop: Header=BB97_3 Depth=1
	s_or_b64 exec, exec, s[56:57]
	s_and_saveexec_b64 s[2:3], s[48:49]
	s_cbranch_execnz .LBB97_33
.LBB97_29:                              ;   in Loop: Header=BB97_3 Depth=1
	s_or_b64 exec, exec, s[2:3]
	s_and_saveexec_b64 s[48:49], s[54:55]
	s_cbranch_execnz .LBB97_34
	s_branch .LBB97_37
.LBB97_30:                              ;   in Loop: Header=BB97_3 Depth=1
	s_waitcnt vmcnt(2)
	v_cmp_le_f32_e32 vcc, 0, v41
	v_cmp_ge_f32_e64 s[4:5], 1.0, v41
	s_and_b64 s[4:5], vcc, s[4:5]
	s_and_saveexec_b64 s[58:59], s[4:5]
	s_xor_b64 s[4:5], exec, s[58:59]
	s_cbranch_execz .LBB97_32
; %bb.31:                               ;   in Loop: Header=BB97_3 Depth=1
	v_cvt_f32_u32_e32 v23, v23
	v_mov_b32_e32 v24, 0x2f800000
	v_mov_b32_e32 v26, s47
	s_mov_b64 s[54:55], exec
	v_fmac_f32_e32 v24, 0x2f800000, v23
	v_add_co_u32_e32 v23, vcc, s46, v6
	v_addc_co_u32_e32 v26, vcc, v7, v26, vcc
	v_cndmask_b32_e64 v27, 0, v26, s[2:3]
	v_cndmask_b32_e64 v26, 0, v23, s[2:3]
	v_lshlrev_b64 v[26:27], 1, v[26:27]
	v_mov_b32_e32 v23, s11
	v_add_co_u32_e32 v26, vcc, s10, v26
	v_addc_co_u32_e32 v27, vcc, v23, v27, vcc
	v_cmp_le_f32_e32 vcc, v24, v41
	v_cndmask_b32_e32 v23, 0, v39, vcc
	global_store_short v[26:27], v23, off
.LBB97_32:                              ;   in Loop: Header=BB97_3 Depth=1
	s_or_b64 exec, exec, s[4:5]
	s_andn2_b64 s[4:5], s[52:53], exec
	s_or_b64 s[52:53], s[52:53], exec
	s_andn2_b64 s[50:51], s[50:51], exec
	s_andn2_b64 s[8:9], s[8:9], exec
	s_and_b64 s[54:55], s[54:55], exec
	s_andn2_b64 s[48:49], s[48:49], exec
	s_or_b64 exec, exec, s[56:57]
	s_and_saveexec_b64 s[2:3], s[48:49]
	s_cbranch_execz .LBB97_29
.LBB97_33:                              ;   in Loop: Header=BB97_3 Depth=1
	v_cmp_eq_u32_e32 vcc, 1, v25
	s_andn2_b64 s[48:49], s[54:55], exec
	s_and_b64 s[54:55], vcc, exec
	s_mov_b64 s[6:7], exec
	s_andn2_b64 s[4:5], s[4:5], exec
	s_andn2_b64 s[52:53], s[52:53], exec
	;; [unrolled: 1-line block ×4, first 2 shown]
	s_or_b64 s[54:55], s[48:49], s[54:55]
	s_or_b64 exec, exec, s[2:3]
	s_and_saveexec_b64 s[48:49], s[54:55]
	s_cbranch_execz .LBB97_37
.LBB97_34:                              ;   in Loop: Header=BB97_3 Depth=1
	s_waitcnt vmcnt(3)
	v_cmp_le_f32_e32 vcc, 0, v40
	v_cmp_ge_f32_e64 s[2:3], 1.0, v40
	s_and_b64 s[56:57], vcc, s[2:3]
	s_mov_b64 s[2:3], 0
	s_and_saveexec_b64 s[54:55], s[56:57]
	s_cbranch_execz .LBB97_36
; %bb.35:                               ;   in Loop: Header=BB97_3 Depth=1
	v_cvt_f32_u32_e32 v22, v22
	v_mov_b32_e32 v24, 0x2f800000
	v_mov_b32_e32 v23, s47
	;; [unrolled: 1-line block ×3, first 2 shown]
	v_fmac_f32_e32 v24, 0x2f800000, v22
	v_add_co_u32_e32 v22, vcc, s46, v12
	v_addc_co_u32_e32 v23, vcc, v13, v23, vcc
	v_cndmask_b32_e64 v23, 0, v23, s[0:1]
	v_cndmask_b32_e64 v22, 0, v22, s[0:1]
	v_lshlrev_b64 v[22:23], 1, v[22:23]
	v_add_co_u32_e32 v22, vcc, s10, v22
	v_addc_co_u32_e32 v23, vcc, v25, v23, vcc
	v_cmp_le_f32_e32 vcc, v24, v40
	s_mov_b64 s[2:3], exec
	v_cndmask_b32_e32 v24, 0, v39, vcc
	global_store_short v[22:23], v24, off
.LBB97_36:                              ;   in Loop: Header=BB97_3 Depth=1
	s_or_b64 exec, exec, s[54:55]
	s_andn2_b64 s[0:1], s[6:7], exec
	s_and_b64 s[2:3], s[2:3], exec
	s_or_b64 s[4:5], s[4:5], exec
	s_andn2_b64 s[52:53], s[52:53], exec
	s_andn2_b64 s[50:51], s[50:51], exec
	;; [unrolled: 1-line block ×3, first 2 shown]
	s_or_b64 s[6:7], s[0:1], s[2:3]
.LBB97_37:                              ;   in Loop: Header=BB97_3 Depth=1
	s_or_b64 exec, exec, s[48:49]
	s_andn2_b64 s[2:3], s[44:45], exec
	s_and_b64 s[4:5], s[4:5], exec
	s_or_b64 s[44:45], s[2:3], s[4:5]
	s_andn2_b64 s[2:3], s[40:41], exec
	s_and_b64 s[4:5], s[52:53], exec
	s_or_b64 s[40:41], s[2:3], s[4:5]
	;; [unrolled: 3-line block ×3, first 2 shown]
	s_andn2_b64 s[2:3], s[36:37], exec
	s_and_b64 s[4:5], s[8:9], exec
	s_mov_b64 s[0:1], -1
	s_or_b64 s[36:37], s[2:3], s[4:5]
	s_and_saveexec_b64 s[2:3], s[6:7]
	s_cbranch_execz .LBB97_2
; %bb.38:                               ;   in Loop: Header=BB97_3 Depth=1
	v_mov_b32_e32 v22, s61
	v_add_co_u32_e32 v0, vcc, s60, v0
	s_add_u32 s46, s46, s63
	v_addc_co_u32_e32 v1, vcc, v1, v22, vcc
	s_addc_u32 s47, s47, s62
	s_add_u32 s42, s42, s65
	v_cmp_le_u64_e32 vcc, s[12:13], v[0:1]
	v_subrev_u32_e32 v3, s60, v3
	s_addc_u32 s43, s43, s64
	s_andn2_b64 s[44:45], s[44:45], exec
	s_andn2_b64 s[40:41], s[40:41], exec
	;; [unrolled: 1-line block ×4, first 2 shown]
	s_orn2_b64 s[0:1], vcc, exec
	s_branch .LBB97_2
.LBB97_39:
	s_or_b64 exec, exec, s[26:27]
	s_xor_b64 s[6:7], s[34:35], -1
	s_xor_b64 s[8:9], s[30:31], -1
	;; [unrolled: 1-line block ×3, first 2 shown]
	s_mov_b64 s[2:3], 0
	s_and_saveexec_b64 s[4:5], s[0:1]
	s_xor_b64 s[0:1], exec, s[4:5]
	s_cbranch_execnz .LBB97_44
; %bb.40:
	s_andn2_saveexec_b64 s[0:1], s[0:1]
	s_cbranch_execnz .LBB97_52
.LBB97_41:
	s_or_b64 exec, exec, s[0:1]
	s_and_b64 exec, exec, s[2:3]
.LBB97_42:
	; divergent unreachable
.LBB97_43:
	s_endpgm
.LBB97_44:
	s_mov_b64 s[4:5], 0
	s_and_saveexec_b64 s[2:3], s[8:9]
	s_xor_b64 s[2:3], exec, s[2:3]
	s_cbranch_execz .LBB97_50
; %bb.45:
	s_and_saveexec_b64 s[8:9], s[6:7]
	s_xor_b64 s[6:7], exec, s[8:9]
	s_cbranch_execz .LBB97_48
; %bb.46:
	s_and_saveexec_b64 s[8:9], s[24:25]
	s_xor_b64 s[8:9], exec, s[8:9]
	s_cbranch_execnz .LBB97_55
.LBB97_47:
	s_or_b64 exec, exec, s[8:9]
	s_and_b64 s[4:5], s[4:5], exec
.LBB97_48:
	s_andn2_saveexec_b64 s[6:7], s[6:7]
	s_cbranch_execnz .LBB97_54
.LBB97_49:
	s_or_b64 exec, exec, s[6:7]
	s_and_b64 s[4:5], s[4:5], exec
.LBB97_50:
	s_andn2_saveexec_b64 s[2:3], s[2:3]
	s_cbranch_execnz .LBB97_53
.LBB97_51:
	s_or_b64 exec, exec, s[2:3]
	s_and_b64 s[2:3], s[4:5], exec
	s_andn2_saveexec_b64 s[0:1], s[0:1]
	s_cbranch_execz .LBB97_41
.LBB97_52:
	s_or_b64 s[2:3], s[2:3], exec
	s_trap 2
	s_or_b64 exec, exec, s[0:1]
	s_and_b64 exec, exec, s[2:3]
	s_cbranch_execnz .LBB97_42
	s_branch .LBB97_43
.LBB97_53:
	s_or_b64 s[4:5], s[4:5], exec
	s_trap 2
	s_branch .LBB97_51
.LBB97_54:
	s_trap 2
	s_or_b64 s[4:5], s[4:5], exec
	s_branch .LBB97_49
.LBB97_55:
	s_mov_b64 s[4:5], exec
	s_trap 2
	s_branch .LBB97_47
	.section	.rodata,"a",@progbits
	.p2align	6, 0x0
	.amdhsa_kernel _ZN2at4cuda12_GLOBAL__N_121kernelPointwiseApply2IZNS_6native9templates4cuda28bernoulli_tensor_cuda_kernelIN3c104HalfEfEEvRKNS_10TensorBaseESB_NS_15PhiloxCudaStateEEUliRS8_SD_SD_SD_RKfSF_SF_SF_E_S8_SE_mLi1ELi1ELi4ELi512ELi2EEEvNS0_6detail10TensorInfoIT0_T2_EENSI_IT1_SK_EESK_T_
		.amdhsa_group_segment_fixed_size 0
		.amdhsa_private_segment_fixed_size 0
		.amdhsa_kernarg_size 1128
		.amdhsa_user_sgpr_count 6
		.amdhsa_user_sgpr_private_segment_buffer 1
		.amdhsa_user_sgpr_dispatch_ptr 0
		.amdhsa_user_sgpr_queue_ptr 0
		.amdhsa_user_sgpr_kernarg_segment_ptr 1
		.amdhsa_user_sgpr_dispatch_id 0
		.amdhsa_user_sgpr_flat_scratch_init 0
		.amdhsa_user_sgpr_kernarg_preload_length 0
		.amdhsa_user_sgpr_kernarg_preload_offset 0
		.amdhsa_user_sgpr_private_segment_size 0
		.amdhsa_uses_dynamic_stack 0
		.amdhsa_system_sgpr_private_segment_wavefront_offset 0
		.amdhsa_system_sgpr_workgroup_id_x 1
		.amdhsa_system_sgpr_workgroup_id_y 0
		.amdhsa_system_sgpr_workgroup_id_z 0
		.amdhsa_system_sgpr_workgroup_info 0
		.amdhsa_system_vgpr_workitem_id 0
		.amdhsa_next_free_vgpr 62
		.amdhsa_next_free_sgpr 67
		.amdhsa_accum_offset 64
		.amdhsa_reserve_vcc 1
		.amdhsa_reserve_flat_scratch 0
		.amdhsa_float_round_mode_32 0
		.amdhsa_float_round_mode_16_64 0
		.amdhsa_float_denorm_mode_32 3
		.amdhsa_float_denorm_mode_16_64 3
		.amdhsa_dx10_clamp 1
		.amdhsa_ieee_mode 1
		.amdhsa_fp16_overflow 0
		.amdhsa_tg_split 0
		.amdhsa_exception_fp_ieee_invalid_op 0
		.amdhsa_exception_fp_denorm_src 0
		.amdhsa_exception_fp_ieee_div_zero 0
		.amdhsa_exception_fp_ieee_overflow 0
		.amdhsa_exception_fp_ieee_underflow 0
		.amdhsa_exception_fp_ieee_inexact 0
		.amdhsa_exception_int_div_zero 0
	.end_amdhsa_kernel
	.section	.text._ZN2at4cuda12_GLOBAL__N_121kernelPointwiseApply2IZNS_6native9templates4cuda28bernoulli_tensor_cuda_kernelIN3c104HalfEfEEvRKNS_10TensorBaseESB_NS_15PhiloxCudaStateEEUliRS8_SD_SD_SD_RKfSF_SF_SF_E_S8_SE_mLi1ELi1ELi4ELi512ELi2EEEvNS0_6detail10TensorInfoIT0_T2_EENSI_IT1_SK_EESK_T_,"axG",@progbits,_ZN2at4cuda12_GLOBAL__N_121kernelPointwiseApply2IZNS_6native9templates4cuda28bernoulli_tensor_cuda_kernelIN3c104HalfEfEEvRKNS_10TensorBaseESB_NS_15PhiloxCudaStateEEUliRS8_SD_SD_SD_RKfSF_SF_SF_E_S8_SE_mLi1ELi1ELi4ELi512ELi2EEEvNS0_6detail10TensorInfoIT0_T2_EENSI_IT1_SK_EESK_T_,comdat
.Lfunc_end97:
	.size	_ZN2at4cuda12_GLOBAL__N_121kernelPointwiseApply2IZNS_6native9templates4cuda28bernoulli_tensor_cuda_kernelIN3c104HalfEfEEvRKNS_10TensorBaseESB_NS_15PhiloxCudaStateEEUliRS8_SD_SD_SD_RKfSF_SF_SF_E_S8_SE_mLi1ELi1ELi4ELi512ELi2EEEvNS0_6detail10TensorInfoIT0_T2_EENSI_IT1_SK_EESK_T_, .Lfunc_end97-_ZN2at4cuda12_GLOBAL__N_121kernelPointwiseApply2IZNS_6native9templates4cuda28bernoulli_tensor_cuda_kernelIN3c104HalfEfEEvRKNS_10TensorBaseESB_NS_15PhiloxCudaStateEEUliRS8_SD_SD_SD_RKfSF_SF_SF_E_S8_SE_mLi1ELi1ELi4ELi512ELi2EEEvNS0_6detail10TensorInfoIT0_T2_EENSI_IT1_SK_EESK_T_
                                        ; -- End function
	.section	.AMDGPU.csdata,"",@progbits
; Kernel info:
; codeLenInByte = 2908
; NumSgprs: 71
; NumVgprs: 62
; NumAgprs: 0
; TotalNumVgprs: 62
; ScratchSize: 0
; MemoryBound: 0
; FloatMode: 240
; IeeeMode: 1
; LDSByteSize: 0 bytes/workgroup (compile time only)
; SGPRBlocks: 8
; VGPRBlocks: 7
; NumSGPRsForWavesPerEU: 71
; NumVGPRsForWavesPerEU: 62
; AccumOffset: 64
; Occupancy: 8
; WaveLimiterHint : 1
; COMPUTE_PGM_RSRC2:SCRATCH_EN: 0
; COMPUTE_PGM_RSRC2:USER_SGPR: 6
; COMPUTE_PGM_RSRC2:TRAP_HANDLER: 0
; COMPUTE_PGM_RSRC2:TGID_X_EN: 1
; COMPUTE_PGM_RSRC2:TGID_Y_EN: 0
; COMPUTE_PGM_RSRC2:TGID_Z_EN: 0
; COMPUTE_PGM_RSRC2:TIDIG_COMP_CNT: 0
; COMPUTE_PGM_RSRC3_GFX90A:ACCUM_OFFSET: 15
; COMPUTE_PGM_RSRC3_GFX90A:TG_SPLIT: 0
	.section	.text._ZN2at4cuda12_GLOBAL__N_121kernelPointwiseApply2IZNS_6native9templates4cuda28bernoulli_tensor_cuda_kernelIN3c104HalfEfEEvRKNS_10TensorBaseESB_NS_15PhiloxCudaStateEEUliRS8_SD_SD_SD_RKfSF_SF_SF_E_S8_SE_mLin1ELin1ELi4ELi512ELi2EEEvNS0_6detail10TensorInfoIT0_T2_EENSI_IT1_SK_EESK_T_,"axG",@progbits,_ZN2at4cuda12_GLOBAL__N_121kernelPointwiseApply2IZNS_6native9templates4cuda28bernoulli_tensor_cuda_kernelIN3c104HalfEfEEvRKNS_10TensorBaseESB_NS_15PhiloxCudaStateEEUliRS8_SD_SD_SD_RKfSF_SF_SF_E_S8_SE_mLin1ELin1ELi4ELi512ELi2EEEvNS0_6detail10TensorInfoIT0_T2_EENSI_IT1_SK_EESK_T_,comdat
	.globl	_ZN2at4cuda12_GLOBAL__N_121kernelPointwiseApply2IZNS_6native9templates4cuda28bernoulli_tensor_cuda_kernelIN3c104HalfEfEEvRKNS_10TensorBaseESB_NS_15PhiloxCudaStateEEUliRS8_SD_SD_SD_RKfSF_SF_SF_E_S8_SE_mLin1ELin1ELi4ELi512ELi2EEEvNS0_6detail10TensorInfoIT0_T2_EENSI_IT1_SK_EESK_T_ ; -- Begin function _ZN2at4cuda12_GLOBAL__N_121kernelPointwiseApply2IZNS_6native9templates4cuda28bernoulli_tensor_cuda_kernelIN3c104HalfEfEEvRKNS_10TensorBaseESB_NS_15PhiloxCudaStateEEUliRS8_SD_SD_SD_RKfSF_SF_SF_E_S8_SE_mLin1ELin1ELi4ELi512ELi2EEEvNS0_6detail10TensorInfoIT0_T2_EENSI_IT1_SK_EESK_T_
	.p2align	8
	.type	_ZN2at4cuda12_GLOBAL__N_121kernelPointwiseApply2IZNS_6native9templates4cuda28bernoulli_tensor_cuda_kernelIN3c104HalfEfEEvRKNS_10TensorBaseESB_NS_15PhiloxCudaStateEEUliRS8_SD_SD_SD_RKfSF_SF_SF_E_S8_SE_mLin1ELin1ELi4ELi512ELi2EEEvNS0_6detail10TensorInfoIT0_T2_EENSI_IT1_SK_EESK_T_,@function
_ZN2at4cuda12_GLOBAL__N_121kernelPointwiseApply2IZNS_6native9templates4cuda28bernoulli_tensor_cuda_kernelIN3c104HalfEfEEvRKNS_10TensorBaseESB_NS_15PhiloxCudaStateEEUliRS8_SD_SD_SD_RKfSF_SF_SF_E_S8_SE_mLin1ELin1ELi4ELi512ELi2EEEvNS0_6detail10TensorInfoIT0_T2_EENSI_IT1_SK_EESK_T_: ; @_ZN2at4cuda12_GLOBAL__N_121kernelPointwiseApply2IZNS_6native9templates4cuda28bernoulli_tensor_cuda_kernelIN3c104HalfEfEEvRKNS_10TensorBaseESB_NS_15PhiloxCudaStateEEUliRS8_SD_SD_SD_RKfSF_SF_SF_E_S8_SE_mLin1ELin1ELi4ELi512ELi2EEEvNS0_6detail10TensorInfoIT0_T2_EENSI_IT1_SK_EESK_T_
; %bb.0:
	s_load_dword s2, s[4:5], 0x374
	s_load_dwordx8 s[8:15], s[4:5], 0x340
	s_add_u32 s0, s4, 0x368
	s_addc_u32 s1, s5, 0
	v_mov_b32_e32 v2, 0
	s_waitcnt lgkmcnt(0)
	s_and_b32 s2, s2, 0xffff
	s_mul_i32 s6, s6, s2
	v_add_u32_e32 v7, s6, v0
	v_lshlrev_b32_e32 v0, 2, v7
	v_mov_b32_e32 v1, v2
	v_cmp_gt_u64_e32 vcc, s[8:9], v[0:1]
	s_and_saveexec_b64 s[6:7], vcc
	s_cbranch_execz .LBB98_114
; %bb.1:
	s_load_dword s0, s[0:1], 0x0
	s_add_u32 s6, s4, 0x1a0
	s_load_dword s7, s[4:5], 0x198
	s_load_dwordx2 s[20:21], s[4:5], 0x270
	s_addc_u32 s28, s5, 0
	s_waitcnt lgkmcnt(0)
	s_mul_i32 s29, s0, s2
	s_load_dword s2, s[4:5], 0x360
	s_load_dword s34, s[4:5], 0x338
	s_load_dwordx2 s[16:17], s[4:5], 0x1a0
	s_load_dwordx2 s[18:19], s[4:5], 0xd0
	;; [unrolled: 1-line block ×3, first 2 shown]
	s_cmp_gt_i32 s7, 1
	s_cselect_b64 s[0:1], -1, 0
	s_waitcnt lgkmcnt(0)
	s_cmp_gt_i32 s34, 1
	s_mov_b32 s33, 0xcd9e8d57
	s_cselect_b64 s[22:23], -1, 0
	s_bitcmp1_b32 s2, 0
	v_mad_u64_u32 v[4:5], s[2:3], v7, s33, 0
	s_mov_b32 s63, 0
	s_cselect_b64 s[26:27], -1, 0
	s_add_i32 s2, s7, -1
	s_mov_b32 s3, s63
	s_lshl_b32 s62, s29, 2
	s_add_i32 s64, s7, 1
	s_lshl_b64 s[2:3], s[2:3], 3
	s_add_u32 s2, s2, s4
	s_addc_u32 s3, s3, s5
	s_add_u32 s30, s2, 8
	s_addc_u32 s31, s3, 0
	s_add_i32 s2, s34, -1
	s_mov_b32 s3, s63
	s_add_i32 s65, s34, 1
	s_lshl_b64 s[2:3], s[2:3], 3
	s_add_u32 s2, s2, s6
	s_addc_u32 s3, s3, s28
	s_add_u32 s34, s2, 8
	v_mov_b32_e32 v6, v5
	s_addc_u32 s35, s3, 0
	s_mov_b64 s[36:37], 0
	v_cndmask_b32_e64 v5, 0, 1, s[0:1]
	s_mov_b32 s66, 0xd2511f53
	s_mov_b32 s67, 0xf1bbcdc8
	v_mov_b32_e32 v32, 0x3c00
                                        ; implicit-def: $sgpr38_sgpr39
                                        ; implicit-def: $sgpr40_sgpr41
                                        ; implicit-def: $sgpr42_sgpr43
                                        ; implicit-def: $sgpr28_sgpr29
                                        ; implicit-def: $sgpr44_sgpr45
                                        ; implicit-def: $sgpr46_sgpr47
                                        ; implicit-def: $sgpr48_sgpr49
                                        ; implicit-def: $sgpr50_sgpr51
	s_branch .LBB98_3
.LBB98_2:                               ;   in Loop: Header=BB98_3 Depth=1
	s_or_b64 exec, exec, s[2:3]
	s_and_b64 s[0:1], exec, s[0:1]
	s_or_b64 s[36:37], s[0:1], s[36:37]
	s_andn2_b64 s[0:1], s[28:29], exec
	s_and_b64 s[2:3], s[50:51], exec
	s_or_b64 s[28:29], s[0:1], s[2:3]
	s_andn2_b64 s[0:1], s[42:43], exec
	s_and_b64 s[2:3], s[48:49], exec
	;; [unrolled: 3-line block ×4, first 2 shown]
	s_or_b64 s[38:39], s[0:1], s[2:3]
	s_andn2_b64 exec, exec, s[36:37]
	s_cbranch_execz .LBB98_110
.LBB98_3:                               ; =>This Loop Header: Depth=1
                                        ;     Child Loop BB98_5 Depth 2
                                        ;     Child Loop BB98_14 Depth 2
	;; [unrolled: 1-line block ×8, first 2 shown]
	v_sub_u32_e32 v33, s8, v0
	v_cmp_lt_i32_e64 s[4:5], 0, v33
	v_pk_mov_b32 v[8:9], 0, 0
	v_cmp_ne_u32_e64 s[0:1], 1, v5
	s_and_saveexec_b64 s[6:7], s[4:5]
	s_cbranch_execz .LBB98_12
; %bb.4:                                ;   in Loop: Header=BB98_3 Depth=1
	s_and_b64 vcc, exec, s[0:1]
	v_pk_mov_b32 v[8:9], 0, 0
	s_mov_b64 s[52:53], s[30:31]
	s_mov_b32 s58, s64
	v_pk_mov_b32 v[10:11], v[0:1], v[0:1] op_sel:[0,1]
	v_pk_mov_b32 v[12:13], v[0:1], v[0:1] op_sel:[0,1]
	s_cbranch_vccnz .LBB98_11
.LBB98_5:                               ;   Parent Loop BB98_3 Depth=1
                                        ; =>  This Inner Loop Header: Depth=2
	s_load_dwordx2 s[54:55], s[52:53], 0x0
                                        ; implicit-def: $vgpr12_vgpr13
	s_waitcnt vmcnt(3) lgkmcnt(0)
	v_or_b32_e32 v3, s55, v11
	v_cmp_ne_u64_e32 vcc, 0, v[2:3]
	s_and_saveexec_b64 s[2:3], vcc
	s_xor_b64 s[56:57], exec, s[2:3]
	s_cbranch_execz .LBB98_7
; %bb.6:                                ;   in Loop: Header=BB98_5 Depth=2
	v_cvt_f32_u32_e32 v3, s54
	v_cvt_f32_u32_e32 v12, s55
	s_sub_u32 s2, 0, s54
	s_subb_u32 s3, 0, s55
	v_mac_f32_e32 v3, 0x4f800000, v12
	v_rcp_f32_e32 v3, v3
	v_mul_f32_e32 v3, 0x5f7ffffc, v3
	v_mul_f32_e32 v12, 0x2f800000, v3
	v_trunc_f32_e32 v12, v12
	v_mac_f32_e32 v3, 0xcf800000, v12
	v_cvt_u32_f32_e32 v12, v12
	v_cvt_u32_f32_e32 v3, v3
	v_mul_lo_u32 v13, s2, v12
	v_mul_hi_u32 v15, s2, v3
	v_mul_lo_u32 v14, s3, v3
	v_add_u32_e32 v13, v15, v13
	v_mul_lo_u32 v16, s2, v3
	v_add_u32_e32 v13, v13, v14
	v_mul_hi_u32 v15, v3, v16
	v_mul_lo_u32 v17, v3, v13
	v_mul_hi_u32 v14, v3, v13
	v_add_co_u32_e32 v15, vcc, v15, v17
	v_addc_co_u32_e32 v14, vcc, 0, v14, vcc
	v_mul_hi_u32 v18, v12, v16
	v_mul_lo_u32 v16, v12, v16
	v_add_co_u32_e32 v15, vcc, v15, v16
	v_mul_hi_u32 v17, v12, v13
	v_addc_co_u32_e32 v14, vcc, v14, v18, vcc
	v_addc_co_u32_e32 v15, vcc, 0, v17, vcc
	v_mul_lo_u32 v13, v12, v13
	v_add_co_u32_e32 v13, vcc, v14, v13
	v_addc_co_u32_e32 v14, vcc, 0, v15, vcc
	v_add_co_u32_e32 v3, vcc, v3, v13
	v_addc_co_u32_e32 v12, vcc, v12, v14, vcc
	v_mul_lo_u32 v13, s2, v12
	v_mul_hi_u32 v14, s2, v3
	v_add_u32_e32 v13, v14, v13
	v_mul_lo_u32 v14, s3, v3
	v_add_u32_e32 v13, v13, v14
	v_mul_lo_u32 v15, s2, v3
	v_mul_hi_u32 v16, v12, v15
	v_mul_lo_u32 v17, v12, v15
	v_mul_lo_u32 v19, v3, v13
	v_mul_hi_u32 v15, v3, v15
	v_mul_hi_u32 v18, v3, v13
	v_add_co_u32_e32 v15, vcc, v15, v19
	v_addc_co_u32_e32 v18, vcc, 0, v18, vcc
	v_add_co_u32_e32 v15, vcc, v15, v17
	v_mul_hi_u32 v14, v12, v13
	v_addc_co_u32_e32 v15, vcc, v18, v16, vcc
	v_addc_co_u32_e32 v14, vcc, 0, v14, vcc
	v_mul_lo_u32 v13, v12, v13
	v_add_co_u32_e32 v13, vcc, v15, v13
	v_addc_co_u32_e32 v14, vcc, 0, v14, vcc
	v_add_co_u32_e32 v3, vcc, v3, v13
	v_addc_co_u32_e32 v14, vcc, v12, v14, vcc
	v_mad_u64_u32 v[12:13], s[2:3], v10, v14, 0
	v_mul_hi_u32 v15, v10, v3
	v_add_co_u32_e32 v16, vcc, v15, v12
	v_addc_co_u32_e32 v17, vcc, 0, v13, vcc
	v_mad_u64_u32 v[12:13], s[2:3], v11, v14, 0
	v_mad_u64_u32 v[14:15], s[2:3], v11, v3, 0
	v_add_co_u32_e32 v3, vcc, v16, v14
	v_addc_co_u32_e32 v3, vcc, v17, v15, vcc
	v_addc_co_u32_e32 v13, vcc, 0, v13, vcc
	v_add_co_u32_e32 v3, vcc, v3, v12
	v_addc_co_u32_e32 v14, vcc, 0, v13, vcc
	v_mul_lo_u32 v15, s55, v3
	v_mul_lo_u32 v16, s54, v14
	v_mad_u64_u32 v[12:13], s[2:3], s54, v3, 0
	v_add3_u32 v13, v13, v16, v15
	v_sub_u32_e32 v15, v11, v13
	v_mov_b32_e32 v16, s55
	v_sub_co_u32_e32 v12, vcc, v10, v12
	v_subb_co_u32_e64 v15, s[2:3], v15, v16, vcc
	v_subrev_co_u32_e64 v16, s[2:3], s54, v12
	v_subbrev_co_u32_e64 v15, s[2:3], 0, v15, s[2:3]
	v_cmp_le_u32_e64 s[2:3], s55, v15
	v_cndmask_b32_e64 v17, 0, -1, s[2:3]
	v_cmp_le_u32_e64 s[2:3], s54, v16
	v_cndmask_b32_e64 v16, 0, -1, s[2:3]
	v_cmp_eq_u32_e64 s[2:3], s55, v15
	v_cndmask_b32_e64 v15, v17, v16, s[2:3]
	v_add_co_u32_e64 v16, s[2:3], 2, v3
	v_addc_co_u32_e64 v17, s[2:3], 0, v14, s[2:3]
	v_add_co_u32_e64 v18, s[2:3], 1, v3
	v_addc_co_u32_e64 v19, s[2:3], 0, v14, s[2:3]
	v_subb_co_u32_e32 v13, vcc, v11, v13, vcc
	v_cmp_ne_u32_e64 s[2:3], 0, v15
	v_cmp_le_u32_e32 vcc, s55, v13
	v_cndmask_b32_e64 v15, v19, v17, s[2:3]
	v_cndmask_b32_e64 v17, 0, -1, vcc
	v_cmp_le_u32_e32 vcc, s54, v12
	v_cndmask_b32_e64 v12, 0, -1, vcc
	v_cmp_eq_u32_e32 vcc, s55, v13
	v_cndmask_b32_e32 v12, v17, v12, vcc
	v_cmp_ne_u32_e32 vcc, 0, v12
	v_cndmask_b32_e64 v12, v18, v16, s[2:3]
	v_cndmask_b32_e32 v13, v14, v15, vcc
	v_cndmask_b32_e32 v12, v3, v12, vcc
.LBB98_7:                               ;   in Loop: Header=BB98_5 Depth=2
	s_andn2_saveexec_b64 s[2:3], s[56:57]
	s_cbranch_execz .LBB98_9
; %bb.8:                                ;   in Loop: Header=BB98_5 Depth=2
	v_cvt_f32_u32_e32 v3, s54
	s_sub_i32 s56, 0, s54
	v_rcp_iflag_f32_e32 v3, v3
	v_mul_f32_e32 v3, 0x4f7ffffe, v3
	v_cvt_u32_f32_e32 v3, v3
	v_mul_lo_u32 v12, s56, v3
	v_mul_hi_u32 v12, v3, v12
	v_add_u32_e32 v3, v3, v12
	v_mul_hi_u32 v3, v10, v3
	v_mul_lo_u32 v12, v3, s54
	v_sub_u32_e32 v12, v10, v12
	v_add_u32_e32 v13, 1, v3
	v_subrev_u32_e32 v14, s54, v12
	v_cmp_le_u32_e32 vcc, s54, v12
	v_cndmask_b32_e32 v12, v12, v14, vcc
	v_cndmask_b32_e32 v3, v3, v13, vcc
	v_add_u32_e32 v13, 1, v3
	v_cmp_le_u32_e32 vcc, s54, v12
	v_cndmask_b32_e32 v12, v3, v13, vcc
	v_mov_b32_e32 v13, v2
.LBB98_9:                               ;   in Loop: Header=BB98_5 Depth=2
	s_or_b64 exec, exec, s[2:3]
	v_mad_u64_u32 v[14:15], s[2:3], v12, s54, 0
	s_load_dwordx2 s[2:3], s[52:53], 0xc8
	v_mul_lo_u32 v3, v13, s54
	v_mul_lo_u32 v16, v12, s55
	v_add3_u32 v3, v15, v16, v3
	v_sub_co_u32_e32 v10, vcc, v10, v14
	s_add_i32 s58, s58, -1
	v_subb_co_u32_e32 v3, vcc, v11, v3, vcc
	s_add_u32 s52, s52, -8
	s_waitcnt lgkmcnt(0)
	v_mul_lo_u32 v3, s2, v3
	v_mul_lo_u32 v11, s3, v10
	v_mad_u64_u32 v[8:9], s[2:3], s2, v10, v[8:9]
	s_addc_u32 s53, s53, -1
	s_cmp_gt_u32 s58, 2
	v_add3_u32 v9, v11, v9, v3
	s_cbranch_scc0 .LBB98_11
; %bb.10:                               ;   in Loop: Header=BB98_5 Depth=2
	v_pk_mov_b32 v[10:11], v[12:13], v[12:13] op_sel:[0,1]
	s_branch .LBB98_5
.LBB98_11:                              ;   in Loop: Header=BB98_3 Depth=1
	v_mad_u64_u32 v[8:9], s[2:3], s18, v12, v[8:9]
	s_waitcnt vmcnt(3)
	v_mul_lo_u32 v3, s18, v13
	v_mul_lo_u32 v10, s19, v12
	v_add3_u32 v9, v10, v9, v3
.LBB98_12:                              ;   in Loop: Header=BB98_3 Depth=1
	s_or_b64 exec, exec, s[6:7]
	s_waitcnt vmcnt(3)
	v_cndmask_b32_e64 v3, 0, 1, s[22:23]
	v_pk_mov_b32 v[12:13], 0, 0
	v_cmp_ne_u32_e64 s[2:3], 1, v3
	s_and_saveexec_b64 s[6:7], s[4:5]
	s_cbranch_execz .LBB98_21
; %bb.13:                               ;   in Loop: Header=BB98_3 Depth=1
	s_and_b64 vcc, exec, s[2:3]
	v_pk_mov_b32 v[10:11], 0, 0
	s_mov_b64 s[52:53], s[34:35]
	s_mov_b32 s58, s65
	v_pk_mov_b32 v[12:13], v[0:1], v[0:1] op_sel:[0,1]
	v_pk_mov_b32 v[14:15], v[0:1], v[0:1] op_sel:[0,1]
	s_cbranch_vccnz .LBB98_20
.LBB98_14:                              ;   Parent Loop BB98_3 Depth=1
                                        ; =>  This Inner Loop Header: Depth=2
	s_load_dwordx2 s[54:55], s[52:53], 0x0
                                        ; implicit-def: $vgpr14_vgpr15
	s_waitcnt lgkmcnt(0)
	v_or_b32_e32 v3, s55, v13
	v_cmp_ne_u64_e32 vcc, 0, v[2:3]
	s_and_saveexec_b64 s[4:5], vcc
	s_xor_b64 s[56:57], exec, s[4:5]
	s_cbranch_execz .LBB98_16
; %bb.15:                               ;   in Loop: Header=BB98_14 Depth=2
	v_cvt_f32_u32_e32 v3, s54
	v_cvt_f32_u32_e32 v14, s55
	s_sub_u32 s4, 0, s54
	s_subb_u32 s5, 0, s55
	v_mac_f32_e32 v3, 0x4f800000, v14
	v_rcp_f32_e32 v3, v3
	v_mul_f32_e32 v3, 0x5f7ffffc, v3
	v_mul_f32_e32 v14, 0x2f800000, v3
	v_trunc_f32_e32 v14, v14
	v_mac_f32_e32 v3, 0xcf800000, v14
	v_cvt_u32_f32_e32 v14, v14
	v_cvt_u32_f32_e32 v3, v3
	v_mul_lo_u32 v15, s4, v14
	v_mul_hi_u32 v17, s4, v3
	v_mul_lo_u32 v16, s5, v3
	v_add_u32_e32 v15, v17, v15
	v_mul_lo_u32 v18, s4, v3
	v_add_u32_e32 v15, v15, v16
	v_mul_hi_u32 v17, v3, v18
	v_mul_lo_u32 v19, v3, v15
	v_mul_hi_u32 v16, v3, v15
	v_add_co_u32_e32 v17, vcc, v17, v19
	v_addc_co_u32_e32 v16, vcc, 0, v16, vcc
	v_mul_hi_u32 v20, v14, v18
	v_mul_lo_u32 v18, v14, v18
	v_add_co_u32_e32 v17, vcc, v17, v18
	v_mul_hi_u32 v19, v14, v15
	v_addc_co_u32_e32 v16, vcc, v16, v20, vcc
	v_addc_co_u32_e32 v17, vcc, 0, v19, vcc
	v_mul_lo_u32 v15, v14, v15
	v_add_co_u32_e32 v15, vcc, v16, v15
	v_addc_co_u32_e32 v16, vcc, 0, v17, vcc
	v_add_co_u32_e32 v3, vcc, v3, v15
	v_addc_co_u32_e32 v14, vcc, v14, v16, vcc
	v_mul_lo_u32 v15, s4, v14
	v_mul_hi_u32 v16, s4, v3
	v_add_u32_e32 v15, v16, v15
	v_mul_lo_u32 v16, s5, v3
	v_add_u32_e32 v15, v15, v16
	v_mul_lo_u32 v17, s4, v3
	v_mul_hi_u32 v18, v14, v17
	v_mul_lo_u32 v19, v14, v17
	v_mul_lo_u32 v21, v3, v15
	v_mul_hi_u32 v17, v3, v17
	v_mul_hi_u32 v20, v3, v15
	v_add_co_u32_e32 v17, vcc, v17, v21
	v_addc_co_u32_e32 v20, vcc, 0, v20, vcc
	v_add_co_u32_e32 v17, vcc, v17, v19
	v_mul_hi_u32 v16, v14, v15
	v_addc_co_u32_e32 v17, vcc, v20, v18, vcc
	v_addc_co_u32_e32 v16, vcc, 0, v16, vcc
	v_mul_lo_u32 v15, v14, v15
	v_add_co_u32_e32 v15, vcc, v17, v15
	v_addc_co_u32_e32 v16, vcc, 0, v16, vcc
	v_add_co_u32_e32 v3, vcc, v3, v15
	v_addc_co_u32_e32 v16, vcc, v14, v16, vcc
	v_mad_u64_u32 v[14:15], s[4:5], v12, v16, 0
	v_mul_hi_u32 v17, v12, v3
	v_add_co_u32_e32 v18, vcc, v17, v14
	v_addc_co_u32_e32 v19, vcc, 0, v15, vcc
	v_mad_u64_u32 v[14:15], s[4:5], v13, v16, 0
	v_mad_u64_u32 v[16:17], s[4:5], v13, v3, 0
	v_add_co_u32_e32 v3, vcc, v18, v16
	v_addc_co_u32_e32 v3, vcc, v19, v17, vcc
	v_addc_co_u32_e32 v15, vcc, 0, v15, vcc
	v_add_co_u32_e32 v3, vcc, v3, v14
	v_addc_co_u32_e32 v16, vcc, 0, v15, vcc
	v_mul_lo_u32 v17, s55, v3
	v_mul_lo_u32 v18, s54, v16
	v_mad_u64_u32 v[14:15], s[4:5], s54, v3, 0
	v_add3_u32 v15, v15, v18, v17
	v_sub_u32_e32 v17, v13, v15
	v_mov_b32_e32 v18, s55
	v_sub_co_u32_e32 v14, vcc, v12, v14
	v_subb_co_u32_e64 v17, s[4:5], v17, v18, vcc
	v_subrev_co_u32_e64 v18, s[4:5], s54, v14
	v_subbrev_co_u32_e64 v17, s[4:5], 0, v17, s[4:5]
	v_cmp_le_u32_e64 s[4:5], s55, v17
	v_cndmask_b32_e64 v19, 0, -1, s[4:5]
	v_cmp_le_u32_e64 s[4:5], s54, v18
	v_cndmask_b32_e64 v18, 0, -1, s[4:5]
	v_cmp_eq_u32_e64 s[4:5], s55, v17
	v_cndmask_b32_e64 v17, v19, v18, s[4:5]
	v_add_co_u32_e64 v18, s[4:5], 2, v3
	v_addc_co_u32_e64 v19, s[4:5], 0, v16, s[4:5]
	v_add_co_u32_e64 v20, s[4:5], 1, v3
	v_addc_co_u32_e64 v21, s[4:5], 0, v16, s[4:5]
	v_subb_co_u32_e32 v15, vcc, v13, v15, vcc
	v_cmp_ne_u32_e64 s[4:5], 0, v17
	v_cmp_le_u32_e32 vcc, s55, v15
	v_cndmask_b32_e64 v17, v21, v19, s[4:5]
	v_cndmask_b32_e64 v19, 0, -1, vcc
	v_cmp_le_u32_e32 vcc, s54, v14
	v_cndmask_b32_e64 v14, 0, -1, vcc
	v_cmp_eq_u32_e32 vcc, s55, v15
	v_cndmask_b32_e32 v14, v19, v14, vcc
	v_cmp_ne_u32_e32 vcc, 0, v14
	v_cndmask_b32_e64 v14, v20, v18, s[4:5]
	v_cndmask_b32_e32 v15, v16, v17, vcc
	v_cndmask_b32_e32 v14, v3, v14, vcc
.LBB98_16:                              ;   in Loop: Header=BB98_14 Depth=2
	s_andn2_saveexec_b64 s[4:5], s[56:57]
	s_cbranch_execz .LBB98_18
; %bb.17:                               ;   in Loop: Header=BB98_14 Depth=2
	v_cvt_f32_u32_e32 v3, s54
	s_sub_i32 s56, 0, s54
	v_rcp_iflag_f32_e32 v3, v3
	v_mul_f32_e32 v3, 0x4f7ffffe, v3
	v_cvt_u32_f32_e32 v3, v3
	v_mul_lo_u32 v14, s56, v3
	v_mul_hi_u32 v14, v3, v14
	v_add_u32_e32 v3, v3, v14
	v_mul_hi_u32 v3, v12, v3
	v_mul_lo_u32 v14, v3, s54
	v_sub_u32_e32 v14, v12, v14
	v_add_u32_e32 v15, 1, v3
	v_subrev_u32_e32 v16, s54, v14
	v_cmp_le_u32_e32 vcc, s54, v14
	v_cndmask_b32_e32 v14, v14, v16, vcc
	v_cndmask_b32_e32 v3, v3, v15, vcc
	v_add_u32_e32 v15, 1, v3
	v_cmp_le_u32_e32 vcc, s54, v14
	v_cndmask_b32_e32 v14, v3, v15, vcc
	v_mov_b32_e32 v15, v2
.LBB98_18:                              ;   in Loop: Header=BB98_14 Depth=2
	s_or_b64 exec, exec, s[4:5]
	v_mad_u64_u32 v[16:17], s[4:5], v14, s54, 0
	s_load_dwordx2 s[4:5], s[52:53], 0xc8
	v_mul_lo_u32 v3, v15, s54
	v_mul_lo_u32 v18, v14, s55
	v_add3_u32 v3, v17, v18, v3
	v_sub_co_u32_e32 v12, vcc, v12, v16
	s_add_i32 s58, s58, -1
	v_subb_co_u32_e32 v3, vcc, v13, v3, vcc
	s_add_u32 s52, s52, -8
	s_waitcnt lgkmcnt(0)
	v_mul_lo_u32 v3, s4, v3
	v_mul_lo_u32 v13, s5, v12
	v_mad_u64_u32 v[10:11], s[4:5], s4, v12, v[10:11]
	s_addc_u32 s53, s53, -1
	s_cmp_gt_u32 s58, 2
	v_add3_u32 v11, v13, v11, v3
	s_cbranch_scc0 .LBB98_20
; %bb.19:                               ;   in Loop: Header=BB98_14 Depth=2
	v_pk_mov_b32 v[12:13], v[14:15], v[14:15] op_sel:[0,1]
	s_branch .LBB98_14
.LBB98_20:                              ;   in Loop: Header=BB98_3 Depth=1
	v_mad_u64_u32 v[12:13], s[4:5], s20, v14, v[10:11]
	v_mul_lo_u32 v3, s20, v15
	v_mul_lo_u32 v10, s21, v14
	v_add3_u32 v13, v10, v13, v3
.LBB98_21:                              ;   in Loop: Header=BB98_3 Depth=1
	s_or_b64 exec, exec, s[6:7]
	v_or_b32_e32 v14, 1, v0
	v_mov_b32_e32 v15, v1
	v_cmp_lt_i32_e64 s[4:5], 1, v33
	v_pk_mov_b32 v[10:11], 0, 0
	s_and_saveexec_b64 s[52:53], s[4:5]
	s_cbranch_execz .LBB98_30
; %bb.22:                               ;   in Loop: Header=BB98_3 Depth=1
	s_and_b64 vcc, exec, s[0:1]
	v_pk_mov_b32 v[10:11], 0, 0
	s_mov_b64 s[54:55], s[30:31]
	s_mov_b32 s60, s64
	v_pk_mov_b32 v[16:17], v[14:15], v[14:15] op_sel:[0,1]
	v_pk_mov_b32 v[18:19], v[14:15], v[14:15] op_sel:[0,1]
	s_cbranch_vccnz .LBB98_29
.LBB98_23:                              ;   Parent Loop BB98_3 Depth=1
                                        ; =>  This Inner Loop Header: Depth=2
	s_load_dwordx2 s[56:57], s[54:55], 0x0
                                        ; implicit-def: $vgpr18_vgpr19
	s_waitcnt lgkmcnt(0)
	v_or_b32_e32 v3, s57, v17
	v_cmp_ne_u64_e32 vcc, 0, v[2:3]
	s_and_saveexec_b64 s[6:7], vcc
	s_xor_b64 s[58:59], exec, s[6:7]
	s_cbranch_execz .LBB98_25
; %bb.24:                               ;   in Loop: Header=BB98_23 Depth=2
	v_cvt_f32_u32_e32 v3, s56
	v_cvt_f32_u32_e32 v18, s57
	s_sub_u32 s6, 0, s56
	s_subb_u32 s7, 0, s57
	v_mac_f32_e32 v3, 0x4f800000, v18
	v_rcp_f32_e32 v3, v3
	v_mul_f32_e32 v3, 0x5f7ffffc, v3
	v_mul_f32_e32 v18, 0x2f800000, v3
	v_trunc_f32_e32 v18, v18
	v_mac_f32_e32 v3, 0xcf800000, v18
	v_cvt_u32_f32_e32 v18, v18
	v_cvt_u32_f32_e32 v3, v3
	v_mul_lo_u32 v19, s6, v18
	v_mul_hi_u32 v21, s6, v3
	v_mul_lo_u32 v20, s7, v3
	v_add_u32_e32 v19, v21, v19
	v_mul_lo_u32 v22, s6, v3
	v_add_u32_e32 v19, v19, v20
	v_mul_hi_u32 v21, v3, v22
	v_mul_lo_u32 v23, v3, v19
	v_mul_hi_u32 v20, v3, v19
	v_add_co_u32_e32 v21, vcc, v21, v23
	v_addc_co_u32_e32 v20, vcc, 0, v20, vcc
	v_mul_hi_u32 v24, v18, v22
	v_mul_lo_u32 v22, v18, v22
	v_add_co_u32_e32 v21, vcc, v21, v22
	v_mul_hi_u32 v23, v18, v19
	v_addc_co_u32_e32 v20, vcc, v20, v24, vcc
	v_addc_co_u32_e32 v21, vcc, 0, v23, vcc
	v_mul_lo_u32 v19, v18, v19
	v_add_co_u32_e32 v19, vcc, v20, v19
	v_addc_co_u32_e32 v20, vcc, 0, v21, vcc
	v_add_co_u32_e32 v3, vcc, v3, v19
	v_addc_co_u32_e32 v18, vcc, v18, v20, vcc
	v_mul_lo_u32 v19, s6, v18
	v_mul_hi_u32 v20, s6, v3
	v_add_u32_e32 v19, v20, v19
	v_mul_lo_u32 v20, s7, v3
	v_add_u32_e32 v19, v19, v20
	v_mul_lo_u32 v21, s6, v3
	v_mul_hi_u32 v22, v18, v21
	v_mul_lo_u32 v23, v18, v21
	v_mul_lo_u32 v25, v3, v19
	v_mul_hi_u32 v21, v3, v21
	v_mul_hi_u32 v24, v3, v19
	v_add_co_u32_e32 v21, vcc, v21, v25
	v_addc_co_u32_e32 v24, vcc, 0, v24, vcc
	v_add_co_u32_e32 v21, vcc, v21, v23
	v_mul_hi_u32 v20, v18, v19
	v_addc_co_u32_e32 v21, vcc, v24, v22, vcc
	v_addc_co_u32_e32 v20, vcc, 0, v20, vcc
	v_mul_lo_u32 v19, v18, v19
	v_add_co_u32_e32 v19, vcc, v21, v19
	v_addc_co_u32_e32 v20, vcc, 0, v20, vcc
	v_add_co_u32_e32 v3, vcc, v3, v19
	v_addc_co_u32_e32 v20, vcc, v18, v20, vcc
	v_mad_u64_u32 v[18:19], s[6:7], v16, v20, 0
	v_mul_hi_u32 v21, v16, v3
	v_add_co_u32_e32 v22, vcc, v21, v18
	v_addc_co_u32_e32 v23, vcc, 0, v19, vcc
	v_mad_u64_u32 v[18:19], s[6:7], v17, v20, 0
	v_mad_u64_u32 v[20:21], s[6:7], v17, v3, 0
	v_add_co_u32_e32 v3, vcc, v22, v20
	v_addc_co_u32_e32 v3, vcc, v23, v21, vcc
	v_addc_co_u32_e32 v19, vcc, 0, v19, vcc
	v_add_co_u32_e32 v3, vcc, v3, v18
	v_addc_co_u32_e32 v20, vcc, 0, v19, vcc
	v_mul_lo_u32 v21, s57, v3
	v_mul_lo_u32 v22, s56, v20
	v_mad_u64_u32 v[18:19], s[6:7], s56, v3, 0
	v_add3_u32 v19, v19, v22, v21
	v_sub_u32_e32 v21, v17, v19
	v_mov_b32_e32 v22, s57
	v_sub_co_u32_e32 v18, vcc, v16, v18
	v_subb_co_u32_e64 v21, s[6:7], v21, v22, vcc
	v_subrev_co_u32_e64 v22, s[6:7], s56, v18
	v_subbrev_co_u32_e64 v21, s[6:7], 0, v21, s[6:7]
	v_cmp_le_u32_e64 s[6:7], s57, v21
	v_cndmask_b32_e64 v23, 0, -1, s[6:7]
	v_cmp_le_u32_e64 s[6:7], s56, v22
	v_cndmask_b32_e64 v22, 0, -1, s[6:7]
	v_cmp_eq_u32_e64 s[6:7], s57, v21
	v_cndmask_b32_e64 v21, v23, v22, s[6:7]
	v_add_co_u32_e64 v22, s[6:7], 2, v3
	v_addc_co_u32_e64 v23, s[6:7], 0, v20, s[6:7]
	v_add_co_u32_e64 v24, s[6:7], 1, v3
	v_addc_co_u32_e64 v25, s[6:7], 0, v20, s[6:7]
	v_subb_co_u32_e32 v19, vcc, v17, v19, vcc
	v_cmp_ne_u32_e64 s[6:7], 0, v21
	v_cmp_le_u32_e32 vcc, s57, v19
	v_cndmask_b32_e64 v21, v25, v23, s[6:7]
	v_cndmask_b32_e64 v23, 0, -1, vcc
	v_cmp_le_u32_e32 vcc, s56, v18
	v_cndmask_b32_e64 v18, 0, -1, vcc
	v_cmp_eq_u32_e32 vcc, s57, v19
	v_cndmask_b32_e32 v18, v23, v18, vcc
	v_cmp_ne_u32_e32 vcc, 0, v18
	v_cndmask_b32_e64 v18, v24, v22, s[6:7]
	v_cndmask_b32_e32 v19, v20, v21, vcc
	v_cndmask_b32_e32 v18, v3, v18, vcc
.LBB98_25:                              ;   in Loop: Header=BB98_23 Depth=2
	s_andn2_saveexec_b64 s[6:7], s[58:59]
	s_cbranch_execz .LBB98_27
; %bb.26:                               ;   in Loop: Header=BB98_23 Depth=2
	v_cvt_f32_u32_e32 v3, s56
	s_sub_i32 s58, 0, s56
	v_rcp_iflag_f32_e32 v3, v3
	v_mul_f32_e32 v3, 0x4f7ffffe, v3
	v_cvt_u32_f32_e32 v3, v3
	v_mul_lo_u32 v18, s58, v3
	v_mul_hi_u32 v18, v3, v18
	v_add_u32_e32 v3, v3, v18
	v_mul_hi_u32 v3, v16, v3
	v_mul_lo_u32 v18, v3, s56
	v_sub_u32_e32 v18, v16, v18
	v_add_u32_e32 v19, 1, v3
	v_subrev_u32_e32 v20, s56, v18
	v_cmp_le_u32_e32 vcc, s56, v18
	v_cndmask_b32_e32 v18, v18, v20, vcc
	v_cndmask_b32_e32 v3, v3, v19, vcc
	v_add_u32_e32 v19, 1, v3
	v_cmp_le_u32_e32 vcc, s56, v18
	v_cndmask_b32_e32 v18, v3, v19, vcc
	v_mov_b32_e32 v19, v2
.LBB98_27:                              ;   in Loop: Header=BB98_23 Depth=2
	s_or_b64 exec, exec, s[6:7]
	v_mad_u64_u32 v[20:21], s[6:7], v18, s56, 0
	s_load_dwordx2 s[6:7], s[54:55], 0xc8
	v_mul_lo_u32 v3, v19, s56
	v_mul_lo_u32 v22, v18, s57
	v_add3_u32 v3, v21, v22, v3
	v_sub_co_u32_e32 v16, vcc, v16, v20
	s_add_i32 s60, s60, -1
	v_subb_co_u32_e32 v3, vcc, v17, v3, vcc
	s_add_u32 s54, s54, -8
	s_waitcnt lgkmcnt(0)
	v_mul_lo_u32 v3, s6, v3
	v_mul_lo_u32 v17, s7, v16
	v_mad_u64_u32 v[10:11], s[6:7], s6, v16, v[10:11]
	s_addc_u32 s55, s55, -1
	s_cmp_gt_u32 s60, 2
	v_add3_u32 v11, v17, v11, v3
	s_cbranch_scc0 .LBB98_29
; %bb.28:                               ;   in Loop: Header=BB98_23 Depth=2
	v_pk_mov_b32 v[16:17], v[18:19], v[18:19] op_sel:[0,1]
	s_branch .LBB98_23
.LBB98_29:                              ;   in Loop: Header=BB98_3 Depth=1
	v_mad_u64_u32 v[10:11], s[6:7], s18, v18, v[10:11]
	v_mul_lo_u32 v3, s18, v19
	v_mul_lo_u32 v16, s19, v18
	v_add3_u32 v11, v16, v11, v3
.LBB98_30:                              ;   in Loop: Header=BB98_3 Depth=1
	s_or_b64 exec, exec, s[52:53]
	v_pk_mov_b32 v[16:17], 0, 0
	s_and_saveexec_b64 s[6:7], s[4:5]
	s_cbranch_execz .LBB98_33
; %bb.31:                               ;   in Loop: Header=BB98_3 Depth=1
	s_and_b64 vcc, exec, s[2:3]
	v_pk_mov_b32 v[16:17], 0, 0
	s_mov_b64 s[52:53], s[34:35]
	s_mov_b32 s58, s65
	s_cbranch_vccz .LBB98_42
.LBB98_32:                              ;   in Loop: Header=BB98_3 Depth=1
	v_mad_u64_u32 v[16:17], s[4:5], s20, v14, v[16:17]
	v_mul_lo_u32 v3, s20, v15
	v_mul_lo_u32 v14, s21, v14
	v_add3_u32 v17, v14, v17, v3
.LBB98_33:                              ;   in Loop: Header=BB98_3 Depth=1
	s_or_b64 exec, exec, s[6:7]
	v_or_b32_e32 v18, 2, v0
	v_mov_b32_e32 v19, v1
	v_cmp_lt_i32_e64 s[4:5], 2, v33
	v_pk_mov_b32 v[14:15], 0, 0
	s_and_saveexec_b64 s[52:53], s[4:5]
	s_cbranch_execz .LBB98_47
; %bb.34:                               ;   in Loop: Header=BB98_3 Depth=1
	s_and_b64 vcc, exec, s[0:1]
	v_pk_mov_b32 v[14:15], 0, 0
	s_mov_b64 s[54:55], s[30:31]
	s_mov_b32 s60, s64
	v_pk_mov_b32 v[20:21], v[18:19], v[18:19] op_sel:[0,1]
	v_pk_mov_b32 v[22:23], v[18:19], v[18:19] op_sel:[0,1]
	s_cbranch_vccnz .LBB98_46
.LBB98_35:                              ;   Parent Loop BB98_3 Depth=1
                                        ; =>  This Inner Loop Header: Depth=2
	s_load_dwordx2 s[56:57], s[54:55], 0x0
                                        ; implicit-def: $vgpr22_vgpr23
	s_waitcnt lgkmcnt(0)
	v_or_b32_e32 v3, s57, v21
	v_cmp_ne_u64_e32 vcc, 0, v[2:3]
	s_and_saveexec_b64 s[6:7], vcc
	s_xor_b64 s[58:59], exec, s[6:7]
	s_cbranch_execz .LBB98_37
; %bb.36:                               ;   in Loop: Header=BB98_35 Depth=2
	v_cvt_f32_u32_e32 v3, s56
	v_cvt_f32_u32_e32 v22, s57
	s_sub_u32 s6, 0, s56
	s_subb_u32 s7, 0, s57
	v_mac_f32_e32 v3, 0x4f800000, v22
	v_rcp_f32_e32 v3, v3
	v_mul_f32_e32 v3, 0x5f7ffffc, v3
	v_mul_f32_e32 v22, 0x2f800000, v3
	v_trunc_f32_e32 v22, v22
	v_mac_f32_e32 v3, 0xcf800000, v22
	v_cvt_u32_f32_e32 v22, v22
	v_cvt_u32_f32_e32 v3, v3
	v_mul_lo_u32 v23, s6, v22
	v_mul_hi_u32 v25, s6, v3
	v_mul_lo_u32 v24, s7, v3
	v_add_u32_e32 v23, v25, v23
	v_mul_lo_u32 v26, s6, v3
	v_add_u32_e32 v23, v23, v24
	v_mul_hi_u32 v25, v3, v26
	v_mul_lo_u32 v27, v3, v23
	v_mul_hi_u32 v24, v3, v23
	v_add_co_u32_e32 v25, vcc, v25, v27
	v_addc_co_u32_e32 v24, vcc, 0, v24, vcc
	v_mul_hi_u32 v28, v22, v26
	v_mul_lo_u32 v26, v22, v26
	v_add_co_u32_e32 v25, vcc, v25, v26
	v_mul_hi_u32 v27, v22, v23
	v_addc_co_u32_e32 v24, vcc, v24, v28, vcc
	v_addc_co_u32_e32 v25, vcc, 0, v27, vcc
	v_mul_lo_u32 v23, v22, v23
	v_add_co_u32_e32 v23, vcc, v24, v23
	v_addc_co_u32_e32 v24, vcc, 0, v25, vcc
	v_add_co_u32_e32 v3, vcc, v3, v23
	v_addc_co_u32_e32 v22, vcc, v22, v24, vcc
	v_mul_lo_u32 v23, s6, v22
	v_mul_hi_u32 v24, s6, v3
	v_add_u32_e32 v23, v24, v23
	v_mul_lo_u32 v24, s7, v3
	v_add_u32_e32 v23, v23, v24
	v_mul_lo_u32 v25, s6, v3
	v_mul_hi_u32 v26, v22, v25
	v_mul_lo_u32 v27, v22, v25
	v_mul_lo_u32 v29, v3, v23
	v_mul_hi_u32 v25, v3, v25
	v_mul_hi_u32 v28, v3, v23
	v_add_co_u32_e32 v25, vcc, v25, v29
	v_addc_co_u32_e32 v28, vcc, 0, v28, vcc
	v_add_co_u32_e32 v25, vcc, v25, v27
	v_mul_hi_u32 v24, v22, v23
	v_addc_co_u32_e32 v25, vcc, v28, v26, vcc
	v_addc_co_u32_e32 v24, vcc, 0, v24, vcc
	v_mul_lo_u32 v23, v22, v23
	v_add_co_u32_e32 v23, vcc, v25, v23
	v_addc_co_u32_e32 v24, vcc, 0, v24, vcc
	v_add_co_u32_e32 v3, vcc, v3, v23
	v_addc_co_u32_e32 v24, vcc, v22, v24, vcc
	v_mad_u64_u32 v[22:23], s[6:7], v20, v24, 0
	v_mul_hi_u32 v25, v20, v3
	v_add_co_u32_e32 v26, vcc, v25, v22
	v_addc_co_u32_e32 v27, vcc, 0, v23, vcc
	v_mad_u64_u32 v[22:23], s[6:7], v21, v24, 0
	v_mad_u64_u32 v[24:25], s[6:7], v21, v3, 0
	v_add_co_u32_e32 v3, vcc, v26, v24
	v_addc_co_u32_e32 v3, vcc, v27, v25, vcc
	v_addc_co_u32_e32 v23, vcc, 0, v23, vcc
	v_add_co_u32_e32 v3, vcc, v3, v22
	v_addc_co_u32_e32 v24, vcc, 0, v23, vcc
	v_mul_lo_u32 v25, s57, v3
	v_mul_lo_u32 v26, s56, v24
	v_mad_u64_u32 v[22:23], s[6:7], s56, v3, 0
	v_add3_u32 v23, v23, v26, v25
	v_sub_u32_e32 v25, v21, v23
	v_mov_b32_e32 v26, s57
	v_sub_co_u32_e32 v22, vcc, v20, v22
	v_subb_co_u32_e64 v25, s[6:7], v25, v26, vcc
	v_subrev_co_u32_e64 v26, s[6:7], s56, v22
	v_subbrev_co_u32_e64 v25, s[6:7], 0, v25, s[6:7]
	v_cmp_le_u32_e64 s[6:7], s57, v25
	v_cndmask_b32_e64 v27, 0, -1, s[6:7]
	v_cmp_le_u32_e64 s[6:7], s56, v26
	v_cndmask_b32_e64 v26, 0, -1, s[6:7]
	v_cmp_eq_u32_e64 s[6:7], s57, v25
	v_cndmask_b32_e64 v25, v27, v26, s[6:7]
	v_add_co_u32_e64 v26, s[6:7], 2, v3
	v_addc_co_u32_e64 v27, s[6:7], 0, v24, s[6:7]
	v_add_co_u32_e64 v28, s[6:7], 1, v3
	v_addc_co_u32_e64 v29, s[6:7], 0, v24, s[6:7]
	v_subb_co_u32_e32 v23, vcc, v21, v23, vcc
	v_cmp_ne_u32_e64 s[6:7], 0, v25
	v_cmp_le_u32_e32 vcc, s57, v23
	v_cndmask_b32_e64 v25, v29, v27, s[6:7]
	v_cndmask_b32_e64 v27, 0, -1, vcc
	v_cmp_le_u32_e32 vcc, s56, v22
	v_cndmask_b32_e64 v22, 0, -1, vcc
	v_cmp_eq_u32_e32 vcc, s57, v23
	v_cndmask_b32_e32 v22, v27, v22, vcc
	v_cmp_ne_u32_e32 vcc, 0, v22
	v_cndmask_b32_e64 v22, v28, v26, s[6:7]
	v_cndmask_b32_e32 v23, v24, v25, vcc
	v_cndmask_b32_e32 v22, v3, v22, vcc
.LBB98_37:                              ;   in Loop: Header=BB98_35 Depth=2
	s_andn2_saveexec_b64 s[6:7], s[58:59]
	s_cbranch_execz .LBB98_39
; %bb.38:                               ;   in Loop: Header=BB98_35 Depth=2
	v_cvt_f32_u32_e32 v3, s56
	s_sub_i32 s58, 0, s56
	v_rcp_iflag_f32_e32 v3, v3
	v_mul_f32_e32 v3, 0x4f7ffffe, v3
	v_cvt_u32_f32_e32 v3, v3
	v_mul_lo_u32 v22, s58, v3
	v_mul_hi_u32 v22, v3, v22
	v_add_u32_e32 v3, v3, v22
	v_mul_hi_u32 v3, v20, v3
	v_mul_lo_u32 v22, v3, s56
	v_sub_u32_e32 v22, v20, v22
	v_add_u32_e32 v23, 1, v3
	v_subrev_u32_e32 v24, s56, v22
	v_cmp_le_u32_e32 vcc, s56, v22
	v_cndmask_b32_e32 v22, v22, v24, vcc
	v_cndmask_b32_e32 v3, v3, v23, vcc
	v_add_u32_e32 v23, 1, v3
	v_cmp_le_u32_e32 vcc, s56, v22
	v_cndmask_b32_e32 v22, v3, v23, vcc
	v_mov_b32_e32 v23, v2
.LBB98_39:                              ;   in Loop: Header=BB98_35 Depth=2
	s_or_b64 exec, exec, s[6:7]
	v_mad_u64_u32 v[24:25], s[6:7], v22, s56, 0
	s_load_dwordx2 s[6:7], s[54:55], 0xc8
	v_mul_lo_u32 v3, v23, s56
	v_mul_lo_u32 v26, v22, s57
	v_add3_u32 v3, v25, v26, v3
	v_sub_co_u32_e32 v20, vcc, v20, v24
	s_add_i32 s60, s60, -1
	v_subb_co_u32_e32 v3, vcc, v21, v3, vcc
	s_add_u32 s54, s54, -8
	s_waitcnt lgkmcnt(0)
	v_mul_lo_u32 v3, s6, v3
	v_mul_lo_u32 v21, s7, v20
	v_mad_u64_u32 v[14:15], s[6:7], s6, v20, v[14:15]
	s_addc_u32 s55, s55, -1
	s_cmp_gt_u32 s60, 2
	v_add3_u32 v15, v21, v15, v3
	s_cbranch_scc0 .LBB98_46
; %bb.40:                               ;   in Loop: Header=BB98_35 Depth=2
	v_pk_mov_b32 v[20:21], v[22:23], v[22:23] op_sel:[0,1]
	s_branch .LBB98_35
.LBB98_41:                              ;   in Loop: Header=BB98_42 Depth=2
	s_or_b64 exec, exec, s[4:5]
	v_mad_u64_u32 v[20:21], s[4:5], v18, s54, 0
	s_load_dwordx2 s[4:5], s[52:53], 0xc8
	v_mul_lo_u32 v3, v19, s54
	v_mul_lo_u32 v22, v18, s55
	v_add3_u32 v3, v21, v22, v3
	v_sub_co_u32_e32 v14, vcc, v14, v20
	s_add_i32 s58, s58, -1
	v_subb_co_u32_e32 v3, vcc, v15, v3, vcc
	s_add_u32 s52, s52, -8
	s_waitcnt lgkmcnt(0)
	v_mul_lo_u32 v3, s4, v3
	v_mul_lo_u32 v15, s5, v14
	v_mad_u64_u32 v[16:17], s[4:5], s4, v14, v[16:17]
	s_addc_u32 s53, s53, -1
	s_cmp_gt_u32 s58, 2
	v_add3_u32 v17, v15, v17, v3
	v_pk_mov_b32 v[14:15], v[18:19], v[18:19] op_sel:[0,1]
	s_cbranch_scc0 .LBB98_32
.LBB98_42:                              ;   Parent Loop BB98_3 Depth=1
                                        ; =>  This Inner Loop Header: Depth=2
	s_load_dwordx2 s[54:55], s[52:53], 0x0
                                        ; implicit-def: $vgpr18_vgpr19
	s_waitcnt lgkmcnt(0)
	v_or_b32_e32 v3, s55, v15
	v_cmp_ne_u64_e32 vcc, 0, v[2:3]
	s_and_saveexec_b64 s[4:5], vcc
	s_xor_b64 s[56:57], exec, s[4:5]
	s_cbranch_execz .LBB98_44
; %bb.43:                               ;   in Loop: Header=BB98_42 Depth=2
	v_cvt_f32_u32_e32 v3, s54
	v_cvt_f32_u32_e32 v18, s55
	s_sub_u32 s4, 0, s54
	s_subb_u32 s5, 0, s55
	v_mac_f32_e32 v3, 0x4f800000, v18
	v_rcp_f32_e32 v3, v3
	v_mul_f32_e32 v3, 0x5f7ffffc, v3
	v_mul_f32_e32 v18, 0x2f800000, v3
	v_trunc_f32_e32 v18, v18
	v_mac_f32_e32 v3, 0xcf800000, v18
	v_cvt_u32_f32_e32 v18, v18
	v_cvt_u32_f32_e32 v3, v3
	v_mul_lo_u32 v19, s4, v18
	v_mul_hi_u32 v21, s4, v3
	v_mul_lo_u32 v20, s5, v3
	v_add_u32_e32 v19, v21, v19
	v_mul_lo_u32 v22, s4, v3
	v_add_u32_e32 v19, v19, v20
	v_mul_hi_u32 v21, v3, v22
	v_mul_lo_u32 v23, v3, v19
	v_mul_hi_u32 v20, v3, v19
	v_add_co_u32_e32 v21, vcc, v21, v23
	v_addc_co_u32_e32 v20, vcc, 0, v20, vcc
	v_mul_hi_u32 v24, v18, v22
	v_mul_lo_u32 v22, v18, v22
	v_add_co_u32_e32 v21, vcc, v21, v22
	v_mul_hi_u32 v23, v18, v19
	v_addc_co_u32_e32 v20, vcc, v20, v24, vcc
	v_addc_co_u32_e32 v21, vcc, 0, v23, vcc
	v_mul_lo_u32 v19, v18, v19
	v_add_co_u32_e32 v19, vcc, v20, v19
	v_addc_co_u32_e32 v20, vcc, 0, v21, vcc
	v_add_co_u32_e32 v3, vcc, v3, v19
	v_addc_co_u32_e32 v18, vcc, v18, v20, vcc
	v_mul_lo_u32 v19, s4, v18
	v_mul_hi_u32 v20, s4, v3
	v_add_u32_e32 v19, v20, v19
	v_mul_lo_u32 v20, s5, v3
	v_add_u32_e32 v19, v19, v20
	v_mul_lo_u32 v21, s4, v3
	v_mul_hi_u32 v22, v18, v21
	v_mul_lo_u32 v23, v18, v21
	v_mul_lo_u32 v25, v3, v19
	v_mul_hi_u32 v21, v3, v21
	v_mul_hi_u32 v24, v3, v19
	v_add_co_u32_e32 v21, vcc, v21, v25
	v_addc_co_u32_e32 v24, vcc, 0, v24, vcc
	v_add_co_u32_e32 v21, vcc, v21, v23
	v_mul_hi_u32 v20, v18, v19
	v_addc_co_u32_e32 v21, vcc, v24, v22, vcc
	v_addc_co_u32_e32 v20, vcc, 0, v20, vcc
	v_mul_lo_u32 v19, v18, v19
	v_add_co_u32_e32 v19, vcc, v21, v19
	v_addc_co_u32_e32 v20, vcc, 0, v20, vcc
	v_add_co_u32_e32 v3, vcc, v3, v19
	v_addc_co_u32_e32 v20, vcc, v18, v20, vcc
	v_mad_u64_u32 v[18:19], s[4:5], v14, v20, 0
	v_mul_hi_u32 v21, v14, v3
	v_add_co_u32_e32 v22, vcc, v21, v18
	v_addc_co_u32_e32 v23, vcc, 0, v19, vcc
	v_mad_u64_u32 v[18:19], s[4:5], v15, v20, 0
	v_mad_u64_u32 v[20:21], s[4:5], v15, v3, 0
	v_add_co_u32_e32 v3, vcc, v22, v20
	v_addc_co_u32_e32 v3, vcc, v23, v21, vcc
	v_addc_co_u32_e32 v19, vcc, 0, v19, vcc
	v_add_co_u32_e32 v3, vcc, v3, v18
	v_addc_co_u32_e32 v20, vcc, 0, v19, vcc
	v_mul_lo_u32 v21, s55, v3
	v_mul_lo_u32 v22, s54, v20
	v_mad_u64_u32 v[18:19], s[4:5], s54, v3, 0
	v_add3_u32 v19, v19, v22, v21
	v_sub_u32_e32 v21, v15, v19
	v_mov_b32_e32 v22, s55
	v_sub_co_u32_e32 v18, vcc, v14, v18
	v_subb_co_u32_e64 v21, s[4:5], v21, v22, vcc
	v_subrev_co_u32_e64 v22, s[4:5], s54, v18
	v_subbrev_co_u32_e64 v21, s[4:5], 0, v21, s[4:5]
	v_cmp_le_u32_e64 s[4:5], s55, v21
	v_cndmask_b32_e64 v23, 0, -1, s[4:5]
	v_cmp_le_u32_e64 s[4:5], s54, v22
	v_cndmask_b32_e64 v22, 0, -1, s[4:5]
	v_cmp_eq_u32_e64 s[4:5], s55, v21
	v_cndmask_b32_e64 v21, v23, v22, s[4:5]
	v_add_co_u32_e64 v22, s[4:5], 2, v3
	v_addc_co_u32_e64 v23, s[4:5], 0, v20, s[4:5]
	v_add_co_u32_e64 v24, s[4:5], 1, v3
	v_addc_co_u32_e64 v25, s[4:5], 0, v20, s[4:5]
	v_subb_co_u32_e32 v19, vcc, v15, v19, vcc
	v_cmp_ne_u32_e64 s[4:5], 0, v21
	v_cmp_le_u32_e32 vcc, s55, v19
	v_cndmask_b32_e64 v21, v25, v23, s[4:5]
	v_cndmask_b32_e64 v23, 0, -1, vcc
	v_cmp_le_u32_e32 vcc, s54, v18
	v_cndmask_b32_e64 v18, 0, -1, vcc
	v_cmp_eq_u32_e32 vcc, s55, v19
	v_cndmask_b32_e32 v18, v23, v18, vcc
	v_cmp_ne_u32_e32 vcc, 0, v18
	v_cndmask_b32_e64 v18, v24, v22, s[4:5]
	v_cndmask_b32_e32 v19, v20, v21, vcc
	v_cndmask_b32_e32 v18, v3, v18, vcc
.LBB98_44:                              ;   in Loop: Header=BB98_42 Depth=2
	s_andn2_saveexec_b64 s[4:5], s[56:57]
	s_cbranch_execz .LBB98_41
; %bb.45:                               ;   in Loop: Header=BB98_42 Depth=2
	v_cvt_f32_u32_e32 v3, s54
	s_sub_i32 s56, 0, s54
	v_rcp_iflag_f32_e32 v3, v3
	v_mul_f32_e32 v3, 0x4f7ffffe, v3
	v_cvt_u32_f32_e32 v3, v3
	v_mul_lo_u32 v18, s56, v3
	v_mul_hi_u32 v18, v3, v18
	v_add_u32_e32 v3, v3, v18
	v_mul_hi_u32 v3, v14, v3
	v_mul_lo_u32 v18, v3, s54
	v_sub_u32_e32 v18, v14, v18
	v_add_u32_e32 v19, 1, v3
	v_subrev_u32_e32 v20, s54, v18
	v_cmp_le_u32_e32 vcc, s54, v18
	v_cndmask_b32_e32 v18, v18, v20, vcc
	v_cndmask_b32_e32 v3, v3, v19, vcc
	v_add_u32_e32 v19, 1, v3
	v_cmp_le_u32_e32 vcc, s54, v18
	v_cndmask_b32_e32 v18, v3, v19, vcc
	v_mov_b32_e32 v19, v2
	s_branch .LBB98_41
.LBB98_46:                              ;   in Loop: Header=BB98_3 Depth=1
	v_mad_u64_u32 v[14:15], s[6:7], s18, v22, v[14:15]
	v_mul_lo_u32 v3, s18, v23
	v_mul_lo_u32 v20, s19, v22
	v_add3_u32 v15, v20, v15, v3
.LBB98_47:                              ;   in Loop: Header=BB98_3 Depth=1
	s_or_b64 exec, exec, s[52:53]
	v_pk_mov_b32 v[20:21], 0, 0
	s_and_saveexec_b64 s[6:7], s[4:5]
	s_cbranch_execz .LBB98_50
; %bb.48:                               ;   in Loop: Header=BB98_3 Depth=1
	s_and_b64 vcc, exec, s[2:3]
	v_pk_mov_b32 v[20:21], 0, 0
	s_mov_b64 s[52:53], s[34:35]
	s_mov_b32 s58, s65
	s_cbranch_vccz .LBB98_59
.LBB98_49:                              ;   in Loop: Header=BB98_3 Depth=1
	v_mad_u64_u32 v[20:21], s[4:5], s20, v18, v[20:21]
	v_mul_lo_u32 v3, s20, v19
	v_mul_lo_u32 v18, s21, v18
	v_add3_u32 v21, v18, v21, v3
.LBB98_50:                              ;   in Loop: Header=BB98_3 Depth=1
	s_or_b64 exec, exec, s[6:7]
	v_or_b32_e32 v22, 3, v0
	v_mov_b32_e32 v23, v1
	v_cmp_lt_i32_e64 s[4:5], 3, v33
	v_pk_mov_b32 v[18:19], 0, 0
	s_and_saveexec_b64 s[6:7], s[4:5]
	s_cbranch_execz .LBB98_64
; %bb.51:                               ;   in Loop: Header=BB98_3 Depth=1
	s_and_b64 vcc, exec, s[0:1]
	v_pk_mov_b32 v[18:19], 0, 0
	s_mov_b64 s[52:53], s[30:31]
	s_mov_b32 s58, s64
	v_pk_mov_b32 v[24:25], v[22:23], v[22:23] op_sel:[0,1]
	v_pk_mov_b32 v[26:27], v[22:23], v[22:23] op_sel:[0,1]
	s_cbranch_vccnz .LBB98_63
.LBB98_52:                              ;   Parent Loop BB98_3 Depth=1
                                        ; =>  This Inner Loop Header: Depth=2
	s_load_dwordx2 s[54:55], s[52:53], 0x0
                                        ; implicit-def: $vgpr26_vgpr27
	s_waitcnt lgkmcnt(0)
	v_or_b32_e32 v3, s55, v25
	v_cmp_ne_u64_e32 vcc, 0, v[2:3]
	s_and_saveexec_b64 s[0:1], vcc
	s_xor_b64 s[56:57], exec, s[0:1]
	s_cbranch_execz .LBB98_54
; %bb.53:                               ;   in Loop: Header=BB98_52 Depth=2
	v_cvt_f32_u32_e32 v3, s54
	v_cvt_f32_u32_e32 v26, s55
	s_sub_u32 s0, 0, s54
	s_subb_u32 s1, 0, s55
	v_mac_f32_e32 v3, 0x4f800000, v26
	v_rcp_f32_e32 v3, v3
	v_mul_f32_e32 v3, 0x5f7ffffc, v3
	v_mul_f32_e32 v26, 0x2f800000, v3
	v_trunc_f32_e32 v26, v26
	v_mac_f32_e32 v3, 0xcf800000, v26
	v_cvt_u32_f32_e32 v26, v26
	v_cvt_u32_f32_e32 v3, v3
	v_mul_lo_u32 v27, s0, v26
	v_mul_hi_u32 v29, s0, v3
	v_mul_lo_u32 v28, s1, v3
	v_add_u32_e32 v27, v29, v27
	v_mul_lo_u32 v30, s0, v3
	v_add_u32_e32 v27, v27, v28
	v_mul_hi_u32 v29, v3, v30
	v_mul_lo_u32 v31, v3, v27
	v_mul_hi_u32 v28, v3, v27
	v_add_co_u32_e32 v29, vcc, v29, v31
	v_addc_co_u32_e32 v28, vcc, 0, v28, vcc
	s_waitcnt vmcnt(2)
	v_mul_hi_u32 v34, v26, v30
	v_mul_lo_u32 v30, v26, v30
	v_add_co_u32_e32 v29, vcc, v29, v30
	v_mul_hi_u32 v31, v26, v27
	v_addc_co_u32_e32 v28, vcc, v28, v34, vcc
	v_addc_co_u32_e32 v29, vcc, 0, v31, vcc
	v_mul_lo_u32 v27, v26, v27
	v_add_co_u32_e32 v27, vcc, v28, v27
	v_addc_co_u32_e32 v28, vcc, 0, v29, vcc
	v_add_co_u32_e32 v3, vcc, v3, v27
	v_addc_co_u32_e32 v26, vcc, v26, v28, vcc
	v_mul_lo_u32 v27, s0, v26
	v_mul_hi_u32 v28, s0, v3
	v_add_u32_e32 v27, v28, v27
	v_mul_lo_u32 v28, s1, v3
	v_add_u32_e32 v27, v27, v28
	v_mul_lo_u32 v29, s0, v3
	v_mul_hi_u32 v30, v26, v29
	v_mul_lo_u32 v31, v26, v29
	s_waitcnt vmcnt(1)
	v_mul_lo_u32 v35, v3, v27
	v_mul_hi_u32 v29, v3, v29
	v_mul_hi_u32 v34, v3, v27
	v_add_co_u32_e32 v29, vcc, v29, v35
	v_addc_co_u32_e32 v34, vcc, 0, v34, vcc
	v_add_co_u32_e32 v29, vcc, v29, v31
	v_mul_hi_u32 v28, v26, v27
	v_addc_co_u32_e32 v29, vcc, v34, v30, vcc
	v_addc_co_u32_e32 v28, vcc, 0, v28, vcc
	v_mul_lo_u32 v27, v26, v27
	v_add_co_u32_e32 v27, vcc, v29, v27
	v_addc_co_u32_e32 v28, vcc, 0, v28, vcc
	v_add_co_u32_e32 v3, vcc, v3, v27
	v_addc_co_u32_e32 v28, vcc, v26, v28, vcc
	v_mad_u64_u32 v[26:27], s[0:1], v24, v28, 0
	v_mul_hi_u32 v29, v24, v3
	v_add_co_u32_e32 v30, vcc, v29, v26
	v_addc_co_u32_e32 v31, vcc, 0, v27, vcc
	v_mad_u64_u32 v[26:27], s[0:1], v25, v28, 0
	v_mad_u64_u32 v[28:29], s[0:1], v25, v3, 0
	v_add_co_u32_e32 v3, vcc, v30, v28
	v_addc_co_u32_e32 v3, vcc, v31, v29, vcc
	v_addc_co_u32_e32 v27, vcc, 0, v27, vcc
	v_add_co_u32_e32 v3, vcc, v3, v26
	v_addc_co_u32_e32 v28, vcc, 0, v27, vcc
	v_mul_lo_u32 v29, s55, v3
	v_mul_lo_u32 v30, s54, v28
	v_mad_u64_u32 v[26:27], s[0:1], s54, v3, 0
	v_add3_u32 v27, v27, v30, v29
	v_sub_u32_e32 v29, v25, v27
	v_mov_b32_e32 v30, s55
	v_sub_co_u32_e32 v26, vcc, v24, v26
	v_subb_co_u32_e64 v29, s[0:1], v29, v30, vcc
	v_subrev_co_u32_e64 v30, s[0:1], s54, v26
	v_subbrev_co_u32_e64 v29, s[0:1], 0, v29, s[0:1]
	v_cmp_le_u32_e64 s[0:1], s55, v29
	v_cndmask_b32_e64 v31, 0, -1, s[0:1]
	v_cmp_le_u32_e64 s[0:1], s54, v30
	v_cndmask_b32_e64 v30, 0, -1, s[0:1]
	v_cmp_eq_u32_e64 s[0:1], s55, v29
	v_cndmask_b32_e64 v29, v31, v30, s[0:1]
	v_add_co_u32_e64 v30, s[0:1], 2, v3
	v_addc_co_u32_e64 v31, s[0:1], 0, v28, s[0:1]
	v_add_co_u32_e64 v34, s[0:1], 1, v3
	v_addc_co_u32_e64 v35, s[0:1], 0, v28, s[0:1]
	v_subb_co_u32_e32 v27, vcc, v25, v27, vcc
	v_cmp_ne_u32_e64 s[0:1], 0, v29
	v_cmp_le_u32_e32 vcc, s55, v27
	v_cndmask_b32_e64 v29, v35, v31, s[0:1]
	v_cndmask_b32_e64 v31, 0, -1, vcc
	v_cmp_le_u32_e32 vcc, s54, v26
	v_cndmask_b32_e64 v26, 0, -1, vcc
	v_cmp_eq_u32_e32 vcc, s55, v27
	v_cndmask_b32_e32 v26, v31, v26, vcc
	v_cmp_ne_u32_e32 vcc, 0, v26
	v_cndmask_b32_e64 v26, v34, v30, s[0:1]
	v_cndmask_b32_e32 v27, v28, v29, vcc
	v_cndmask_b32_e32 v26, v3, v26, vcc
.LBB98_54:                              ;   in Loop: Header=BB98_52 Depth=2
	s_andn2_saveexec_b64 s[0:1], s[56:57]
	s_cbranch_execz .LBB98_56
; %bb.55:                               ;   in Loop: Header=BB98_52 Depth=2
	v_cvt_f32_u32_e32 v3, s54
	s_sub_i32 s56, 0, s54
	v_rcp_iflag_f32_e32 v3, v3
	v_mul_f32_e32 v3, 0x4f7ffffe, v3
	v_cvt_u32_f32_e32 v3, v3
	v_mul_lo_u32 v26, s56, v3
	v_mul_hi_u32 v26, v3, v26
	v_add_u32_e32 v3, v3, v26
	v_mul_hi_u32 v3, v24, v3
	v_mul_lo_u32 v26, v3, s54
	v_sub_u32_e32 v26, v24, v26
	v_add_u32_e32 v27, 1, v3
	v_subrev_u32_e32 v28, s54, v26
	v_cmp_le_u32_e32 vcc, s54, v26
	v_cndmask_b32_e32 v26, v26, v28, vcc
	v_cndmask_b32_e32 v3, v3, v27, vcc
	v_add_u32_e32 v27, 1, v3
	v_cmp_le_u32_e32 vcc, s54, v26
	v_cndmask_b32_e32 v26, v3, v27, vcc
	v_mov_b32_e32 v27, v2
.LBB98_56:                              ;   in Loop: Header=BB98_52 Depth=2
	s_or_b64 exec, exec, s[0:1]
	v_mad_u64_u32 v[28:29], s[0:1], v26, s54, 0
	s_load_dwordx2 s[0:1], s[52:53], 0xc8
	v_mul_lo_u32 v3, v27, s54
	v_mul_lo_u32 v30, v26, s55
	v_add3_u32 v3, v29, v30, v3
	v_sub_co_u32_e32 v24, vcc, v24, v28
	s_add_i32 s58, s58, -1
	v_subb_co_u32_e32 v3, vcc, v25, v3, vcc
	s_add_u32 s52, s52, -8
	s_waitcnt lgkmcnt(0)
	v_mul_lo_u32 v3, s0, v3
	v_mul_lo_u32 v25, s1, v24
	v_mad_u64_u32 v[18:19], s[0:1], s0, v24, v[18:19]
	s_addc_u32 s53, s53, -1
	s_cmp_gt_u32 s58, 2
	v_add3_u32 v19, v25, v19, v3
	s_cbranch_scc0 .LBB98_63
; %bb.57:                               ;   in Loop: Header=BB98_52 Depth=2
	v_pk_mov_b32 v[24:25], v[26:27], v[26:27] op_sel:[0,1]
	s_branch .LBB98_52
.LBB98_58:                              ;   in Loop: Header=BB98_59 Depth=2
	s_or_b64 exec, exec, s[4:5]
	v_mad_u64_u32 v[24:25], s[4:5], v22, s54, 0
	s_load_dwordx2 s[4:5], s[52:53], 0xc8
	v_mul_lo_u32 v3, v23, s54
	v_mul_lo_u32 v26, v22, s55
	v_add3_u32 v3, v25, v26, v3
	v_sub_co_u32_e32 v18, vcc, v18, v24
	s_add_i32 s58, s58, -1
	v_subb_co_u32_e32 v3, vcc, v19, v3, vcc
	s_add_u32 s52, s52, -8
	s_waitcnt lgkmcnt(0)
	v_mul_lo_u32 v3, s4, v3
	v_mul_lo_u32 v19, s5, v18
	v_mad_u64_u32 v[20:21], s[4:5], s4, v18, v[20:21]
	s_addc_u32 s53, s53, -1
	s_cmp_gt_u32 s58, 2
	v_add3_u32 v21, v19, v21, v3
	v_pk_mov_b32 v[18:19], v[22:23], v[22:23] op_sel:[0,1]
	s_cbranch_scc0 .LBB98_49
.LBB98_59:                              ;   Parent Loop BB98_3 Depth=1
                                        ; =>  This Inner Loop Header: Depth=2
	s_load_dwordx2 s[54:55], s[52:53], 0x0
                                        ; implicit-def: $vgpr22_vgpr23
	s_waitcnt lgkmcnt(0)
	v_or_b32_e32 v3, s55, v19
	v_cmp_ne_u64_e32 vcc, 0, v[2:3]
	s_and_saveexec_b64 s[4:5], vcc
	s_xor_b64 s[56:57], exec, s[4:5]
	s_cbranch_execz .LBB98_61
; %bb.60:                               ;   in Loop: Header=BB98_59 Depth=2
	v_cvt_f32_u32_e32 v3, s54
	v_cvt_f32_u32_e32 v22, s55
	s_sub_u32 s4, 0, s54
	s_subb_u32 s5, 0, s55
	v_mac_f32_e32 v3, 0x4f800000, v22
	v_rcp_f32_e32 v3, v3
	v_mul_f32_e32 v3, 0x5f7ffffc, v3
	v_mul_f32_e32 v22, 0x2f800000, v3
	v_trunc_f32_e32 v22, v22
	v_mac_f32_e32 v3, 0xcf800000, v22
	v_cvt_u32_f32_e32 v22, v22
	v_cvt_u32_f32_e32 v3, v3
	v_mul_lo_u32 v23, s4, v22
	v_mul_hi_u32 v25, s4, v3
	v_mul_lo_u32 v24, s5, v3
	v_add_u32_e32 v23, v25, v23
	v_mul_lo_u32 v26, s4, v3
	v_add_u32_e32 v23, v23, v24
	v_mul_hi_u32 v25, v3, v26
	v_mul_lo_u32 v27, v3, v23
	v_mul_hi_u32 v24, v3, v23
	v_add_co_u32_e32 v25, vcc, v25, v27
	v_addc_co_u32_e32 v24, vcc, 0, v24, vcc
	v_mul_hi_u32 v28, v22, v26
	v_mul_lo_u32 v26, v22, v26
	v_add_co_u32_e32 v25, vcc, v25, v26
	v_mul_hi_u32 v27, v22, v23
	v_addc_co_u32_e32 v24, vcc, v24, v28, vcc
	v_addc_co_u32_e32 v25, vcc, 0, v27, vcc
	v_mul_lo_u32 v23, v22, v23
	v_add_co_u32_e32 v23, vcc, v24, v23
	v_addc_co_u32_e32 v24, vcc, 0, v25, vcc
	v_add_co_u32_e32 v3, vcc, v3, v23
	v_addc_co_u32_e32 v22, vcc, v22, v24, vcc
	v_mul_lo_u32 v23, s4, v22
	v_mul_hi_u32 v24, s4, v3
	v_add_u32_e32 v23, v24, v23
	v_mul_lo_u32 v24, s5, v3
	v_add_u32_e32 v23, v23, v24
	v_mul_lo_u32 v25, s4, v3
	v_mul_hi_u32 v26, v22, v25
	v_mul_lo_u32 v27, v22, v25
	v_mul_lo_u32 v29, v3, v23
	v_mul_hi_u32 v25, v3, v25
	v_mul_hi_u32 v28, v3, v23
	v_add_co_u32_e32 v25, vcc, v25, v29
	v_addc_co_u32_e32 v28, vcc, 0, v28, vcc
	v_add_co_u32_e32 v25, vcc, v25, v27
	v_mul_hi_u32 v24, v22, v23
	v_addc_co_u32_e32 v25, vcc, v28, v26, vcc
	v_addc_co_u32_e32 v24, vcc, 0, v24, vcc
	v_mul_lo_u32 v23, v22, v23
	v_add_co_u32_e32 v23, vcc, v25, v23
	v_addc_co_u32_e32 v24, vcc, 0, v24, vcc
	v_add_co_u32_e32 v3, vcc, v3, v23
	v_addc_co_u32_e32 v24, vcc, v22, v24, vcc
	v_mad_u64_u32 v[22:23], s[4:5], v18, v24, 0
	v_mul_hi_u32 v25, v18, v3
	v_add_co_u32_e32 v26, vcc, v25, v22
	v_addc_co_u32_e32 v27, vcc, 0, v23, vcc
	v_mad_u64_u32 v[22:23], s[4:5], v19, v24, 0
	v_mad_u64_u32 v[24:25], s[4:5], v19, v3, 0
	v_add_co_u32_e32 v3, vcc, v26, v24
	v_addc_co_u32_e32 v3, vcc, v27, v25, vcc
	v_addc_co_u32_e32 v23, vcc, 0, v23, vcc
	v_add_co_u32_e32 v3, vcc, v3, v22
	v_addc_co_u32_e32 v24, vcc, 0, v23, vcc
	v_mul_lo_u32 v25, s55, v3
	v_mul_lo_u32 v26, s54, v24
	v_mad_u64_u32 v[22:23], s[4:5], s54, v3, 0
	v_add3_u32 v23, v23, v26, v25
	v_sub_u32_e32 v25, v19, v23
	v_mov_b32_e32 v26, s55
	v_sub_co_u32_e32 v22, vcc, v18, v22
	v_subb_co_u32_e64 v25, s[4:5], v25, v26, vcc
	v_subrev_co_u32_e64 v26, s[4:5], s54, v22
	v_subbrev_co_u32_e64 v25, s[4:5], 0, v25, s[4:5]
	v_cmp_le_u32_e64 s[4:5], s55, v25
	v_cndmask_b32_e64 v27, 0, -1, s[4:5]
	v_cmp_le_u32_e64 s[4:5], s54, v26
	v_cndmask_b32_e64 v26, 0, -1, s[4:5]
	v_cmp_eq_u32_e64 s[4:5], s55, v25
	v_cndmask_b32_e64 v25, v27, v26, s[4:5]
	v_add_co_u32_e64 v26, s[4:5], 2, v3
	v_addc_co_u32_e64 v27, s[4:5], 0, v24, s[4:5]
	v_add_co_u32_e64 v28, s[4:5], 1, v3
	v_addc_co_u32_e64 v29, s[4:5], 0, v24, s[4:5]
	v_subb_co_u32_e32 v23, vcc, v19, v23, vcc
	v_cmp_ne_u32_e64 s[4:5], 0, v25
	v_cmp_le_u32_e32 vcc, s55, v23
	v_cndmask_b32_e64 v25, v29, v27, s[4:5]
	v_cndmask_b32_e64 v27, 0, -1, vcc
	v_cmp_le_u32_e32 vcc, s54, v22
	v_cndmask_b32_e64 v22, 0, -1, vcc
	v_cmp_eq_u32_e32 vcc, s55, v23
	v_cndmask_b32_e32 v22, v27, v22, vcc
	v_cmp_ne_u32_e32 vcc, 0, v22
	v_cndmask_b32_e64 v22, v28, v26, s[4:5]
	v_cndmask_b32_e32 v23, v24, v25, vcc
	v_cndmask_b32_e32 v22, v3, v22, vcc
.LBB98_61:                              ;   in Loop: Header=BB98_59 Depth=2
	s_andn2_saveexec_b64 s[4:5], s[56:57]
	s_cbranch_execz .LBB98_58
; %bb.62:                               ;   in Loop: Header=BB98_59 Depth=2
	v_cvt_f32_u32_e32 v3, s54
	s_sub_i32 s56, 0, s54
	v_rcp_iflag_f32_e32 v3, v3
	v_mul_f32_e32 v3, 0x4f7ffffe, v3
	v_cvt_u32_f32_e32 v3, v3
	v_mul_lo_u32 v22, s56, v3
	v_mul_hi_u32 v22, v3, v22
	v_add_u32_e32 v3, v3, v22
	v_mul_hi_u32 v3, v18, v3
	v_mul_lo_u32 v22, v3, s54
	v_sub_u32_e32 v22, v18, v22
	v_add_u32_e32 v23, 1, v3
	v_subrev_u32_e32 v24, s54, v22
	v_cmp_le_u32_e32 vcc, s54, v22
	v_cndmask_b32_e32 v22, v22, v24, vcc
	v_cndmask_b32_e32 v3, v3, v23, vcc
	v_add_u32_e32 v23, 1, v3
	v_cmp_le_u32_e32 vcc, s54, v22
	v_cndmask_b32_e32 v22, v3, v23, vcc
	v_mov_b32_e32 v23, v2
	s_branch .LBB98_58
.LBB98_63:                              ;   in Loop: Header=BB98_3 Depth=1
	v_mad_u64_u32 v[18:19], s[0:1], s18, v26, v[18:19]
	v_mul_lo_u32 v3, s18, v27
	v_mul_lo_u32 v24, s19, v26
	v_add3_u32 v19, v24, v19, v3
.LBB98_64:                              ;   in Loop: Header=BB98_3 Depth=1
	s_or_b64 exec, exec, s[6:7]
	v_pk_mov_b32 v[24:25], 0, 0
	s_and_saveexec_b64 s[6:7], s[4:5]
	s_cbranch_execz .LBB98_67
; %bb.65:                               ;   in Loop: Header=BB98_3 Depth=1
	s_and_b64 vcc, exec, s[2:3]
	v_pk_mov_b32 v[24:25], 0, 0
	s_mov_b64 s[2:3], s[34:35]
	s_mov_b32 s54, s65
	s_cbranch_vccz .LBB98_97
.LBB98_66:                              ;   in Loop: Header=BB98_3 Depth=1
	v_mad_u64_u32 v[24:25], s[0:1], s20, v22, v[24:25]
	v_mul_lo_u32 v3, s20, v23
	v_mul_lo_u32 v22, s21, v22
	v_add3_u32 v25, v22, v25, v3
.LBB98_67:                              ;   in Loop: Header=BB98_3 Depth=1
	s_or_b64 exec, exec, s[6:7]
	v_lshlrev_b64 v[12:13], 2, v[12:13]
	v_mov_b32_e32 v3, s17
	v_add_co_u32_e32 v12, vcc, s16, v12
	v_addc_co_u32_e32 v13, vcc, v3, v13, vcc
	v_lshlrev_b64 v[16:17], 2, v[16:17]
	v_add_co_u32_e32 v16, vcc, s16, v16
	v_addc_co_u32_e32 v17, vcc, v3, v17, vcc
	v_lshlrev_b64 v[20:21], 2, v[20:21]
	v_add_co_u32_e32 v20, vcc, s16, v20
	v_addc_co_u32_e32 v21, vcc, v3, v21, vcc
	v_lshlrev_b64 v[22:23], 2, v[24:25]
	v_add_co_u32_e32 v22, vcc, s16, v22
	v_addc_co_u32_e32 v23, vcc, v3, v23, vcc
	global_load_dword v3, v[12:13], off
	global_load_dword v34, v[16:17], off
	global_load_dword v35, v[20:21], off
	global_load_dword v36, v[22:23], off
	s_andn2_b64 vcc, exec, s[26:27]
	v_pk_mov_b32 v[12:13], s[12:13], s[12:13] op_sel:[0,1]
	v_pk_mov_b32 v[16:17], s[10:11], s[10:11] op_sel:[0,1]
	s_cbranch_vccnz .LBB98_69
; %bb.68:                               ;   in Loop: Header=BB98_3 Depth=1
	v_pk_mov_b32 v[12:13], s[12:13], s[12:13] op_sel:[0,1]
	flat_load_dwordx2 v[12:13], v[12:13]
	v_pk_mov_b32 v[16:17], s[10:11], s[10:11] op_sel:[0,1]
	flat_load_dwordx2 v[16:17], v[16:17]
	v_mov_b32_e32 v20, s15
	s_waitcnt vmcnt(0) lgkmcnt(0)
	v_add_co_u32_e32 v12, vcc, s14, v12
	v_addc_co_u32_e32 v13, vcc, v13, v20, vcc
.LBB98_69:                              ;   in Loop: Header=BB98_3 Depth=1
	v_alignbit_b32 v28, v13, v12, 2
	v_lshrrev_b32_e32 v29, 2, v13
	v_xor_b32_e32 v20, v6, v16
	v_and_b32_e32 v37, 3, v12
	v_mad_u64_u32 v[12:13], s[0:1], v28, s66, 0
	v_xor_b32_e32 v20, v20, v29
	v_xor_b32_e32 v13, v13, v17
	v_add_u32_e32 v42, 0xbb67ae85, v17
	v_mad_u64_u32 v[20:21], s[0:1], v20, s66, 0
	v_mad_u64_u32 v[22:23], s[0:1], v13, s33, 0
	v_xor_b32_e32 v21, v42, v21
	v_add_u32_e32 v41, 0x9e3779b9, v16
	v_xor_b32_e32 v13, v4, v23
	v_xor_b32_e32 v21, v21, v12
	v_xor_b32_e32 v13, v13, v41
	v_add_u32_e32 v43, 0x3c6ef372, v16
	v_mad_u64_u32 v[24:25], s[0:1], v21, s33, 0
	v_add_u32_e32 v44, 0x76cf5d0a, v17
	v_mad_u64_u32 v[12:13], s[0:1], v13, s66, 0
	v_xor_b32_e32 v21, v43, v25
	v_xor_b32_e32 v21, v21, v22
	v_xor_b32_e32 v13, v44, v13
	v_xor_b32_e32 v13, v13, v20
	v_add_u32_e32 v46, 0x32370b8f, v17
	v_mad_u64_u32 v[20:21], s[0:1], v21, s66, 0
	v_add_u32_e32 v45, 0xdaa66d2b, v16
	v_mad_u64_u32 v[22:23], s[0:1], v13, s33, 0
	v_xor_b32_e32 v21, v46, v21
	;; [unrolled: 8-line block ×5, first 2 shown]
	v_xor_b32_e32 v21, v21, v22
	v_xor_b32_e32 v13, v52, v13
	;; [unrolled: 1-line block ×3, first 2 shown]
	v_add_u32_e32 v54, 0x1fd5c5a3, v17
	v_mad_u64_u32 v[20:21], s[0:1], v21, s66, 0
	v_xor_b32_e32 v21, v54, v21
	v_xor_b32_e32 v12, v21, v12
	v_add_u32_e32 v53, 0x5384540f, v16
	v_mad_u64_u32 v[26:27], s[0:1], v13, s33, 0
	v_add_co_u32_e32 v39, vcc, s67, v16
	v_mad_u64_u32 v[22:23], s[0:1], v12, s33, 0
	v_xor_b32_e32 v13, v53, v27
	v_xor_b32_e32 v12, v39, v23
	;; [unrolled: 1-line block ×4, first 2 shown]
	v_mad_u64_u32 v[24:25], s[0:1], v13, s66, 0
	v_mad_u64_u32 v[12:13], s[0:1], v12, s66, 0
	v_add_u32_e32 v40, 0x96a522ad, v17
	v_xor_b32_e32 v13, v13, v24
	v_xor_b32_e32 v38, v40, v13
	v_add_co_u32_e32 v13, vcc, 1, v28
	v_cndmask_b32_e64 v24, 0, 1, vcc
	v_addc_co_u32_e32 v30, vcc, 0, v29, vcc
	v_cmp_eq_u32_e32 vcc, 0, v30
	v_cndmask_b32_e32 v24, 0, v24, vcc
	v_add_u32_e32 v28, v24, v7
	v_cmp_eq_u32_e32 vcc, 0, v28
	v_mad_u64_u32 v[26:27], s[0:1], v13, s66, 0
	v_mad_u64_u32 v[28:29], s[0:1], v28, s33, 0
	v_add_u32_e32 v23, 0x8ff34781, v16
	v_cndmask_b32_e32 v24, 0, v24, vcc
	v_xor_b32_e32 v13, v29, v16
	v_xor_b32_e32 v16, v27, v17
	;; [unrolled: 1-line block ×4, first 2 shown]
	v_mad_u64_u32 v[30:31], s[0:1], v24, s33, 0
	v_add_u32_e32 v21, 0xdb3d7428, v17
	v_mad_u64_u32 v[16:17], s[0:1], v13, s66, 0
	v_xor_b32_e32 v13, v41, v31
	v_xor_b32_e32 v13, v13, v28
	v_xor_b32_e32 v17, v42, v17
	v_xor_b32_e32 v17, v17, v26
	v_mad_u64_u32 v[26:27], s[0:1], v13, s66, 0
	v_mad_u64_u32 v[28:29], s[0:1], v17, s33, 0
	v_xor_b32_e32 v17, v44, v27
	v_xor_b32_e32 v13, v43, v29
	v_xor_b32_e32 v24, v17, v16
	v_xor_b32_e32 v13, v13, v30
	v_mad_u64_u32 v[30:31], s[0:1], v24, s33, 0
	;; [unrolled: 6-line block ×7, first 2 shown]
	v_xor_b32_e32 v13, v21, v29
	v_xor_b32_e32 v13, v13, v16
	v_mad_u64_u32 v[30:31], s[0:1], v17, s33, 0
	v_mad_u64_u32 v[16:17], s[0:1], v13, s33, 0
	v_xor_b32_e32 v13, v17, v30
	v_xor_b32_e32 v13, v23, v13
	v_cmp_lt_i32_e32 vcc, 1, v37
                                        ; implicit-def: $vgpr27
	s_and_saveexec_b64 s[0:1], vcc
	s_xor_b64 s[0:1], exec, s[0:1]
	s_cbranch_execz .LBB98_75
; %bb.70:                               ;   in Loop: Header=BB98_3 Depth=1
	v_cmp_lt_i32_e32 vcc, 2, v37
                                        ; implicit-def: $vgpr27
	s_and_saveexec_b64 s[2:3], vcc
	s_xor_b64 s[2:3], exec, s[2:3]
; %bb.71:                               ;   in Loop: Header=BB98_3 Depth=1
	v_xor_b32_e32 v17, v39, v31
	v_xor_b32_e32 v17, v17, v26
	v_mul_hi_u32 v17, v17, s66
	v_xor_b32_e32 v17, v17, v28
	v_xor_b32_e32 v27, v40, v17
                                        ; implicit-def: $vgpr38
; %bb.72:                               ;   in Loop: Header=BB98_3 Depth=1
	s_andn2_saveexec_b64 s[2:3], s[2:3]
; %bb.73:                               ;   in Loop: Header=BB98_3 Depth=1
	v_mov_b32_e32 v27, v16
	v_mov_b32_e32 v16, v13
	;; [unrolled: 1-line block ×4, first 2 shown]
; %bb.74:                               ;   in Loop: Header=BB98_3 Depth=1
	s_or_b64 exec, exec, s[2:3]
                                        ; implicit-def: $vgpr20_vgpr21
                                        ; implicit-def: $vgpr22_vgpr23
                                        ; implicit-def: $vgpr37
                                        ; implicit-def: $vgpr38
                                        ; implicit-def: $vgpr24_vgpr25
                                        ; implicit-def: $vgpr21
                                        ; implicit-def: $vgpr23
.LBB98_75:                              ;   in Loop: Header=BB98_3 Depth=1
	s_andn2_saveexec_b64 s[0:1], s[0:1]
	s_cbranch_execz .LBB98_79
; %bb.76:                               ;   in Loop: Header=BB98_3 Depth=1
	v_xor_b32_e32 v16, v21, v25
	v_xor_b32_e32 v16, v16, v20
	v_mad_u64_u32 v[20:21], s[2:3], v16, s33, 0
	v_xor_b32_e32 v16, v21, v22
	v_xor_b32_e32 v17, v23, v16
	v_cmp_eq_u32_e32 vcc, 1, v37
	v_mov_b32_e32 v27, v12
	v_mov_b32_e32 v16, v38
	;; [unrolled: 1-line block ×3, first 2 shown]
	s_and_saveexec_b64 s[2:3], vcc
; %bb.77:                               ;   in Loop: Header=BB98_3 Depth=1
	v_mov_b32_e32 v27, v13
	v_mov_b32_e32 v16, v12
	;; [unrolled: 1-line block ×4, first 2 shown]
; %bb.78:                               ;   in Loop: Header=BB98_3 Depth=1
	s_or_b64 exec, exec, s[2:3]
	v_mov_b32_e32 v12, v17
	v_mov_b32_e32 v13, v21
.LBB98_79:                              ;   in Loop: Header=BB98_3 Depth=1
	s_or_b64 exec, exec, s[0:1]
	v_min_i32_e32 v17, 4, v33
	v_cmp_lt_i32_e32 vcc, 2, v17
	s_mov_b64 s[2:3], 0
	s_mov_b64 s[58:59], 0
	;; [unrolled: 1-line block ×3, first 2 shown]
                                        ; implicit-def: $sgpr6_sgpr7
                                        ; implicit-def: $sgpr52_sgpr53
                                        ; implicit-def: $sgpr54_sgpr55
	s_and_saveexec_b64 s[0:1], vcc
	s_xor_b64 s[56:57], exec, s[0:1]
	s_cbranch_execz .LBB98_91
; %bb.80:                               ;   in Loop: Header=BB98_3 Depth=1
	v_cmp_lt_i32_e32 vcc, 3, v17
	s_mov_b64 s[0:1], -1
	s_mov_b64 s[60:61], 0
                                        ; implicit-def: $sgpr4_sgpr5
                                        ; implicit-def: $sgpr6_sgpr7
	s_and_saveexec_b64 s[52:53], vcc
	s_cbranch_execz .LBB98_86
; %bb.81:                               ;   in Loop: Header=BB98_3 Depth=1
	v_cmp_eq_u32_e32 vcc, 4, v17
	s_mov_b64 s[0:1], 0
	s_mov_b64 s[60:61], -1
                                        ; implicit-def: $sgpr4_sgpr5
                                        ; implicit-def: $sgpr6_sgpr7
	s_and_saveexec_b64 s[54:55], vcc
	s_cbranch_execz .LBB98_85
; %bb.82:                               ;   in Loop: Header=BB98_3 Depth=1
	s_waitcnt vmcnt(0)
	v_cmp_le_f32_e32 vcc, 0, v36
	v_cmp_ge_f32_e64 s[0:1], 1.0, v36
	s_and_b64 s[60:61], vcc, s[0:1]
	s_mov_b64 s[4:5], 0
	s_mov_b64 s[0:1], 0
	s_and_saveexec_b64 s[6:7], s[60:61]
	s_cbranch_execz .LBB98_84
; %bb.83:                               ;   in Loop: Header=BB98_3 Depth=1
	v_cvt_f32_u32_e32 v20, v27
	v_mov_b32_e32 v21, 0x2f800000
	v_lshlrev_b64 v[18:19], 1, v[18:19]
	v_add_co_u32_e32 v18, vcc, s24, v18
	v_fmac_f32_e32 v21, 0x2f800000, v20
	v_mov_b32_e32 v20, s25
	v_addc_co_u32_e32 v19, vcc, v20, v19, vcc
	v_cmp_le_f32_e32 vcc, v21, v36
	s_mov_b64 s[0:1], exec
	v_cndmask_b32_e32 v20, 0, v32, vcc
	global_store_short v[18:19], v20, off
.LBB98_84:                              ;   in Loop: Header=BB98_3 Depth=1
	s_or_b64 exec, exec, s[6:7]
	s_mov_b64 s[6:7], -1
	s_xor_b64 s[60:61], exec, -1
	s_and_b64 s[0:1], s[0:1], exec
.LBB98_85:                              ;   in Loop: Header=BB98_3 Depth=1
	s_or_b64 exec, exec, s[54:55]
	s_and_b64 s[60:61], s[60:61], exec
	s_orn2_b64 s[0:1], s[0:1], exec
.LBB98_86:                              ;   in Loop: Header=BB98_3 Depth=1
	s_or_b64 exec, exec, s[52:53]
	s_mov_b64 s[54:55], s[4:5]
	s_and_saveexec_b64 s[52:53], s[0:1]
	s_cbranch_execz .LBB98_90
; %bb.87:                               ;   in Loop: Header=BB98_3 Depth=1
	s_waitcnt vmcnt(1)
	v_cmp_le_f32_e32 vcc, 0, v35
	v_cmp_ge_f32_e64 s[0:1], 1.0, v35
	s_and_b64 s[54:55], vcc, s[0:1]
	s_mov_b64 s[0:1], 0
	s_and_saveexec_b64 s[58:59], s[54:55]
	s_xor_b64 s[54:55], exec, s[58:59]
	s_cbranch_execz .LBB98_89
; %bb.88:                               ;   in Loop: Header=BB98_3 Depth=1
	v_cvt_f32_u32_e32 v16, v16
	v_mov_b32_e32 v18, 0x2f800000
	v_lshlrev_b64 v[14:15], 1, v[14:15]
	v_add_co_u32_e32 v14, vcc, s24, v14
	v_fmac_f32_e32 v18, 0x2f800000, v16
	v_mov_b32_e32 v16, s25
	v_addc_co_u32_e32 v15, vcc, v16, v15, vcc
	v_cmp_le_f32_e32 vcc, v18, v35
	v_cndmask_b32_e32 v16, 0, v32, vcc
	s_mov_b64 s[0:1], exec
	global_store_short v[14:15], v16, off
.LBB98_89:                              ;   in Loop: Header=BB98_3 Depth=1
	s_or_b64 exec, exec, s[54:55]
	s_andn2_b64 s[54:55], s[4:5], exec
	s_or_b64 s[4:5], s[4:5], exec
	s_andn2_b64 s[6:7], s[6:7], exec
	s_and_b64 s[58:59], s[0:1], exec
.LBB98_90:                              ;   in Loop: Header=BB98_3 Depth=1
	s_or_b64 exec, exec, s[52:53]
	s_and_b64 s[54:55], s[54:55], exec
	s_and_b64 s[52:53], s[4:5], exec
	;; [unrolled: 1-line block ×5, first 2 shown]
.LBB98_91:                              ;   in Loop: Header=BB98_3 Depth=1
	s_andn2_saveexec_b64 s[0:1], s[56:57]
; %bb.92:                               ;   in Loop: Header=BB98_3 Depth=1
	v_cmp_lt_i32_e32 vcc, 1, v17
	s_andn2_b64 s[56:57], s[58:59], exec
	s_and_b64 s[58:59], vcc, exec
	s_mov_b64 s[2:3], exec
	s_andn2_b64 s[54:55], s[54:55], exec
	s_andn2_b64 s[52:53], s[52:53], exec
	;; [unrolled: 1-line block ×3, first 2 shown]
	s_or_b64 s[58:59], s[56:57], s[58:59]
; %bb.93:                               ;   in Loop: Header=BB98_3 Depth=1
	s_or_b64 exec, exec, s[0:1]
	s_mov_b64 s[0:1], 0
	s_mov_b64 s[56:57], s[54:55]
	s_and_saveexec_b64 s[60:61], s[58:59]
	s_cbranch_execnz .LBB98_101
; %bb.94:                               ;   in Loop: Header=BB98_3 Depth=1
	s_or_b64 exec, exec, s[60:61]
	s_and_saveexec_b64 s[58:59], s[2:3]
	s_cbranch_execnz .LBB98_104
.LBB98_95:                              ;   in Loop: Header=BB98_3 Depth=1
	s_or_b64 exec, exec, s[58:59]
	s_and_saveexec_b64 s[2:3], s[0:1]
	s_cbranch_execnz .LBB98_105
	s_branch .LBB98_108
.LBB98_96:                              ;   in Loop: Header=BB98_97 Depth=2
	s_or_b64 exec, exec, s[0:1]
	v_mad_u64_u32 v[28:29], s[0:1], v26, s4, 0
	s_load_dwordx2 s[0:1], s[2:3], 0xc8
	v_mul_lo_u32 v3, v27, s4
	v_mul_lo_u32 v30, v26, s5
	v_add3_u32 v3, v29, v30, v3
	v_sub_co_u32_e32 v22, vcc, v22, v28
	s_add_i32 s54, s54, -1
	v_subb_co_u32_e32 v3, vcc, v23, v3, vcc
	s_add_u32 s2, s2, -8
	s_waitcnt lgkmcnt(0)
	v_mul_lo_u32 v3, s0, v3
	v_mul_lo_u32 v23, s1, v22
	v_mad_u64_u32 v[24:25], s[0:1], s0, v22, v[24:25]
	s_addc_u32 s3, s3, -1
	s_cmp_gt_u32 s54, 2
	v_add3_u32 v25, v23, v25, v3
	v_pk_mov_b32 v[22:23], v[26:27], v[26:27] op_sel:[0,1]
	s_cbranch_scc0 .LBB98_66
.LBB98_97:                              ;   Parent Loop BB98_3 Depth=1
                                        ; =>  This Inner Loop Header: Depth=2
	s_load_dwordx2 s[4:5], s[2:3], 0x0
                                        ; implicit-def: $vgpr26_vgpr27
	s_waitcnt lgkmcnt(0)
	v_or_b32_e32 v3, s5, v23
	v_cmp_ne_u64_e32 vcc, 0, v[2:3]
	s_and_saveexec_b64 s[0:1], vcc
	s_xor_b64 s[52:53], exec, s[0:1]
	s_cbranch_execz .LBB98_99
; %bb.98:                               ;   in Loop: Header=BB98_97 Depth=2
	v_cvt_f32_u32_e32 v3, s4
	v_cvt_f32_u32_e32 v26, s5
	s_sub_u32 s0, 0, s4
	s_subb_u32 s1, 0, s5
	v_mac_f32_e32 v3, 0x4f800000, v26
	v_rcp_f32_e32 v3, v3
	v_mul_f32_e32 v3, 0x5f7ffffc, v3
	v_mul_f32_e32 v26, 0x2f800000, v3
	v_trunc_f32_e32 v26, v26
	v_mac_f32_e32 v3, 0xcf800000, v26
	v_cvt_u32_f32_e32 v26, v26
	v_cvt_u32_f32_e32 v3, v3
	v_mul_lo_u32 v27, s0, v26
	v_mul_hi_u32 v29, s0, v3
	v_mul_lo_u32 v28, s1, v3
	v_add_u32_e32 v27, v29, v27
	v_mul_lo_u32 v30, s0, v3
	v_add_u32_e32 v27, v27, v28
	v_mul_hi_u32 v29, v3, v30
	v_mul_lo_u32 v31, v3, v27
	v_mul_hi_u32 v28, v3, v27
	v_add_co_u32_e32 v29, vcc, v29, v31
	v_addc_co_u32_e32 v28, vcc, 0, v28, vcc
	s_waitcnt vmcnt(2)
	v_mul_hi_u32 v34, v26, v30
	v_mul_lo_u32 v30, v26, v30
	v_add_co_u32_e32 v29, vcc, v29, v30
	v_mul_hi_u32 v31, v26, v27
	v_addc_co_u32_e32 v28, vcc, v28, v34, vcc
	v_addc_co_u32_e32 v29, vcc, 0, v31, vcc
	v_mul_lo_u32 v27, v26, v27
	v_add_co_u32_e32 v27, vcc, v28, v27
	v_addc_co_u32_e32 v28, vcc, 0, v29, vcc
	v_add_co_u32_e32 v3, vcc, v3, v27
	v_addc_co_u32_e32 v26, vcc, v26, v28, vcc
	v_mul_lo_u32 v27, s0, v26
	v_mul_hi_u32 v28, s0, v3
	v_add_u32_e32 v27, v28, v27
	v_mul_lo_u32 v28, s1, v3
	v_add_u32_e32 v27, v27, v28
	v_mul_lo_u32 v29, s0, v3
	v_mul_hi_u32 v30, v26, v29
	v_mul_lo_u32 v31, v26, v29
	s_waitcnt vmcnt(1)
	v_mul_lo_u32 v35, v3, v27
	v_mul_hi_u32 v29, v3, v29
	v_mul_hi_u32 v34, v3, v27
	v_add_co_u32_e32 v29, vcc, v29, v35
	v_addc_co_u32_e32 v34, vcc, 0, v34, vcc
	v_add_co_u32_e32 v29, vcc, v29, v31
	v_mul_hi_u32 v28, v26, v27
	v_addc_co_u32_e32 v29, vcc, v34, v30, vcc
	v_addc_co_u32_e32 v28, vcc, 0, v28, vcc
	v_mul_lo_u32 v27, v26, v27
	v_add_co_u32_e32 v27, vcc, v29, v27
	v_addc_co_u32_e32 v28, vcc, 0, v28, vcc
	v_add_co_u32_e32 v3, vcc, v3, v27
	v_addc_co_u32_e32 v28, vcc, v26, v28, vcc
	v_mad_u64_u32 v[26:27], s[0:1], v22, v28, 0
	v_mul_hi_u32 v29, v22, v3
	v_add_co_u32_e32 v30, vcc, v29, v26
	v_addc_co_u32_e32 v31, vcc, 0, v27, vcc
	v_mad_u64_u32 v[26:27], s[0:1], v23, v28, 0
	v_mad_u64_u32 v[28:29], s[0:1], v23, v3, 0
	v_add_co_u32_e32 v3, vcc, v30, v28
	v_addc_co_u32_e32 v3, vcc, v31, v29, vcc
	v_addc_co_u32_e32 v27, vcc, 0, v27, vcc
	v_add_co_u32_e32 v3, vcc, v3, v26
	v_addc_co_u32_e32 v28, vcc, 0, v27, vcc
	v_mul_lo_u32 v29, s5, v3
	v_mul_lo_u32 v30, s4, v28
	v_mad_u64_u32 v[26:27], s[0:1], s4, v3, 0
	v_add3_u32 v27, v27, v30, v29
	v_sub_u32_e32 v29, v23, v27
	v_mov_b32_e32 v30, s5
	v_sub_co_u32_e32 v26, vcc, v22, v26
	v_subb_co_u32_e64 v29, s[0:1], v29, v30, vcc
	v_subrev_co_u32_e64 v30, s[0:1], s4, v26
	v_subbrev_co_u32_e64 v29, s[0:1], 0, v29, s[0:1]
	v_cmp_le_u32_e64 s[0:1], s5, v29
	v_cndmask_b32_e64 v31, 0, -1, s[0:1]
	v_cmp_le_u32_e64 s[0:1], s4, v30
	v_cndmask_b32_e64 v30, 0, -1, s[0:1]
	v_cmp_eq_u32_e64 s[0:1], s5, v29
	v_cndmask_b32_e64 v29, v31, v30, s[0:1]
	v_add_co_u32_e64 v30, s[0:1], 2, v3
	v_addc_co_u32_e64 v31, s[0:1], 0, v28, s[0:1]
	v_add_co_u32_e64 v34, s[0:1], 1, v3
	v_addc_co_u32_e64 v35, s[0:1], 0, v28, s[0:1]
	v_subb_co_u32_e32 v27, vcc, v23, v27, vcc
	v_cmp_ne_u32_e64 s[0:1], 0, v29
	v_cmp_le_u32_e32 vcc, s5, v27
	v_cndmask_b32_e64 v29, v35, v31, s[0:1]
	v_cndmask_b32_e64 v31, 0, -1, vcc
	v_cmp_le_u32_e32 vcc, s4, v26
	v_cndmask_b32_e64 v26, 0, -1, vcc
	v_cmp_eq_u32_e32 vcc, s5, v27
	v_cndmask_b32_e32 v26, v31, v26, vcc
	v_cmp_ne_u32_e32 vcc, 0, v26
	v_cndmask_b32_e64 v26, v34, v30, s[0:1]
	v_cndmask_b32_e32 v27, v28, v29, vcc
	v_cndmask_b32_e32 v26, v3, v26, vcc
.LBB98_99:                              ;   in Loop: Header=BB98_97 Depth=2
	s_andn2_saveexec_b64 s[0:1], s[52:53]
	s_cbranch_execz .LBB98_96
; %bb.100:                              ;   in Loop: Header=BB98_97 Depth=2
	v_cvt_f32_u32_e32 v3, s4
	s_sub_i32 s52, 0, s4
	v_rcp_iflag_f32_e32 v3, v3
	v_mul_f32_e32 v3, 0x4f7ffffe, v3
	v_cvt_u32_f32_e32 v3, v3
	v_mul_lo_u32 v26, s52, v3
	v_mul_hi_u32 v26, v3, v26
	v_add_u32_e32 v3, v3, v26
	v_mul_hi_u32 v3, v22, v3
	v_mul_lo_u32 v26, v3, s4
	v_sub_u32_e32 v26, v22, v26
	v_add_u32_e32 v27, 1, v3
	v_subrev_u32_e32 v28, s4, v26
	v_cmp_le_u32_e32 vcc, s4, v26
	v_cndmask_b32_e32 v26, v26, v28, vcc
	v_cndmask_b32_e32 v3, v3, v27, vcc
	v_add_u32_e32 v27, 1, v3
	v_cmp_le_u32_e32 vcc, s4, v26
	v_cndmask_b32_e32 v26, v3, v27, vcc
	v_mov_b32_e32 v27, v2
	s_branch .LBB98_96
.LBB98_101:                             ;   in Loop: Header=BB98_3 Depth=1
	s_waitcnt vmcnt(2)
	v_cmp_le_f32_e32 vcc, 0, v34
	v_cmp_ge_f32_e64 s[0:1], 1.0, v34
	s_and_b64 s[56:57], vcc, s[0:1]
	s_mov_b64 s[0:1], 0
	s_and_saveexec_b64 s[58:59], s[56:57]
	s_xor_b64 s[56:57], exec, s[58:59]
	s_cbranch_execz .LBB98_103
; %bb.102:                              ;   in Loop: Header=BB98_3 Depth=1
	v_cvt_f32_u32_e32 v13, v13
	v_mov_b32_e32 v14, 0x2f800000
	v_lshlrev_b64 v[10:11], 1, v[10:11]
	v_add_co_u32_e32 v10, vcc, s24, v10
	v_fmac_f32_e32 v14, 0x2f800000, v13
	v_mov_b32_e32 v13, s25
	v_addc_co_u32_e32 v11, vcc, v13, v11, vcc
	v_cmp_le_f32_e32 vcc, v14, v34
	v_cndmask_b32_e32 v13, 0, v32, vcc
	s_mov_b64 s[0:1], exec
	global_store_short v[10:11], v13, off
.LBB98_103:                             ;   in Loop: Header=BB98_3 Depth=1
	s_or_b64 exec, exec, s[56:57]
	s_andn2_b64 s[56:57], s[54:55], exec
	s_or_b64 s[54:55], s[54:55], exec
	s_andn2_b64 s[52:53], s[52:53], exec
	s_andn2_b64 s[6:7], s[6:7], exec
	s_and_b64 s[0:1], s[0:1], exec
	s_andn2_b64 s[2:3], s[2:3], exec
	s_or_b64 exec, exec, s[60:61]
	s_and_saveexec_b64 s[58:59], s[2:3]
	s_cbranch_execz .LBB98_95
.LBB98_104:                             ;   in Loop: Header=BB98_3 Depth=1
	v_cmp_eq_u32_e32 vcc, 1, v17
	s_andn2_b64 s[0:1], s[0:1], exec
	s_and_b64 s[2:3], vcc, exec
	s_andn2_b64 s[56:57], s[56:57], exec
	s_andn2_b64 s[54:55], s[54:55], exec
	;; [unrolled: 1-line block ×4, first 2 shown]
	s_or_b64 s[4:5], s[4:5], exec
	s_or_b64 s[0:1], s[0:1], s[2:3]
	s_or_b64 exec, exec, s[58:59]
	s_and_saveexec_b64 s[2:3], s[0:1]
	s_cbranch_execz .LBB98_108
.LBB98_105:                             ;   in Loop: Header=BB98_3 Depth=1
	s_waitcnt vmcnt(3)
	v_cmp_le_f32_e32 vcc, 0, v3
	v_cmp_ge_f32_e64 s[0:1], 1.0, v3
	s_and_b64 s[60:61], vcc, s[0:1]
	s_mov_b64 s[0:1], 0
	s_and_saveexec_b64 s[58:59], s[60:61]
	s_cbranch_execz .LBB98_107
; %bb.106:                              ;   in Loop: Header=BB98_3 Depth=1
	v_cvt_f32_u32_e32 v10, v12
	v_mov_b32_e32 v11, 0x2f800000
	v_lshlrev_b64 v[8:9], 1, v[8:9]
	v_add_co_u32_e32 v8, vcc, s24, v8
	v_fmac_f32_e32 v11, 0x2f800000, v10
	v_mov_b32_e32 v10, s25
	v_addc_co_u32_e32 v9, vcc, v10, v9, vcc
	v_cmp_le_f32_e32 vcc, v11, v3
	s_mov_b64 s[0:1], exec
	v_cndmask_b32_e32 v3, 0, v32, vcc
	global_store_short v[8:9], v3, off
.LBB98_107:                             ;   in Loop: Header=BB98_3 Depth=1
	s_or_b64 exec, exec, s[58:59]
	s_andn2_b64 s[4:5], s[4:5], exec
	s_and_b64 s[0:1], s[0:1], exec
	s_or_b64 s[56:57], s[56:57], exec
	s_andn2_b64 s[54:55], s[54:55], exec
	s_andn2_b64 s[52:53], s[52:53], exec
	s_andn2_b64 s[6:7], s[6:7], exec
	s_or_b64 s[4:5], s[4:5], s[0:1]
.LBB98_108:                             ;   in Loop: Header=BB98_3 Depth=1
	s_or_b64 exec, exec, s[2:3]
	s_andn2_b64 s[2:3], s[50:51], exec
	s_and_b64 s[50:51], s[56:57], exec
	s_or_b64 s[50:51], s[2:3], s[50:51]
	s_andn2_b64 s[2:3], s[48:49], exec
	s_and_b64 s[48:49], s[54:55], exec
	s_or_b64 s[48:49], s[2:3], s[48:49]
	;; [unrolled: 3-line block ×3, first 2 shown]
	s_andn2_b64 s[2:3], s[44:45], exec
	s_and_b64 s[6:7], s[6:7], exec
	s_mov_b64 s[0:1], -1
	s_or_b64 s[44:45], s[2:3], s[6:7]
	s_and_saveexec_b64 s[2:3], s[4:5]
	s_cbranch_execz .LBB98_2
; %bb.109:                              ;   in Loop: Header=BB98_3 Depth=1
	s_waitcnt vmcnt(3)
	v_mov_b32_e32 v3, s63
	v_add_co_u32_e32 v0, vcc, s62, v0
	v_addc_co_u32_e32 v1, vcc, v1, v3, vcc
	v_cmp_le_u64_e32 vcc, s[8:9], v[0:1]
	s_andn2_b64 s[50:51], s[50:51], exec
	s_andn2_b64 s[48:49], s[48:49], exec
	;; [unrolled: 1-line block ×4, first 2 shown]
	s_orn2_b64 s[0:1], vcc, exec
	s_branch .LBB98_2
.LBB98_110:
	s_or_b64 exec, exec, s[36:37]
	s_xor_b64 s[6:7], s[42:43], -1
	s_xor_b64 s[8:9], s[40:41], -1
	;; [unrolled: 1-line block ×3, first 2 shown]
	s_mov_b64 s[2:3], 0
	s_and_saveexec_b64 s[4:5], s[0:1]
	s_xor_b64 s[0:1], exec, s[4:5]
	s_cbranch_execnz .LBB98_115
; %bb.111:
	s_andn2_saveexec_b64 s[0:1], s[0:1]
	s_cbranch_execnz .LBB98_123
.LBB98_112:
	s_or_b64 exec, exec, s[0:1]
	s_and_b64 exec, exec, s[2:3]
.LBB98_113:
	; divergent unreachable
.LBB98_114:
	s_endpgm
.LBB98_115:
	s_mov_b64 s[4:5], 0
	s_and_saveexec_b64 s[2:3], s[8:9]
	s_xor_b64 s[2:3], exec, s[2:3]
	s_cbranch_execz .LBB98_121
; %bb.116:
	s_and_saveexec_b64 s[8:9], s[6:7]
	s_xor_b64 s[6:7], exec, s[8:9]
	s_cbranch_execz .LBB98_119
; %bb.117:
	s_and_saveexec_b64 s[8:9], s[28:29]
	s_xor_b64 s[8:9], exec, s[8:9]
	s_cbranch_execnz .LBB98_126
.LBB98_118:
	s_or_b64 exec, exec, s[8:9]
	s_and_b64 s[4:5], s[4:5], exec
.LBB98_119:
	s_andn2_saveexec_b64 s[6:7], s[6:7]
	s_cbranch_execnz .LBB98_125
.LBB98_120:
	s_or_b64 exec, exec, s[6:7]
	s_and_b64 s[4:5], s[4:5], exec
.LBB98_121:
	s_andn2_saveexec_b64 s[2:3], s[2:3]
	s_cbranch_execnz .LBB98_124
.LBB98_122:
	s_or_b64 exec, exec, s[2:3]
	s_and_b64 s[2:3], s[4:5], exec
	s_andn2_saveexec_b64 s[0:1], s[0:1]
	s_cbranch_execz .LBB98_112
.LBB98_123:
	s_or_b64 s[2:3], s[2:3], exec
	s_trap 2
	s_or_b64 exec, exec, s[0:1]
	s_and_b64 exec, exec, s[2:3]
	s_cbranch_execnz .LBB98_113
	s_branch .LBB98_114
.LBB98_124:
	s_or_b64 s[4:5], s[4:5], exec
	s_trap 2
	s_branch .LBB98_122
.LBB98_125:
	s_trap 2
	s_or_b64 s[4:5], s[4:5], exec
	s_branch .LBB98_120
.LBB98_126:
	s_mov_b64 s[4:5], exec
	s_trap 2
	s_branch .LBB98_118
	.section	.rodata,"a",@progbits
	.p2align	6, 0x0
	.amdhsa_kernel _ZN2at4cuda12_GLOBAL__N_121kernelPointwiseApply2IZNS_6native9templates4cuda28bernoulli_tensor_cuda_kernelIN3c104HalfEfEEvRKNS_10TensorBaseESB_NS_15PhiloxCudaStateEEUliRS8_SD_SD_SD_RKfSF_SF_SF_E_S8_SE_mLin1ELin1ELi4ELi512ELi2EEEvNS0_6detail10TensorInfoIT0_T2_EENSI_IT1_SK_EESK_T_
		.amdhsa_group_segment_fixed_size 0
		.amdhsa_private_segment_fixed_size 0
		.amdhsa_kernarg_size 1128
		.amdhsa_user_sgpr_count 6
		.amdhsa_user_sgpr_private_segment_buffer 1
		.amdhsa_user_sgpr_dispatch_ptr 0
		.amdhsa_user_sgpr_queue_ptr 0
		.amdhsa_user_sgpr_kernarg_segment_ptr 1
		.amdhsa_user_sgpr_dispatch_id 0
		.amdhsa_user_sgpr_flat_scratch_init 0
		.amdhsa_user_sgpr_kernarg_preload_length 0
		.amdhsa_user_sgpr_kernarg_preload_offset 0
		.amdhsa_user_sgpr_private_segment_size 0
		.amdhsa_uses_dynamic_stack 0
		.amdhsa_system_sgpr_private_segment_wavefront_offset 0
		.amdhsa_system_sgpr_workgroup_id_x 1
		.amdhsa_system_sgpr_workgroup_id_y 0
		.amdhsa_system_sgpr_workgroup_id_z 0
		.amdhsa_system_sgpr_workgroup_info 0
		.amdhsa_system_vgpr_workitem_id 0
		.amdhsa_next_free_vgpr 55
		.amdhsa_next_free_sgpr 68
		.amdhsa_accum_offset 56
		.amdhsa_reserve_vcc 1
		.amdhsa_reserve_flat_scratch 0
		.amdhsa_float_round_mode_32 0
		.amdhsa_float_round_mode_16_64 0
		.amdhsa_float_denorm_mode_32 3
		.amdhsa_float_denorm_mode_16_64 3
		.amdhsa_dx10_clamp 1
		.amdhsa_ieee_mode 1
		.amdhsa_fp16_overflow 0
		.amdhsa_tg_split 0
		.amdhsa_exception_fp_ieee_invalid_op 0
		.amdhsa_exception_fp_denorm_src 0
		.amdhsa_exception_fp_ieee_div_zero 0
		.amdhsa_exception_fp_ieee_overflow 0
		.amdhsa_exception_fp_ieee_underflow 0
		.amdhsa_exception_fp_ieee_inexact 0
		.amdhsa_exception_int_div_zero 0
	.end_amdhsa_kernel
	.section	.text._ZN2at4cuda12_GLOBAL__N_121kernelPointwiseApply2IZNS_6native9templates4cuda28bernoulli_tensor_cuda_kernelIN3c104HalfEfEEvRKNS_10TensorBaseESB_NS_15PhiloxCudaStateEEUliRS8_SD_SD_SD_RKfSF_SF_SF_E_S8_SE_mLin1ELin1ELi4ELi512ELi2EEEvNS0_6detail10TensorInfoIT0_T2_EENSI_IT1_SK_EESK_T_,"axG",@progbits,_ZN2at4cuda12_GLOBAL__N_121kernelPointwiseApply2IZNS_6native9templates4cuda28bernoulli_tensor_cuda_kernelIN3c104HalfEfEEvRKNS_10TensorBaseESB_NS_15PhiloxCudaStateEEUliRS8_SD_SD_SD_RKfSF_SF_SF_E_S8_SE_mLin1ELin1ELi4ELi512ELi2EEEvNS0_6detail10TensorInfoIT0_T2_EENSI_IT1_SK_EESK_T_,comdat
.Lfunc_end98:
	.size	_ZN2at4cuda12_GLOBAL__N_121kernelPointwiseApply2IZNS_6native9templates4cuda28bernoulli_tensor_cuda_kernelIN3c104HalfEfEEvRKNS_10TensorBaseESB_NS_15PhiloxCudaStateEEUliRS8_SD_SD_SD_RKfSF_SF_SF_E_S8_SE_mLin1ELin1ELi4ELi512ELi2EEEvNS0_6detail10TensorInfoIT0_T2_EENSI_IT1_SK_EESK_T_, .Lfunc_end98-_ZN2at4cuda12_GLOBAL__N_121kernelPointwiseApply2IZNS_6native9templates4cuda28bernoulli_tensor_cuda_kernelIN3c104HalfEfEEvRKNS_10TensorBaseESB_NS_15PhiloxCudaStateEEUliRS8_SD_SD_SD_RKfSF_SF_SF_E_S8_SE_mLin1ELin1ELi4ELi512ELi2EEEvNS0_6detail10TensorInfoIT0_T2_EENSI_IT1_SK_EESK_T_
                                        ; -- End function
	.section	.AMDGPU.csdata,"",@progbits
; Kernel info:
; codeLenInByte = 10280
; NumSgprs: 72
; NumVgprs: 55
; NumAgprs: 0
; TotalNumVgprs: 55
; ScratchSize: 0
; MemoryBound: 0
; FloatMode: 240
; IeeeMode: 1
; LDSByteSize: 0 bytes/workgroup (compile time only)
; SGPRBlocks: 8
; VGPRBlocks: 6
; NumSGPRsForWavesPerEU: 72
; NumVGPRsForWavesPerEU: 55
; AccumOffset: 56
; Occupancy: 8
; WaveLimiterHint : 1
; COMPUTE_PGM_RSRC2:SCRATCH_EN: 0
; COMPUTE_PGM_RSRC2:USER_SGPR: 6
; COMPUTE_PGM_RSRC2:TRAP_HANDLER: 0
; COMPUTE_PGM_RSRC2:TGID_X_EN: 1
; COMPUTE_PGM_RSRC2:TGID_Y_EN: 0
; COMPUTE_PGM_RSRC2:TGID_Z_EN: 0
; COMPUTE_PGM_RSRC2:TIDIG_COMP_CNT: 0
; COMPUTE_PGM_RSRC3_GFX90A:ACCUM_OFFSET: 13
; COMPUTE_PGM_RSRC3_GFX90A:TG_SPLIT: 0
	.section	.text._ZN2at4cuda12_GLOBAL__N_121kernelPointwiseApply2IZNS_6native9templates4cuda28bernoulli_tensor_cuda_kernelIN3c108BFloat16EfEEvRKNS_10TensorBaseESB_NS_15PhiloxCudaStateEEUliRS8_SD_SD_SD_RKfSF_SF_SF_E_S8_SE_jLi1ELi1ELi4ELi512ELi2EEEvNS0_6detail10TensorInfoIT0_T2_EENSI_IT1_SK_EESK_T_,"axG",@progbits,_ZN2at4cuda12_GLOBAL__N_121kernelPointwiseApply2IZNS_6native9templates4cuda28bernoulli_tensor_cuda_kernelIN3c108BFloat16EfEEvRKNS_10TensorBaseESB_NS_15PhiloxCudaStateEEUliRS8_SD_SD_SD_RKfSF_SF_SF_E_S8_SE_jLi1ELi1ELi4ELi512ELi2EEEvNS0_6detail10TensorInfoIT0_T2_EENSI_IT1_SK_EESK_T_,comdat
	.globl	_ZN2at4cuda12_GLOBAL__N_121kernelPointwiseApply2IZNS_6native9templates4cuda28bernoulli_tensor_cuda_kernelIN3c108BFloat16EfEEvRKNS_10TensorBaseESB_NS_15PhiloxCudaStateEEUliRS8_SD_SD_SD_RKfSF_SF_SF_E_S8_SE_jLi1ELi1ELi4ELi512ELi2EEEvNS0_6detail10TensorInfoIT0_T2_EENSI_IT1_SK_EESK_T_ ; -- Begin function _ZN2at4cuda12_GLOBAL__N_121kernelPointwiseApply2IZNS_6native9templates4cuda28bernoulli_tensor_cuda_kernelIN3c108BFloat16EfEEvRKNS_10TensorBaseESB_NS_15PhiloxCudaStateEEUliRS8_SD_SD_SD_RKfSF_SF_SF_E_S8_SE_jLi1ELi1ELi4ELi512ELi2EEEvNS0_6detail10TensorInfoIT0_T2_EENSI_IT1_SK_EESK_T_
	.p2align	8
	.type	_ZN2at4cuda12_GLOBAL__N_121kernelPointwiseApply2IZNS_6native9templates4cuda28bernoulli_tensor_cuda_kernelIN3c108BFloat16EfEEvRKNS_10TensorBaseESB_NS_15PhiloxCudaStateEEUliRS8_SD_SD_SD_RKfSF_SF_SF_E_S8_SE_jLi1ELi1ELi4ELi512ELi2EEEvNS0_6detail10TensorInfoIT0_T2_EENSI_IT1_SK_EESK_T_,@function
_ZN2at4cuda12_GLOBAL__N_121kernelPointwiseApply2IZNS_6native9templates4cuda28bernoulli_tensor_cuda_kernelIN3c108BFloat16EfEEvRKNS_10TensorBaseESB_NS_15PhiloxCudaStateEEUliRS8_SD_SD_SD_RKfSF_SF_SF_E_S8_SE_jLi1ELi1ELi4ELi512ELi2EEEvNS0_6detail10TensorInfoIT0_T2_EENSI_IT1_SK_EESK_T_: ; @_ZN2at4cuda12_GLOBAL__N_121kernelPointwiseApply2IZNS_6native9templates4cuda28bernoulli_tensor_cuda_kernelIN3c108BFloat16EfEEvRKNS_10TensorBaseESB_NS_15PhiloxCudaStateEEUliRS8_SD_SD_SD_RKfSF_SF_SF_E_S8_SE_jLi1ELi1ELi4ELi512ELi2EEEvNS0_6detail10TensorInfoIT0_T2_EENSI_IT1_SK_EESK_T_
; %bb.0:
	s_load_dword s2, s[4:5], 0x1e4
	s_load_dword s33, s[4:5], 0x1b0
	s_add_u32 s0, s4, 0x1d8
	s_addc_u32 s1, s5, 0
	s_waitcnt lgkmcnt(0)
	s_and_b32 s2, s2, 0xffff
	s_mul_i32 s6, s6, s2
	v_add_u32_e32 v5, s6, v0
	v_lshlrev_b32_e32 v22, 2, v5
	v_cmp_gt_u32_e32 vcc, s33, v22
	s_and_saveexec_b64 s[6:7], vcc
	s_cbranch_execz .LBB99_43
; %bb.1:
	s_load_dword s3, s[0:1], 0x0
	s_load_dword s6, s[4:5], 0x1d0
	s_load_dwordx2 s[16:17], s[4:5], 0x0
	s_load_dword s7, s[4:5], 0x6c
	s_load_dwordx2 s[18:19], s[4:5], 0xd8
	;; [unrolled: 2-line block ×3, first 2 shown]
	s_load_dwordx4 s[12:15], s[4:5], 0x1b8
	s_mov_b32 s54, 0xcd9e8d57
	s_waitcnt lgkmcnt(0)
	v_mul_lo_u32 v2, s7, v22
	s_bitcmp1_b32 s6, 0
	v_mad_u64_u32 v[0:1], s[0:1], v5, s54, 0
	v_add_u32_e32 v23, s7, v2
	v_add_u32_e32 v2, 2, v22
	s_mul_i32 s2, s3, s2
	s_cselect_b64 s[0:1], -1, 0
	v_mul_lo_u32 v24, s7, v2
	v_mul_lo_u32 v7, s7, v5
	;; [unrolled: 1-line block ×4, first 2 shown]
	s_lshl_b32 s56, s2, 2
	s_mul_i32 s3, s2, s7
	v_add_u32_e32 v6, 3, v22
	v_lshlrev_b32_e32 v26, 2, v7
	v_mul_lo_u32 v7, s8, v22
	s_mul_i32 s2, s2, s8
	v_lshlrev_b32_e32 v30, 2, v2
	v_cndmask_b32_e64 v2, 0, 1, s[0:1]
	s_mov_b32 s55, 0
	v_mov_b32_e32 v3, 0
	v_mov_b32_e32 v4, v1
	v_sub_u32_e32 v1, s33, v22
	s_lshl_b32 s57, s3, 2
	v_mul_lo_u32 v25, s7, v6
	v_add_u32_e32 v27, s8, v7
	s_lshl_b32 s58, s2, 2
	v_mul_lo_u32 v29, s8, v6
	s_mov_b64 s[24:25], 0
	v_mov_b32_e32 v31, s19
	v_cmp_ne_u32_e64 s[0:1], 1, v2
	s_mov_b32 s19, 0xd2511f53
	s_mov_b32 s59, 0xf1bbcdc8
	;; [unrolled: 1-line block ×3, first 2 shown]
                                        ; implicit-def: $sgpr26_sgpr27
                                        ; implicit-def: $sgpr28_sgpr29
                                        ; implicit-def: $sgpr30_sgpr31
                                        ; implicit-def: $sgpr22_sgpr23
                                        ; implicit-def: $sgpr34_sgpr35
                                        ; implicit-def: $sgpr36_sgpr37
                                        ; implicit-def: $sgpr38_sgpr39
                                        ; implicit-def: $sgpr40_sgpr41
	s_branch .LBB99_3
.LBB99_2:                               ;   in Loop: Header=BB99_3 Depth=1
	s_or_b64 exec, exec, s[4:5]
	s_and_b64 s[2:3], exec, s[2:3]
	s_or_b64 s[24:25], s[2:3], s[24:25]
	s_andn2_b64 s[2:3], s[22:23], exec
	s_and_b64 s[4:5], s[40:41], exec
	s_or_b64 s[22:23], s[2:3], s[4:5]
	s_andn2_b64 s[2:3], s[30:31], exec
	s_and_b64 s[4:5], s[38:39], exec
	s_or_b64 s[30:31], s[2:3], s[4:5]
	s_andn2_b64 s[2:3], s[28:29], exec
	s_and_b64 s[4:5], s[36:37], exec
	s_or_b64 s[28:29], s[2:3], s[4:5]
	s_andn2_b64 s[2:3], s[26:27], exec
	s_and_b64 s[4:5], s[34:35], exec
	s_or_b64 s[26:27], s[2:3], s[4:5]
	s_andn2_b64 exec, exec, s[24:25]
	s_cbranch_execz .LBB99_39
.LBB99_3:                               ; =>This Inner Loop Header: Depth=1
	v_add_u32_e32 v2, s55, v30
	v_cmp_lt_i32_e64 s[2:3], 0, v1
	v_cndmask_b32_e64 v2, 0, v2, s[2:3]
	v_add_u32_e32 v8, s55, v27
	v_lshlrev_b64 v[6:7], 2, v[2:3]
	v_cmp_lt_i32_e64 s[4:5], 1, v1
	v_add_co_u32_e32 v6, vcc, s18, v6
	v_cndmask_b32_e64 v2, 0, v8, s[4:5]
	v_add_u32_e32 v10, s55, v28
	v_addc_co_u32_e32 v7, vcc, v31, v7, vcc
	v_lshlrev_b64 v[8:9], 2, v[2:3]
	v_cmp_lt_i32_e64 s[6:7], 2, v1
	v_add_co_u32_e32 v8, vcc, s18, v8
	v_cndmask_b32_e64 v2, 0, v10, s[6:7]
	v_add_u32_e32 v12, s55, v29
	v_addc_co_u32_e32 v9, vcc, v31, v9, vcc
	v_lshlrev_b64 v[10:11], 2, v[2:3]
	v_cmp_lt_i32_e64 s[8:9], 3, v1
	v_add_co_u32_e32 v10, vcc, s18, v10
	v_cndmask_b32_e64 v2, 0, v12, s[8:9]
	v_addc_co_u32_e32 v11, vcc, v31, v11, vcc
	v_lshlrev_b64 v[12:13], 2, v[2:3]
	v_add_co_u32_e32 v12, vcc, s18, v12
	v_addc_co_u32_e32 v13, vcc, v31, v13, vcc
	global_load_dword v32, v[6:7], off
	global_load_dword v33, v[8:9], off
	;; [unrolled: 1-line block ×4, first 2 shown]
	s_and_b64 vcc, exec, s[0:1]
	v_pk_mov_b32 v[6:7], s[14:15], s[14:15] op_sel:[0,1]
	v_pk_mov_b32 v[8:9], s[12:13], s[12:13] op_sel:[0,1]
	s_cbranch_vccnz .LBB99_5
; %bb.4:                                ;   in Loop: Header=BB99_3 Depth=1
	v_pk_mov_b32 v[6:7], s[14:15], s[14:15] op_sel:[0,1]
	flat_load_dwordx2 v[6:7], v[6:7]
	v_pk_mov_b32 v[8:9], s[12:13], s[12:13] op_sel:[0,1]
	flat_load_dwordx2 v[8:9], v[8:9]
	v_mov_b32_e32 v2, s21
	s_waitcnt vmcnt(0) lgkmcnt(0)
	v_add_co_u32_e32 v6, vcc, s20, v6
	v_addc_co_u32_e32 v7, vcc, v7, v2, vcc
.LBB99_5:                               ;   in Loop: Header=BB99_3 Depth=1
	v_alignbit_b32 v18, v7, v6, 2
	v_lshrrev_b32_e32 v19, 2, v7
	v_xor_b32_e32 v10, v4, v8
	v_and_b32_e32 v2, 3, v6
	v_mad_u64_u32 v[6:7], s[10:11], v18, s19, 0
	v_xor_b32_e32 v10, v10, v19
	v_xor_b32_e32 v7, v7, v9
	v_add_u32_e32 v40, 0xbb67ae85, v9
	v_mad_u64_u32 v[10:11], s[10:11], v10, s19, 0
	v_mad_u64_u32 v[12:13], s[10:11], v7, s54, 0
	v_xor_b32_e32 v11, v40, v11
	v_add_u32_e32 v39, 0x9e3779b9, v8
	v_xor_b32_e32 v7, v0, v13
	v_xor_b32_e32 v11, v11, v6
	v_xor_b32_e32 v7, v7, v39
	v_add_u32_e32 v41, 0x3c6ef372, v8
	v_mad_u64_u32 v[14:15], s[10:11], v11, s54, 0
	v_add_u32_e32 v42, 0x76cf5d0a, v9
	v_mad_u64_u32 v[6:7], s[10:11], v7, s19, 0
	v_xor_b32_e32 v11, v41, v15
	v_xor_b32_e32 v11, v11, v12
	v_xor_b32_e32 v7, v42, v7
	v_xor_b32_e32 v7, v7, v10
	v_add_u32_e32 v44, 0x32370b8f, v9
	v_mad_u64_u32 v[10:11], s[10:11], v11, s19, 0
	v_add_u32_e32 v43, 0xdaa66d2b, v8
	v_mad_u64_u32 v[12:13], s[10:11], v7, s54, 0
	v_xor_b32_e32 v11, v44, v11
	;; [unrolled: 8-line block ×5, first 2 shown]
	v_xor_b32_e32 v11, v11, v12
	v_xor_b32_e32 v7, v50, v7
	;; [unrolled: 1-line block ×3, first 2 shown]
	v_add_u32_e32 v52, 0x1fd5c5a3, v9
	v_mad_u64_u32 v[10:11], s[10:11], v11, s19, 0
	v_xor_b32_e32 v11, v52, v11
	v_xor_b32_e32 v6, v11, v6
	v_add_u32_e32 v51, 0x5384540f, v8
	v_mad_u64_u32 v[16:17], s[10:11], v7, s54, 0
	v_add_co_u32_e32 v37, vcc, s59, v8
	v_mad_u64_u32 v[12:13], s[10:11], v6, s54, 0
	v_xor_b32_e32 v7, v51, v17
	v_xor_b32_e32 v6, v37, v13
	;; [unrolled: 1-line block ×4, first 2 shown]
	v_mad_u64_u32 v[14:15], s[10:11], v7, s19, 0
	v_mad_u64_u32 v[6:7], s[10:11], v6, s19, 0
	v_add_u32_e32 v38, 0x96a522ad, v9
	v_xor_b32_e32 v7, v7, v14
	v_xor_b32_e32 v36, v38, v7
	v_add_co_u32_e32 v7, vcc, 1, v18
	v_cndmask_b32_e64 v14, 0, 1, vcc
	v_addc_co_u32_e32 v20, vcc, 0, v19, vcc
	v_cmp_eq_u32_e32 vcc, 0, v20
	v_cndmask_b32_e32 v14, 0, v14, vcc
	v_add_u32_e32 v18, v14, v5
	v_cmp_eq_u32_e32 vcc, 0, v18
	v_mad_u64_u32 v[16:17], s[10:11], v7, s19, 0
	v_mad_u64_u32 v[18:19], s[10:11], v18, s54, 0
	v_add_u32_e32 v13, 0x8ff34781, v8
	v_cndmask_b32_e32 v14, 0, v14, vcc
	v_xor_b32_e32 v7, v19, v8
	v_xor_b32_e32 v8, v17, v9
	;; [unrolled: 1-line block ×4, first 2 shown]
	v_mad_u64_u32 v[20:21], s[10:11], v14, s54, 0
	v_add_u32_e32 v11, 0xdb3d7428, v9
	v_mad_u64_u32 v[8:9], s[10:11], v7, s19, 0
	v_xor_b32_e32 v7, v39, v21
	v_xor_b32_e32 v7, v7, v18
	v_xor_b32_e32 v9, v40, v9
	v_xor_b32_e32 v9, v9, v16
	v_mad_u64_u32 v[16:17], s[10:11], v7, s19, 0
	v_mad_u64_u32 v[18:19], s[10:11], v9, s54, 0
	v_xor_b32_e32 v9, v42, v17
	v_xor_b32_e32 v7, v41, v19
	v_xor_b32_e32 v14, v9, v8
	v_xor_b32_e32 v7, v7, v20
	v_mad_u64_u32 v[20:21], s[10:11], v14, s54, 0
	;; [unrolled: 6-line block ×7, first 2 shown]
	v_xor_b32_e32 v7, v11, v19
	v_xor_b32_e32 v7, v7, v8
	v_mad_u64_u32 v[20:21], s[10:11], v9, s54, 0
	v_mad_u64_u32 v[8:9], s[10:11], v7, s54, 0
	v_xor_b32_e32 v7, v9, v20
	v_xor_b32_e32 v7, v13, v7
	v_cmp_lt_i32_e32 vcc, 1, v2
                                        ; implicit-def: $vgpr17
	s_and_saveexec_b64 s[10:11], vcc
	s_xor_b64 s[10:11], exec, s[10:11]
	s_cbranch_execz .LBB99_11
; %bb.6:                                ;   in Loop: Header=BB99_3 Depth=1
	v_cmp_lt_i32_e32 vcc, 2, v2
                                        ; implicit-def: $vgpr17
	s_and_saveexec_b64 s[42:43], vcc
	s_xor_b64 s[42:43], exec, s[42:43]
; %bb.7:                                ;   in Loop: Header=BB99_3 Depth=1
	v_xor_b32_e32 v2, v37, v21
	v_xor_b32_e32 v2, v2, v16
	v_mul_hi_u32 v2, v2, s19
	v_xor_b32_e32 v2, v2, v18
	v_xor_b32_e32 v17, v38, v2
                                        ; implicit-def: $vgpr36
; %bb.8:                                ;   in Loop: Header=BB99_3 Depth=1
	s_andn2_saveexec_b64 s[42:43], s[42:43]
; %bb.9:                                ;   in Loop: Header=BB99_3 Depth=1
	v_mov_b32_e32 v17, v8
	v_mov_b32_e32 v8, v7
	v_mov_b32_e32 v7, v6
	v_mov_b32_e32 v6, v36
; %bb.10:                               ;   in Loop: Header=BB99_3 Depth=1
	s_or_b64 exec, exec, s[42:43]
                                        ; implicit-def: $vgpr10_vgpr11
                                        ; implicit-def: $vgpr12_vgpr13
                                        ; implicit-def: $vgpr2
                                        ; implicit-def: $vgpr36
                                        ; implicit-def: $vgpr14_vgpr15
                                        ; implicit-def: $vgpr11
                                        ; implicit-def: $vgpr13
.LBB99_11:                              ;   in Loop: Header=BB99_3 Depth=1
	s_andn2_saveexec_b64 s[10:11], s[10:11]
	s_cbranch_execz .LBB99_15
; %bb.12:                               ;   in Loop: Header=BB99_3 Depth=1
	v_xor_b32_e32 v8, v11, v15
	v_xor_b32_e32 v8, v8, v10
	v_mad_u64_u32 v[10:11], s[42:43], v8, s54, 0
	v_xor_b32_e32 v8, v11, v12
	v_xor_b32_e32 v9, v13, v8
	v_cmp_eq_u32_e32 vcc, 1, v2
	v_mov_b32_e32 v17, v6
	v_mov_b32_e32 v8, v36
	;; [unrolled: 1-line block ×3, first 2 shown]
	s_and_saveexec_b64 s[42:43], vcc
; %bb.13:                               ;   in Loop: Header=BB99_3 Depth=1
	v_mov_b32_e32 v17, v7
	v_mov_b32_e32 v8, v6
	;; [unrolled: 1-line block ×4, first 2 shown]
; %bb.14:                               ;   in Loop: Header=BB99_3 Depth=1
	s_or_b64 exec, exec, s[42:43]
	v_mov_b32_e32 v6, v9
	v_mov_b32_e32 v7, v2
.LBB99_15:                              ;   in Loop: Header=BB99_3 Depth=1
	s_or_b64 exec, exec, s[10:11]
	v_min_i32_e32 v9, 4, v1
	v_cmp_lt_i32_e32 vcc, 2, v9
	s_mov_b64 s[42:43], 0
	s_mov_b64 s[50:51], 0
                                        ; implicit-def: $sgpr10_sgpr11
                                        ; implicit-def: $sgpr44_sgpr45
                                        ; implicit-def: $sgpr46_sgpr47
	s_and_saveexec_b64 s[48:49], vcc
	s_xor_b64 s[48:49], exec, s[48:49]
	s_cbranch_execz .LBB99_25
; %bb.16:                               ;   in Loop: Header=BB99_3 Depth=1
	v_cmp_lt_i32_e32 vcc, 3, v9
	s_mov_b64 s[46:47], -1
                                        ; implicit-def: $sgpr10_sgpr11
                                        ; implicit-def: $sgpr50_sgpr51
	s_and_saveexec_b64 s[44:45], vcc
	s_cbranch_execz .LBB99_20
; %bb.17:                               ;   in Loop: Header=BB99_3 Depth=1
	s_waitcnt vmcnt(0)
	v_cmp_le_f32_e32 vcc, 0, v35
	v_cmp_ge_f32_e64 s[10:11], 1.0, v35
	s_and_b64 s[52:53], vcc, s[10:11]
	s_mov_b64 s[10:11], 0
	s_mov_b64 s[46:47], 0
	s_and_saveexec_b64 s[50:51], s[52:53]
	s_cbranch_execz .LBB99_19
; %bb.18:                               ;   in Loop: Header=BB99_3 Depth=1
	v_cvt_f32_u32_e32 v2, v17
	v_mov_b32_e32 v12, 0x2f800000
	v_add_u32_e32 v10, s60, v25
	s_mov_b64 s[46:47], exec
	v_fmac_f32_e32 v12, 0x2f800000, v2
	v_cndmask_b32_e64 v2, 0, v10, s[8:9]
	v_lshlrev_b64 v[10:11], 1, v[2:3]
	v_mov_b32_e32 v2, s17
	v_add_co_u32_e32 v10, vcc, s16, v10
	v_addc_co_u32_e32 v11, vcc, v2, v11, vcc
	v_cmp_le_f32_e32 vcc, v12, v35
	v_cndmask_b32_e64 v2, 0, 1.0, vcc
	global_store_short_d16_hi v[10:11], v2, off
.LBB99_19:                              ;   in Loop: Header=BB99_3 Depth=1
	s_or_b64 exec, exec, s[50:51]
	s_mov_b64 s[50:51], -1
	s_orn2_b64 s[46:47], s[46:47], exec
.LBB99_20:                              ;   in Loop: Header=BB99_3 Depth=1
	s_or_b64 exec, exec, s[44:45]
	s_mov_b64 s[8:9], 0
	s_mov_b64 s[52:53], s[10:11]
	s_and_saveexec_b64 s[44:45], s[46:47]
	s_cbranch_execz .LBB99_24
; %bb.21:                               ;   in Loop: Header=BB99_3 Depth=1
	s_waitcnt vmcnt(1)
	v_cmp_le_f32_e32 vcc, 0, v34
	v_cmp_ge_f32_e64 s[8:9], 1.0, v34
	s_and_b64 s[46:47], vcc, s[8:9]
	s_mov_b64 s[8:9], 0
	s_and_saveexec_b64 s[52:53], s[46:47]
	s_xor_b64 s[46:47], exec, s[52:53]
	s_cbranch_execz .LBB99_23
; %bb.22:                               ;   in Loop: Header=BB99_3 Depth=1
	v_cvt_f32_u32_e32 v2, v8
	v_mov_b32_e32 v8, 0x2f800000
	v_add_u32_e32 v10, s60, v24
	s_mov_b64 s[8:9], exec
	v_fmac_f32_e32 v8, 0x2f800000, v2
	v_cndmask_b32_e64 v2, 0, v10, s[6:7]
	v_lshlrev_b64 v[10:11], 1, v[2:3]
	v_mov_b32_e32 v2, s17
	v_add_co_u32_e32 v10, vcc, s16, v10
	v_addc_co_u32_e32 v11, vcc, v2, v11, vcc
	v_cmp_le_f32_e32 vcc, v8, v34
	v_cndmask_b32_e64 v2, 0, 1.0, vcc
	global_store_short_d16_hi v[10:11], v2, off
.LBB99_23:                              ;   in Loop: Header=BB99_3 Depth=1
	s_or_b64 exec, exec, s[46:47]
	s_andn2_b64 s[52:53], s[10:11], exec
	s_or_b64 s[10:11], s[10:11], exec
	s_andn2_b64 s[50:51], s[50:51], exec
	s_and_b64 s[8:9], s[8:9], exec
.LBB99_24:                              ;   in Loop: Header=BB99_3 Depth=1
	s_or_b64 exec, exec, s[44:45]
	s_and_b64 s[46:47], s[52:53], exec
	s_and_b64 s[44:45], s[10:11], exec
	;; [unrolled: 1-line block ×4, first 2 shown]
.LBB99_25:                              ;   in Loop: Header=BB99_3 Depth=1
	s_andn2_saveexec_b64 s[6:7], s[48:49]
; %bb.26:                               ;   in Loop: Header=BB99_3 Depth=1
	v_cmp_lt_i32_e32 vcc, 1, v9
	s_andn2_b64 s[8:9], s[50:51], exec
	s_and_b64 s[48:49], vcc, exec
	s_mov_b64 s[42:43], exec
	s_andn2_b64 s[46:47], s[46:47], exec
	s_andn2_b64 s[44:45], s[44:45], exec
	;; [unrolled: 1-line block ×3, first 2 shown]
	s_or_b64 s[50:51], s[8:9], s[48:49]
; %bb.27:                               ;   in Loop: Header=BB99_3 Depth=1
	s_or_b64 exec, exec, s[6:7]
	s_mov_b64 s[8:9], 0
	s_mov_b64 s[48:49], 0
	;; [unrolled: 1-line block ×3, first 2 shown]
	s_and_saveexec_b64 s[52:53], s[50:51]
	s_cbranch_execnz .LBB99_30
; %bb.28:                               ;   in Loop: Header=BB99_3 Depth=1
	s_or_b64 exec, exec, s[52:53]
	s_and_saveexec_b64 s[4:5], s[42:43]
	s_cbranch_execnz .LBB99_33
.LBB99_29:                              ;   in Loop: Header=BB99_3 Depth=1
	s_or_b64 exec, exec, s[4:5]
	s_and_saveexec_b64 s[42:43], s[48:49]
	s_cbranch_execnz .LBB99_34
	s_branch .LBB99_37
.LBB99_30:                              ;   in Loop: Header=BB99_3 Depth=1
	s_waitcnt vmcnt(2)
	v_cmp_le_f32_e32 vcc, 0, v33
	v_cmp_ge_f32_e64 s[6:7], 1.0, v33
	s_and_b64 s[6:7], vcc, s[6:7]
	s_and_saveexec_b64 s[50:51], s[6:7]
	s_xor_b64 s[6:7], exec, s[50:51]
	s_cbranch_execz .LBB99_32
; %bb.31:                               ;   in Loop: Header=BB99_3 Depth=1
	v_cvt_f32_u32_e32 v2, v7
	v_mov_b32_e32 v7, 0x2f800000
	v_add_u32_e32 v8, s60, v23
	s_mov_b64 s[48:49], exec
	v_fmac_f32_e32 v7, 0x2f800000, v2
	v_cndmask_b32_e64 v2, 0, v8, s[4:5]
	v_lshlrev_b64 v[10:11], 1, v[2:3]
	v_mov_b32_e32 v2, s17
	v_add_co_u32_e32 v10, vcc, s16, v10
	v_addc_co_u32_e32 v11, vcc, v2, v11, vcc
	v_cmp_le_f32_e32 vcc, v7, v33
	v_cndmask_b32_e64 v2, 0, 1.0, vcc
	global_store_short_d16_hi v[10:11], v2, off
.LBB99_32:                              ;   in Loop: Header=BB99_3 Depth=1
	s_or_b64 exec, exec, s[6:7]
	s_andn2_b64 s[6:7], s[46:47], exec
	s_or_b64 s[46:47], s[46:47], exec
	s_andn2_b64 s[44:45], s[44:45], exec
	s_andn2_b64 s[10:11], s[10:11], exec
	s_and_b64 s[48:49], s[48:49], exec
	s_andn2_b64 s[42:43], s[42:43], exec
	s_or_b64 exec, exec, s[52:53]
	s_and_saveexec_b64 s[4:5], s[42:43]
	s_cbranch_execz .LBB99_29
.LBB99_33:                              ;   in Loop: Header=BB99_3 Depth=1
	v_cmp_eq_u32_e32 vcc, 1, v9
	s_andn2_b64 s[42:43], s[48:49], exec
	s_and_b64 s[48:49], vcc, exec
	s_mov_b64 s[8:9], exec
	s_andn2_b64 s[6:7], s[6:7], exec
	s_andn2_b64 s[46:47], s[46:47], exec
	;; [unrolled: 1-line block ×4, first 2 shown]
	s_or_b64 s[48:49], s[42:43], s[48:49]
	s_or_b64 exec, exec, s[4:5]
	s_and_saveexec_b64 s[42:43], s[48:49]
	s_cbranch_execz .LBB99_37
.LBB99_34:                              ;   in Loop: Header=BB99_3 Depth=1
	s_waitcnt vmcnt(3)
	v_cmp_le_f32_e32 vcc, 0, v32
	v_cmp_ge_f32_e64 s[4:5], 1.0, v32
	s_and_b64 s[50:51], vcc, s[4:5]
	s_mov_b64 s[4:5], 0
	s_and_saveexec_b64 s[48:49], s[50:51]
	s_cbranch_execz .LBB99_36
; %bb.35:                               ;   in Loop: Header=BB99_3 Depth=1
	v_cvt_f32_u32_e32 v2, v6
	v_mov_b32_e32 v8, 0x2f800000
	v_add_u32_e32 v6, s60, v26
	s_mov_b64 s[4:5], exec
	v_fmac_f32_e32 v8, 0x2f800000, v2
	v_cndmask_b32_e64 v2, 0, v6, s[2:3]
	v_lshlrev_b64 v[6:7], 1, v[2:3]
	v_mov_b32_e32 v2, s17
	v_add_co_u32_e32 v6, vcc, s16, v6
	v_addc_co_u32_e32 v7, vcc, v2, v7, vcc
	v_cmp_le_f32_e32 vcc, v8, v32
	v_cndmask_b32_e64 v2, 0, 1.0, vcc
	global_store_short_d16_hi v[6:7], v2, off
.LBB99_36:                              ;   in Loop: Header=BB99_3 Depth=1
	s_or_b64 exec, exec, s[48:49]
	s_andn2_b64 s[2:3], s[8:9], exec
	s_and_b64 s[4:5], s[4:5], exec
	s_or_b64 s[6:7], s[6:7], exec
	s_andn2_b64 s[46:47], s[46:47], exec
	s_andn2_b64 s[44:45], s[44:45], exec
	;; [unrolled: 1-line block ×3, first 2 shown]
	s_or_b64 s[8:9], s[2:3], s[4:5]
.LBB99_37:                              ;   in Loop: Header=BB99_3 Depth=1
	s_or_b64 exec, exec, s[42:43]
	s_andn2_b64 s[4:5], s[40:41], exec
	s_and_b64 s[6:7], s[6:7], exec
	s_or_b64 s[40:41], s[4:5], s[6:7]
	s_andn2_b64 s[4:5], s[38:39], exec
	s_and_b64 s[6:7], s[46:47], exec
	s_or_b64 s[38:39], s[4:5], s[6:7]
	;; [unrolled: 3-line block ×3, first 2 shown]
	s_andn2_b64 s[4:5], s[34:35], exec
	s_and_b64 s[6:7], s[10:11], exec
	s_mov_b64 s[2:3], -1
	s_or_b64 s[34:35], s[4:5], s[6:7]
	s_and_saveexec_b64 s[4:5], s[8:9]
	s_cbranch_execz .LBB99_2
; %bb.38:                               ;   in Loop: Header=BB99_3 Depth=1
	v_add_u32_e32 v22, s56, v22
	v_cmp_le_u32_e32 vcc, s33, v22
	v_subrev_u32_e32 v1, s56, v1
	s_add_i32 s60, s60, s57
	s_add_i32 s55, s55, s58
	s_andn2_b64 s[40:41], s[40:41], exec
	s_andn2_b64 s[38:39], s[38:39], exec
	;; [unrolled: 1-line block ×4, first 2 shown]
	s_orn2_b64 s[2:3], vcc, exec
	s_branch .LBB99_2
.LBB99_39:
	s_or_b64 exec, exec, s[24:25]
	s_xor_b64 s[6:7], s[30:31], -1
	s_xor_b64 s[8:9], s[28:29], -1
	;; [unrolled: 1-line block ×3, first 2 shown]
	s_mov_b64 s[2:3], 0
	s_and_saveexec_b64 s[4:5], s[0:1]
	s_xor_b64 s[0:1], exec, s[4:5]
	s_cbranch_execnz .LBB99_44
; %bb.40:
	s_andn2_saveexec_b64 s[0:1], s[0:1]
	s_cbranch_execnz .LBB99_52
.LBB99_41:
	s_or_b64 exec, exec, s[0:1]
	s_and_b64 exec, exec, s[2:3]
.LBB99_42:
	; divergent unreachable
.LBB99_43:
	s_endpgm
.LBB99_44:
	s_mov_b64 s[4:5], 0
	s_and_saveexec_b64 s[2:3], s[8:9]
	s_xor_b64 s[2:3], exec, s[2:3]
	s_cbranch_execz .LBB99_50
; %bb.45:
	s_and_saveexec_b64 s[8:9], s[6:7]
	s_xor_b64 s[6:7], exec, s[8:9]
	s_cbranch_execz .LBB99_48
; %bb.46:
	s_and_saveexec_b64 s[8:9], s[22:23]
	s_xor_b64 s[8:9], exec, s[8:9]
	s_cbranch_execnz .LBB99_55
.LBB99_47:
	s_or_b64 exec, exec, s[8:9]
	s_and_b64 s[4:5], s[4:5], exec
.LBB99_48:
	s_andn2_saveexec_b64 s[6:7], s[6:7]
	s_cbranch_execnz .LBB99_54
.LBB99_49:
	s_or_b64 exec, exec, s[6:7]
	s_and_b64 s[4:5], s[4:5], exec
.LBB99_50:
	s_andn2_saveexec_b64 s[2:3], s[2:3]
	s_cbranch_execnz .LBB99_53
.LBB99_51:
	s_or_b64 exec, exec, s[2:3]
	s_and_b64 s[2:3], s[4:5], exec
	s_andn2_saveexec_b64 s[0:1], s[0:1]
	s_cbranch_execz .LBB99_41
.LBB99_52:
	s_or_b64 s[2:3], s[2:3], exec
	s_trap 2
	s_or_b64 exec, exec, s[0:1]
	s_and_b64 exec, exec, s[2:3]
	s_cbranch_execnz .LBB99_42
	s_branch .LBB99_43
.LBB99_53:
	s_or_b64 s[4:5], s[4:5], exec
	s_trap 2
	s_branch .LBB99_51
.LBB99_54:
	s_trap 2
	s_or_b64 s[4:5], s[4:5], exec
	s_branch .LBB99_49
.LBB99_55:
	s_mov_b64 s[4:5], exec
	s_trap 2
	s_branch .LBB99_47
	.section	.rodata,"a",@progbits
	.p2align	6, 0x0
	.amdhsa_kernel _ZN2at4cuda12_GLOBAL__N_121kernelPointwiseApply2IZNS_6native9templates4cuda28bernoulli_tensor_cuda_kernelIN3c108BFloat16EfEEvRKNS_10TensorBaseESB_NS_15PhiloxCudaStateEEUliRS8_SD_SD_SD_RKfSF_SF_SF_E_S8_SE_jLi1ELi1ELi4ELi512ELi2EEEvNS0_6detail10TensorInfoIT0_T2_EENSI_IT1_SK_EESK_T_
		.amdhsa_group_segment_fixed_size 0
		.amdhsa_private_segment_fixed_size 0
		.amdhsa_kernarg_size 728
		.amdhsa_user_sgpr_count 6
		.amdhsa_user_sgpr_private_segment_buffer 1
		.amdhsa_user_sgpr_dispatch_ptr 0
		.amdhsa_user_sgpr_queue_ptr 0
		.amdhsa_user_sgpr_kernarg_segment_ptr 1
		.amdhsa_user_sgpr_dispatch_id 0
		.amdhsa_user_sgpr_flat_scratch_init 0
		.amdhsa_user_sgpr_kernarg_preload_length 0
		.amdhsa_user_sgpr_kernarg_preload_offset 0
		.amdhsa_user_sgpr_private_segment_size 0
		.amdhsa_uses_dynamic_stack 0
		.amdhsa_system_sgpr_private_segment_wavefront_offset 0
		.amdhsa_system_sgpr_workgroup_id_x 1
		.amdhsa_system_sgpr_workgroup_id_y 0
		.amdhsa_system_sgpr_workgroup_id_z 0
		.amdhsa_system_sgpr_workgroup_info 0
		.amdhsa_system_vgpr_workitem_id 0
		.amdhsa_next_free_vgpr 53
		.amdhsa_next_free_sgpr 61
		.amdhsa_accum_offset 56
		.amdhsa_reserve_vcc 1
		.amdhsa_reserve_flat_scratch 0
		.amdhsa_float_round_mode_32 0
		.amdhsa_float_round_mode_16_64 0
		.amdhsa_float_denorm_mode_32 3
		.amdhsa_float_denorm_mode_16_64 3
		.amdhsa_dx10_clamp 1
		.amdhsa_ieee_mode 1
		.amdhsa_fp16_overflow 0
		.amdhsa_tg_split 0
		.amdhsa_exception_fp_ieee_invalid_op 0
		.amdhsa_exception_fp_denorm_src 0
		.amdhsa_exception_fp_ieee_div_zero 0
		.amdhsa_exception_fp_ieee_overflow 0
		.amdhsa_exception_fp_ieee_underflow 0
		.amdhsa_exception_fp_ieee_inexact 0
		.amdhsa_exception_int_div_zero 0
	.end_amdhsa_kernel
	.section	.text._ZN2at4cuda12_GLOBAL__N_121kernelPointwiseApply2IZNS_6native9templates4cuda28bernoulli_tensor_cuda_kernelIN3c108BFloat16EfEEvRKNS_10TensorBaseESB_NS_15PhiloxCudaStateEEUliRS8_SD_SD_SD_RKfSF_SF_SF_E_S8_SE_jLi1ELi1ELi4ELi512ELi2EEEvNS0_6detail10TensorInfoIT0_T2_EENSI_IT1_SK_EESK_T_,"axG",@progbits,_ZN2at4cuda12_GLOBAL__N_121kernelPointwiseApply2IZNS_6native9templates4cuda28bernoulli_tensor_cuda_kernelIN3c108BFloat16EfEEvRKNS_10TensorBaseESB_NS_15PhiloxCudaStateEEUliRS8_SD_SD_SD_RKfSF_SF_SF_E_S8_SE_jLi1ELi1ELi4ELi512ELi2EEEvNS0_6detail10TensorInfoIT0_T2_EENSI_IT1_SK_EESK_T_,comdat
.Lfunc_end99:
	.size	_ZN2at4cuda12_GLOBAL__N_121kernelPointwiseApply2IZNS_6native9templates4cuda28bernoulli_tensor_cuda_kernelIN3c108BFloat16EfEEvRKNS_10TensorBaseESB_NS_15PhiloxCudaStateEEUliRS8_SD_SD_SD_RKfSF_SF_SF_E_S8_SE_jLi1ELi1ELi4ELi512ELi2EEEvNS0_6detail10TensorInfoIT0_T2_EENSI_IT1_SK_EESK_T_, .Lfunc_end99-_ZN2at4cuda12_GLOBAL__N_121kernelPointwiseApply2IZNS_6native9templates4cuda28bernoulli_tensor_cuda_kernelIN3c108BFloat16EfEEvRKNS_10TensorBaseESB_NS_15PhiloxCudaStateEEUliRS8_SD_SD_SD_RKfSF_SF_SF_E_S8_SE_jLi1ELi1ELi4ELi512ELi2EEEvNS0_6detail10TensorInfoIT0_T2_EENSI_IT1_SK_EESK_T_
                                        ; -- End function
	.section	.AMDGPU.csdata,"",@progbits
; Kernel info:
; codeLenInByte = 2652
; NumSgprs: 65
; NumVgprs: 53
; NumAgprs: 0
; TotalNumVgprs: 53
; ScratchSize: 0
; MemoryBound: 0
; FloatMode: 240
; IeeeMode: 1
; LDSByteSize: 0 bytes/workgroup (compile time only)
; SGPRBlocks: 8
; VGPRBlocks: 6
; NumSGPRsForWavesPerEU: 65
; NumVGPRsForWavesPerEU: 53
; AccumOffset: 56
; Occupancy: 8
; WaveLimiterHint : 1
; COMPUTE_PGM_RSRC2:SCRATCH_EN: 0
; COMPUTE_PGM_RSRC2:USER_SGPR: 6
; COMPUTE_PGM_RSRC2:TRAP_HANDLER: 0
; COMPUTE_PGM_RSRC2:TGID_X_EN: 1
; COMPUTE_PGM_RSRC2:TGID_Y_EN: 0
; COMPUTE_PGM_RSRC2:TGID_Z_EN: 0
; COMPUTE_PGM_RSRC2:TIDIG_COMP_CNT: 0
; COMPUTE_PGM_RSRC3_GFX90A:ACCUM_OFFSET: 13
; COMPUTE_PGM_RSRC3_GFX90A:TG_SPLIT: 0
	.section	.text._ZN2at4cuda12_GLOBAL__N_121kernelPointwiseApply2IZNS_6native9templates4cuda28bernoulli_tensor_cuda_kernelIN3c108BFloat16EfEEvRKNS_10TensorBaseESB_NS_15PhiloxCudaStateEEUliRS8_SD_SD_SD_RKfSF_SF_SF_E_S8_SE_jLi1ELi2ELi4ELi512ELi2EEEvNS0_6detail10TensorInfoIT0_T2_EENSI_IT1_SK_EESK_T_,"axG",@progbits,_ZN2at4cuda12_GLOBAL__N_121kernelPointwiseApply2IZNS_6native9templates4cuda28bernoulli_tensor_cuda_kernelIN3c108BFloat16EfEEvRKNS_10TensorBaseESB_NS_15PhiloxCudaStateEEUliRS8_SD_SD_SD_RKfSF_SF_SF_E_S8_SE_jLi1ELi2ELi4ELi512ELi2EEEvNS0_6detail10TensorInfoIT0_T2_EENSI_IT1_SK_EESK_T_,comdat
	.globl	_ZN2at4cuda12_GLOBAL__N_121kernelPointwiseApply2IZNS_6native9templates4cuda28bernoulli_tensor_cuda_kernelIN3c108BFloat16EfEEvRKNS_10TensorBaseESB_NS_15PhiloxCudaStateEEUliRS8_SD_SD_SD_RKfSF_SF_SF_E_S8_SE_jLi1ELi2ELi4ELi512ELi2EEEvNS0_6detail10TensorInfoIT0_T2_EENSI_IT1_SK_EESK_T_ ; -- Begin function _ZN2at4cuda12_GLOBAL__N_121kernelPointwiseApply2IZNS_6native9templates4cuda28bernoulli_tensor_cuda_kernelIN3c108BFloat16EfEEvRKNS_10TensorBaseESB_NS_15PhiloxCudaStateEEUliRS8_SD_SD_SD_RKfSF_SF_SF_E_S8_SE_jLi1ELi2ELi4ELi512ELi2EEEvNS0_6detail10TensorInfoIT0_T2_EENSI_IT1_SK_EESK_T_
	.p2align	8
	.type	_ZN2at4cuda12_GLOBAL__N_121kernelPointwiseApply2IZNS_6native9templates4cuda28bernoulli_tensor_cuda_kernelIN3c108BFloat16EfEEvRKNS_10TensorBaseESB_NS_15PhiloxCudaStateEEUliRS8_SD_SD_SD_RKfSF_SF_SF_E_S8_SE_jLi1ELi2ELi4ELi512ELi2EEEvNS0_6detail10TensorInfoIT0_T2_EENSI_IT1_SK_EESK_T_,@function
_ZN2at4cuda12_GLOBAL__N_121kernelPointwiseApply2IZNS_6native9templates4cuda28bernoulli_tensor_cuda_kernelIN3c108BFloat16EfEEvRKNS_10TensorBaseESB_NS_15PhiloxCudaStateEEUliRS8_SD_SD_SD_RKfSF_SF_SF_E_S8_SE_jLi1ELi2ELi4ELi512ELi2EEEvNS0_6detail10TensorInfoIT0_T2_EENSI_IT1_SK_EESK_T_: ; @_ZN2at4cuda12_GLOBAL__N_121kernelPointwiseApply2IZNS_6native9templates4cuda28bernoulli_tensor_cuda_kernelIN3c108BFloat16EfEEvRKNS_10TensorBaseESB_NS_15PhiloxCudaStateEEUliRS8_SD_SD_SD_RKfSF_SF_SF_E_S8_SE_jLi1ELi2ELi4ELi512ELi2EEEvNS0_6detail10TensorInfoIT0_T2_EENSI_IT1_SK_EESK_T_
; %bb.0:
	s_load_dword s2, s[4:5], 0x1e4
	s_load_dword s33, s[4:5], 0x1b0
	s_add_u32 s0, s4, 0x1d8
	s_addc_u32 s1, s5, 0
	s_waitcnt lgkmcnt(0)
	s_and_b32 s2, s2, 0xffff
	s_mul_i32 s6, s6, s2
	v_add_u32_e32 v1, s6, v0
	v_lshlrev_b32_e32 v0, 2, v1
	v_cmp_gt_u32_e32 vcc, s33, v0
	s_and_saveexec_b64 s[6:7], vcc
	s_cbranch_execz .LBB100_51
; %bb.1:
	s_load_dwordx2 s[12:13], s[4:5], 0x0
	s_load_dword s3, s[4:5], 0x6c
	s_load_dwordx2 s[14:15], s[4:5], 0xd8
	s_load_dword s56, s[4:5], 0xe4
	s_load_dword s6, s[0:1], 0x0
	s_load_dwordx2 s[16:17], s[4:5], 0x1c8
	s_load_dword s7, s[4:5], 0x1d0
	s_load_dwordx2 s[18:19], s[4:5], 0x144
	s_load_dwordx4 s[8:11], s[4:5], 0x1b8
	s_waitcnt lgkmcnt(0)
	v_cvt_f32_u32_e32 v2, s56
	s_mov_b32 s57, 0xcd9e8d57
	s_bitcmp1_b32 s7, 0
	s_cselect_b64 s[22:23], -1, 0
	v_rcp_iflag_f32_e32 v4, v2
	v_mad_u64_u32 v[2:3], s[0:1], v1, s57, 0
	s_sub_i32 s60, 0, s56
	v_mul_f32_e32 v4, 0x4f7ffffe, v4
	v_cvt_u32_f32_e32 v4, v4
	v_mov_b32_e32 v6, v3
	s_mul_i32 s6, s6, s2
	s_lshl_b32 s59, s6, 2
	v_mul_lo_u32 v3, s60, v4
	v_mul_hi_u32 v3, v4, v3
	v_add_u32_e32 v3, v4, v3
	v_add_u32_e32 v4, 2, v0
	v_mul_lo_u32 v26, v0, s3
	v_mul_lo_u32 v28, s3, v4
	v_add_u32_e32 v4, 3, v0
	s_mov_b32 s58, 0
	v_mov_b32_e32 v5, 0
	v_sub_u32_e32 v7, s33, v0
	v_add_u32_e32 v27, s3, v26
	s_mul_i32 s61, s59, s3
	v_mul_lo_u32 v29, s3, v4
	s_mov_b64 s[24:25], 0
	s_mov_b32 s62, 0xd2511f53
	s_mov_b32 s63, 0xf1bbcdc8
                                        ; implicit-def: $sgpr26_sgpr27
                                        ; implicit-def: $sgpr28_sgpr29
                                        ; implicit-def: $sgpr30_sgpr31
                                        ; implicit-def: $sgpr20_sgpr21
                                        ; implicit-def: $sgpr34_sgpr35
                                        ; implicit-def: $sgpr36_sgpr37
                                        ; implicit-def: $sgpr38_sgpr39
                                        ; implicit-def: $sgpr40_sgpr41
	s_branch .LBB100_3
.LBB100_2:                              ;   in Loop: Header=BB100_3 Depth=1
	s_or_b64 exec, exec, s[2:3]
	s_and_b64 s[0:1], exec, s[0:1]
	s_or_b64 s[24:25], s[0:1], s[24:25]
	s_andn2_b64 s[0:1], s[20:21], exec
	s_and_b64 s[2:3], s[40:41], exec
	s_or_b64 s[20:21], s[0:1], s[2:3]
	s_andn2_b64 s[0:1], s[30:31], exec
	s_and_b64 s[2:3], s[38:39], exec
	;; [unrolled: 3-line block ×4, first 2 shown]
	s_or_b64 s[26:27], s[0:1], s[2:3]
	s_andn2_b64 exec, exec, s[24:25]
	s_cbranch_execz .LBB100_47
.LBB100_3:                              ; =>This Inner Loop Header: Depth=1
	v_pk_mov_b32 v[8:9], 0, 0
	v_cmp_lt_i32_e64 s[0:1], 0, v7
	v_pk_mov_b32 v[12:13], v[8:9], v[8:9] op_sel:[0,1]
	s_and_saveexec_b64 s[2:3], s[0:1]
	s_cbranch_execz .LBB100_5
; %bb.4:                                ;   in Loop: Header=BB100_3 Depth=1
	s_waitcnt vmcnt(0)
	v_mul_hi_u32 v4, v3, v0
	v_not_b32_e32 v12, v4
	v_mad_u64_u32 v[10:11], s[4:5], s60, v4, v[0:1]
	v_add_u32_e32 v11, 1, v4
	v_cmp_le_u32_e32 vcc, s56, v10
	v_mad_u64_u32 v[12:13], s[4:5], s56, v12, v[0:1]
	v_cndmask_b32_e32 v4, v4, v11, vcc
	v_cndmask_b32_e32 v10, v10, v12, vcc
	v_add_u32_e32 v11, 1, v4
	v_cmp_le_u32_e32 vcc, s56, v10
	v_cndmask_b32_e32 v12, v4, v11, vcc
	v_mad_u64_u32 v[10:11], s[4:5], s60, v12, v[0:1]
	v_mul_lo_u32 v4, v10, s19
	v_mad_u64_u32 v[12:13], s[4:5], v12, s18, v[4:5]
	v_mov_b32_e32 v13, v5
.LBB100_5:                              ;   in Loop: Header=BB100_3 Depth=1
	s_or_b64 exec, exec, s[2:3]
	v_cmp_lt_i32_e64 s[2:3], 1, v7
	s_and_saveexec_b64 s[4:5], s[2:3]
	s_cbranch_execz .LBB100_7
; %bb.6:                                ;   in Loop: Header=BB100_3 Depth=1
	s_waitcnt vmcnt(0)
	v_add_u32_e32 v4, 1, v0
	v_mul_hi_u32 v8, v4, v3
	v_mul_lo_u32 v9, v8, s56
	v_sub_u32_e32 v9, v4, v9
	v_add_u32_e32 v10, 1, v8
	v_cmp_le_u32_e32 vcc, s56, v9
	v_cndmask_b32_e32 v8, v8, v10, vcc
	v_subrev_u32_e32 v10, s56, v9
	v_cndmask_b32_e32 v9, v9, v10, vcc
	v_add_u32_e32 v10, 1, v8
	v_cmp_le_u32_e32 vcc, s56, v9
	v_cndmask_b32_e32 v8, v8, v10, vcc
	v_mul_lo_u32 v9, v8, s56
	v_sub_u32_e32 v4, v4, v9
	v_mul_lo_u32 v4, v4, s19
	v_mad_u64_u32 v[8:9], s[6:7], v8, s18, v[4:5]
	v_mov_b32_e32 v9, v5
.LBB100_7:                              ;   in Loop: Header=BB100_3 Depth=1
	s_or_b64 exec, exec, s[4:5]
	v_pk_mov_b32 v[10:11], 0, 0
	v_cmp_lt_i32_e64 s[4:5], 2, v7
	v_pk_mov_b32 v[14:15], v[10:11], v[10:11] op_sel:[0,1]
	s_and_saveexec_b64 s[6:7], s[4:5]
	s_cbranch_execz .LBB100_9
; %bb.8:                                ;   in Loop: Header=BB100_3 Depth=1
	s_waitcnt vmcnt(0)
	v_add_u32_e32 v4, 2, v0
	v_mul_hi_u32 v14, v4, v3
	v_mul_lo_u32 v15, v14, s56
	v_sub_u32_e32 v15, v4, v15
	v_add_u32_e32 v16, 1, v14
	v_cmp_le_u32_e32 vcc, s56, v15
	v_cndmask_b32_e32 v14, v14, v16, vcc
	v_subrev_u32_e32 v16, s56, v15
	v_cndmask_b32_e32 v15, v15, v16, vcc
	v_add_u32_e32 v16, 1, v14
	v_cmp_le_u32_e32 vcc, s56, v15
	v_cndmask_b32_e32 v14, v14, v16, vcc
	v_mul_lo_u32 v15, v14, s56
	v_sub_u32_e32 v4, v4, v15
	v_mul_lo_u32 v4, v4, s19
	v_mad_u64_u32 v[14:15], s[42:43], v14, s18, v[4:5]
	v_mov_b32_e32 v15, v5
.LBB100_9:                              ;   in Loop: Header=BB100_3 Depth=1
	s_or_b64 exec, exec, s[6:7]
	v_cmp_lt_i32_e32 vcc, 3, v7
	v_pk_mov_b32 v[16:17], v[10:11], v[10:11] op_sel:[0,1]
	s_and_saveexec_b64 s[6:7], vcc
	s_cbranch_execz .LBB100_11
; %bb.10:                               ;   in Loop: Header=BB100_3 Depth=1
	v_add_u32_e32 v10, 3, v0
	v_mul_hi_u32 v11, v10, v3
	v_mul_lo_u32 v16, v11, s56
	v_sub_u32_e32 v16, v10, v16
	v_add_u32_e32 v17, 1, v11
	v_cmp_le_u32_e32 vcc, s56, v16
	v_cndmask_b32_e32 v11, v11, v17, vcc
	v_subrev_u32_e32 v17, s56, v16
	v_cndmask_b32_e32 v16, v16, v17, vcc
	v_add_u32_e32 v17, 1, v11
	v_cmp_le_u32_e32 vcc, s56, v16
	v_cndmask_b32_e32 v11, v11, v17, vcc
	v_mul_lo_u32 v16, v11, s56
	v_sub_u32_e32 v10, v10, v16
	v_mul_lo_u32 v10, v10, s19
	s_waitcnt vmcnt(0)
	v_add_u32_e32 v4, s58, v29
	v_mad_u64_u32 v[16:17], s[42:43], v11, s18, v[10:11]
	v_mov_b32_e32 v17, v5
	v_pk_mov_b32 v[10:11], v[4:5], v[4:5] op_sel:[0,1]
.LBB100_11:                             ;   in Loop: Header=BB100_3 Depth=1
	s_or_b64 exec, exec, s[6:7]
	v_lshlrev_b64 v[12:13], 2, v[12:13]
	s_waitcnt vmcnt(0)
	v_mov_b32_e32 v4, s15
	v_add_co_u32_e32 v12, vcc, s14, v12
	v_addc_co_u32_e32 v13, vcc, v4, v13, vcc
	v_lshlrev_b64 v[8:9], 2, v[8:9]
	v_add_co_u32_e32 v8, vcc, s14, v8
	v_addc_co_u32_e32 v9, vcc, v4, v9, vcc
	v_lshlrev_b64 v[14:15], 2, v[14:15]
	;; [unrolled: 3-line block ×3, first 2 shown]
	v_add_co_u32_e32 v16, vcc, s14, v16
	v_addc_co_u32_e32 v17, vcc, v4, v17, vcc
	global_load_dword v30, v[12:13], off
	global_load_dword v31, v[8:9], off
	;; [unrolled: 1-line block ×4, first 2 shown]
	s_andn2_b64 vcc, exec, s[22:23]
	v_pk_mov_b32 v[8:9], s[10:11], s[10:11] op_sel:[0,1]
	v_pk_mov_b32 v[12:13], s[8:9], s[8:9] op_sel:[0,1]
	s_cbranch_vccnz .LBB100_13
; %bb.12:                               ;   in Loop: Header=BB100_3 Depth=1
	v_pk_mov_b32 v[8:9], s[10:11], s[10:11] op_sel:[0,1]
	flat_load_dwordx2 v[8:9], v[8:9]
	v_pk_mov_b32 v[12:13], s[8:9], s[8:9] op_sel:[0,1]
	flat_load_dwordx2 v[12:13], v[12:13]
	v_mov_b32_e32 v14, s17
	s_waitcnt vmcnt(0) lgkmcnt(0)
	v_add_co_u32_e32 v8, vcc, s16, v8
	v_addc_co_u32_e32 v9, vcc, v9, v14, vcc
.LBB100_13:                             ;   in Loop: Header=BB100_3 Depth=1
	v_alignbit_b32 v22, v9, v8, 2
	v_lshrrev_b32_e32 v23, 2, v9
	v_xor_b32_e32 v14, v6, v12
	v_and_b32_e32 v33, 3, v8
	v_mad_u64_u32 v[8:9], s[6:7], v22, s62, 0
	v_xor_b32_e32 v14, v14, v23
	v_xor_b32_e32 v9, v9, v13
	v_add_u32_e32 v38, 0xbb67ae85, v13
	v_mad_u64_u32 v[14:15], s[6:7], v14, s62, 0
	v_mad_u64_u32 v[16:17], s[6:7], v9, s57, 0
	v_xor_b32_e32 v15, v38, v15
	v_add_u32_e32 v37, 0x9e3779b9, v12
	v_xor_b32_e32 v9, v2, v17
	v_xor_b32_e32 v15, v15, v8
	v_xor_b32_e32 v9, v9, v37
	v_add_u32_e32 v39, 0x3c6ef372, v12
	v_mad_u64_u32 v[18:19], s[6:7], v15, s57, 0
	v_add_u32_e32 v40, 0x76cf5d0a, v13
	v_mad_u64_u32 v[8:9], s[6:7], v9, s62, 0
	v_xor_b32_e32 v15, v39, v19
	v_xor_b32_e32 v15, v15, v16
	v_xor_b32_e32 v9, v40, v9
	v_xor_b32_e32 v9, v9, v14
	v_add_u32_e32 v42, 0x32370b8f, v13
	v_mad_u64_u32 v[14:15], s[6:7], v15, s62, 0
	v_add_u32_e32 v41, 0xdaa66d2b, v12
	v_mad_u64_u32 v[16:17], s[6:7], v9, s57, 0
	v_xor_b32_e32 v15, v42, v15
	;; [unrolled: 8-line block ×5, first 2 shown]
	v_xor_b32_e32 v15, v15, v16
	v_xor_b32_e32 v9, v48, v9
	;; [unrolled: 1-line block ×3, first 2 shown]
	v_add_u32_e32 v50, 0x1fd5c5a3, v13
	v_mad_u64_u32 v[14:15], s[6:7], v15, s62, 0
	v_xor_b32_e32 v15, v50, v15
	v_xor_b32_e32 v8, v15, v8
	v_add_u32_e32 v49, 0x5384540f, v12
	v_mad_u64_u32 v[20:21], s[6:7], v9, s57, 0
	v_add_co_u32_e32 v35, vcc, s63, v12
	v_mad_u64_u32 v[16:17], s[6:7], v8, s57, 0
	v_xor_b32_e32 v9, v49, v21
	v_xor_b32_e32 v8, v35, v17
	;; [unrolled: 1-line block ×4, first 2 shown]
	v_mad_u64_u32 v[18:19], s[6:7], v9, s62, 0
	v_mad_u64_u32 v[8:9], s[6:7], v8, s62, 0
	v_add_u32_e32 v36, 0x96a522ad, v13
	v_xor_b32_e32 v9, v9, v18
	v_xor_b32_e32 v34, v36, v9
	v_add_co_u32_e32 v9, vcc, 1, v22
	v_cndmask_b32_e64 v18, 0, 1, vcc
	v_addc_co_u32_e32 v24, vcc, 0, v23, vcc
	v_cmp_eq_u32_e32 vcc, 0, v24
	v_cndmask_b32_e32 v18, 0, v18, vcc
	v_add_u32_e32 v22, v18, v1
	v_cmp_eq_u32_e32 vcc, 0, v22
	v_mad_u64_u32 v[20:21], s[6:7], v9, s62, 0
	v_mad_u64_u32 v[22:23], s[6:7], v22, s57, 0
	v_add_u32_e32 v17, 0x8ff34781, v12
	v_cndmask_b32_e32 v18, 0, v18, vcc
	v_xor_b32_e32 v9, v23, v12
	v_xor_b32_e32 v12, v21, v13
	;; [unrolled: 1-line block ×4, first 2 shown]
	v_mad_u64_u32 v[24:25], s[6:7], v18, s57, 0
	v_add_u32_e32 v15, 0xdb3d7428, v13
	v_mad_u64_u32 v[12:13], s[6:7], v9, s62, 0
	v_xor_b32_e32 v9, v37, v25
	v_xor_b32_e32 v9, v9, v22
	v_xor_b32_e32 v13, v38, v13
	v_xor_b32_e32 v13, v13, v20
	v_mad_u64_u32 v[20:21], s[6:7], v9, s62, 0
	v_mad_u64_u32 v[22:23], s[6:7], v13, s57, 0
	v_xor_b32_e32 v13, v40, v21
	v_xor_b32_e32 v9, v39, v23
	v_xor_b32_e32 v18, v13, v12
	v_xor_b32_e32 v9, v9, v24
	v_mad_u64_u32 v[24:25], s[6:7], v18, s57, 0
	;; [unrolled: 6-line block ×7, first 2 shown]
	v_xor_b32_e32 v9, v15, v23
	v_xor_b32_e32 v9, v9, v12
	v_mad_u64_u32 v[24:25], s[6:7], v13, s57, 0
	v_mad_u64_u32 v[12:13], s[6:7], v9, s57, 0
	v_xor_b32_e32 v9, v13, v24
	v_xor_b32_e32 v9, v17, v9
	v_cmp_lt_i32_e32 vcc, 1, v33
                                        ; implicit-def: $vgpr21
	s_and_saveexec_b64 s[6:7], vcc
	s_xor_b64 s[6:7], exec, s[6:7]
	s_cbranch_execz .LBB100_19
; %bb.14:                               ;   in Loop: Header=BB100_3 Depth=1
	v_cmp_lt_i32_e32 vcc, 2, v33
                                        ; implicit-def: $vgpr21
	s_and_saveexec_b64 s[42:43], vcc
	s_xor_b64 s[42:43], exec, s[42:43]
; %bb.15:                               ;   in Loop: Header=BB100_3 Depth=1
	v_xor_b32_e32 v13, v35, v25
	v_xor_b32_e32 v13, v13, v20
	v_mul_hi_u32 v13, v13, s62
	v_xor_b32_e32 v13, v13, v22
	v_xor_b32_e32 v21, v36, v13
                                        ; implicit-def: $vgpr34
; %bb.16:                               ;   in Loop: Header=BB100_3 Depth=1
	s_andn2_saveexec_b64 s[42:43], s[42:43]
; %bb.17:                               ;   in Loop: Header=BB100_3 Depth=1
	v_mov_b32_e32 v21, v12
	v_mov_b32_e32 v12, v9
	;; [unrolled: 1-line block ×4, first 2 shown]
; %bb.18:                               ;   in Loop: Header=BB100_3 Depth=1
	s_or_b64 exec, exec, s[42:43]
                                        ; implicit-def: $vgpr14_vgpr15
                                        ; implicit-def: $vgpr16_vgpr17
                                        ; implicit-def: $vgpr33
                                        ; implicit-def: $vgpr34
                                        ; implicit-def: $vgpr18_vgpr19
                                        ; implicit-def: $vgpr15
                                        ; implicit-def: $vgpr17
.LBB100_19:                             ;   in Loop: Header=BB100_3 Depth=1
	s_andn2_saveexec_b64 s[6:7], s[6:7]
	s_cbranch_execz .LBB100_23
; %bb.20:                               ;   in Loop: Header=BB100_3 Depth=1
	v_xor_b32_e32 v12, v15, v19
	v_xor_b32_e32 v12, v12, v14
	v_mad_u64_u32 v[14:15], s[42:43], v12, s57, 0
	v_xor_b32_e32 v12, v15, v16
	v_xor_b32_e32 v13, v17, v12
	v_cmp_eq_u32_e32 vcc, 1, v33
	v_mov_b32_e32 v21, v8
	v_mov_b32_e32 v12, v34
	;; [unrolled: 1-line block ×3, first 2 shown]
	s_and_saveexec_b64 s[42:43], vcc
; %bb.21:                               ;   in Loop: Header=BB100_3 Depth=1
	v_mov_b32_e32 v21, v9
	v_mov_b32_e32 v12, v8
	;; [unrolled: 1-line block ×4, first 2 shown]
; %bb.22:                               ;   in Loop: Header=BB100_3 Depth=1
	s_or_b64 exec, exec, s[42:43]
	v_mov_b32_e32 v8, v13
	v_mov_b32_e32 v9, v15
.LBB100_23:                             ;   in Loop: Header=BB100_3 Depth=1
	s_or_b64 exec, exec, s[6:7]
	v_min_i32_e32 v13, 4, v7
	v_cmp_lt_i32_e32 vcc, 2, v13
	s_mov_b64 s[42:43], 0
	s_mov_b64 s[52:53], 0
                                        ; implicit-def: $sgpr6_sgpr7
                                        ; implicit-def: $sgpr44_sgpr45
                                        ; implicit-def: $sgpr46_sgpr47
	s_and_saveexec_b64 s[48:49], vcc
	s_xor_b64 s[48:49], exec, s[48:49]
	s_cbranch_execz .LBB100_33
; %bb.24:                               ;   in Loop: Header=BB100_3 Depth=1
	v_cmp_lt_i32_e32 vcc, 3, v13
	s_mov_b64 s[6:7], -1
                                        ; implicit-def: $sgpr44_sgpr45
                                        ; implicit-def: $sgpr50_sgpr51
	s_and_saveexec_b64 s[46:47], vcc
	s_cbranch_execz .LBB100_28
; %bb.25:                               ;   in Loop: Header=BB100_3 Depth=1
	s_waitcnt vmcnt(0)
	v_cmp_le_f32_e32 vcc, 0, v4
	v_cmp_ge_f32_e64 s[6:7], 1.0, v4
	s_and_b64 s[52:53], vcc, s[6:7]
	s_mov_b64 s[44:45], 0
	s_mov_b64 s[6:7], 0
	s_and_saveexec_b64 s[50:51], s[52:53]
	s_cbranch_execz .LBB100_27
; %bb.26:                               ;   in Loop: Header=BB100_3 Depth=1
	v_cvt_f32_u32_e32 v14, v21
	v_mov_b32_e32 v15, 0x2f800000
	v_lshlrev_b64 v[10:11], 1, v[10:11]
	v_add_co_u32_e32 v10, vcc, s12, v10
	v_fmac_f32_e32 v15, 0x2f800000, v14
	v_mov_b32_e32 v14, s13
	v_addc_co_u32_e32 v11, vcc, v14, v11, vcc
	v_cmp_le_f32_e32 vcc, v15, v4
	s_mov_b64 s[6:7], exec
	v_cndmask_b32_e64 v4, 0, 1.0, vcc
	global_store_short_d16_hi v[10:11], v4, off
.LBB100_27:                             ;   in Loop: Header=BB100_3 Depth=1
	s_or_b64 exec, exec, s[50:51]
	s_mov_b64 s[50:51], -1
	s_orn2_b64 s[6:7], s[6:7], exec
.LBB100_28:                             ;   in Loop: Header=BB100_3 Depth=1
	s_or_b64 exec, exec, s[46:47]
	s_mov_b64 s[52:53], 0
	s_mov_b64 s[54:55], s[44:45]
	s_and_saveexec_b64 s[46:47], s[6:7]
	s_cbranch_execz .LBB100_32
; %bb.29:                               ;   in Loop: Header=BB100_3 Depth=1
	s_waitcnt vmcnt(1)
	v_cmp_le_f32_e32 vcc, 0, v32
	v_cmp_ge_f32_e64 s[6:7], 1.0, v32
	s_and_b64 s[52:53], vcc, s[6:7]
	s_mov_b64 s[6:7], 0
	s_and_saveexec_b64 s[54:55], s[52:53]
	s_xor_b64 s[52:53], exec, s[54:55]
	s_cbranch_execz .LBB100_31
; %bb.30:                               ;   in Loop: Header=BB100_3 Depth=1
	s_waitcnt vmcnt(0)
	v_cvt_f32_u32_e32 v4, v12
	v_mov_b32_e32 v12, 0x2f800000
	v_add_u32_e32 v10, s58, v28
	s_mov_b64 s[6:7], exec
	v_fmac_f32_e32 v12, 0x2f800000, v4
	v_cndmask_b32_e64 v4, 0, v10, s[4:5]
	v_lshlrev_b64 v[10:11], 1, v[4:5]
	v_mov_b32_e32 v4, s13
	v_add_co_u32_e32 v10, vcc, s12, v10
	v_addc_co_u32_e32 v11, vcc, v4, v11, vcc
	v_cmp_le_f32_e32 vcc, v12, v32
	v_cndmask_b32_e64 v4, 0, 1.0, vcc
	global_store_short_d16_hi v[10:11], v4, off
.LBB100_31:                             ;   in Loop: Header=BB100_3 Depth=1
	s_or_b64 exec, exec, s[52:53]
	s_andn2_b64 s[54:55], s[44:45], exec
	s_or_b64 s[44:45], s[44:45], exec
	s_andn2_b64 s[50:51], s[50:51], exec
	s_and_b64 s[52:53], s[6:7], exec
.LBB100_32:                             ;   in Loop: Header=BB100_3 Depth=1
	s_or_b64 exec, exec, s[46:47]
	s_and_b64 s[46:47], s[54:55], exec
	s_and_b64 s[44:45], s[44:45], exec
	;; [unrolled: 1-line block ×4, first 2 shown]
.LBB100_33:                             ;   in Loop: Header=BB100_3 Depth=1
	s_andn2_saveexec_b64 s[4:5], s[48:49]
; %bb.34:                               ;   in Loop: Header=BB100_3 Depth=1
	v_cmp_lt_i32_e32 vcc, 1, v13
	s_andn2_b64 s[48:49], s[52:53], exec
	s_and_b64 s[50:51], vcc, exec
	s_mov_b64 s[42:43], exec
	s_andn2_b64 s[46:47], s[46:47], exec
	s_andn2_b64 s[44:45], s[44:45], exec
	;; [unrolled: 1-line block ×3, first 2 shown]
	s_or_b64 s[52:53], s[48:49], s[50:51]
; %bb.35:                               ;   in Loop: Header=BB100_3 Depth=1
	s_or_b64 exec, exec, s[4:5]
	s_mov_b64 s[48:49], 0
	s_mov_b64 s[50:51], 0
	;; [unrolled: 1-line block ×3, first 2 shown]
	s_and_saveexec_b64 s[54:55], s[52:53]
	s_cbranch_execnz .LBB100_38
; %bb.36:                               ;   in Loop: Header=BB100_3 Depth=1
	s_or_b64 exec, exec, s[54:55]
	s_and_saveexec_b64 s[2:3], s[42:43]
	s_cbranch_execnz .LBB100_41
.LBB100_37:                             ;   in Loop: Header=BB100_3 Depth=1
	s_or_b64 exec, exec, s[2:3]
	s_and_saveexec_b64 s[42:43], s[50:51]
	s_cbranch_execnz .LBB100_42
	s_branch .LBB100_45
.LBB100_38:                             ;   in Loop: Header=BB100_3 Depth=1
	s_waitcnt vmcnt(2)
	v_cmp_le_f32_e32 vcc, 0, v31
	v_cmp_ge_f32_e64 s[4:5], 1.0, v31
	s_and_b64 s[4:5], vcc, s[4:5]
	s_and_saveexec_b64 s[52:53], s[4:5]
	s_xor_b64 s[4:5], exec, s[52:53]
	s_cbranch_execz .LBB100_40
; %bb.39:                               ;   in Loop: Header=BB100_3 Depth=1
	s_waitcnt vmcnt(0)
	v_cvt_f32_u32_e32 v4, v9
	v_mov_b32_e32 v9, 0x2f800000
	v_add_u32_e32 v10, s58, v27
	s_mov_b64 s[50:51], exec
	v_fmac_f32_e32 v9, 0x2f800000, v4
	v_cndmask_b32_e64 v4, 0, v10, s[2:3]
	v_lshlrev_b64 v[10:11], 1, v[4:5]
	v_mov_b32_e32 v4, s13
	v_add_co_u32_e32 v10, vcc, s12, v10
	v_addc_co_u32_e32 v11, vcc, v4, v11, vcc
	v_cmp_le_f32_e32 vcc, v9, v31
	v_cndmask_b32_e64 v4, 0, 1.0, vcc
	global_store_short_d16_hi v[10:11], v4, off
.LBB100_40:                             ;   in Loop: Header=BB100_3 Depth=1
	s_or_b64 exec, exec, s[4:5]
	s_andn2_b64 s[4:5], s[46:47], exec
	s_or_b64 s[46:47], s[46:47], exec
	s_andn2_b64 s[44:45], s[44:45], exec
	s_andn2_b64 s[6:7], s[6:7], exec
	s_and_b64 s[50:51], s[50:51], exec
	s_andn2_b64 s[42:43], s[42:43], exec
	s_or_b64 exec, exec, s[54:55]
	s_and_saveexec_b64 s[2:3], s[42:43]
	s_cbranch_execz .LBB100_37
.LBB100_41:                             ;   in Loop: Header=BB100_3 Depth=1
	v_cmp_eq_u32_e32 vcc, 1, v13
	s_andn2_b64 s[42:43], s[50:51], exec
	s_and_b64 s[50:51], vcc, exec
	s_mov_b64 s[48:49], exec
	s_andn2_b64 s[4:5], s[4:5], exec
	s_andn2_b64 s[46:47], s[46:47], exec
	;; [unrolled: 1-line block ×4, first 2 shown]
	s_or_b64 s[50:51], s[42:43], s[50:51]
	s_or_b64 exec, exec, s[2:3]
	s_and_saveexec_b64 s[42:43], s[50:51]
	s_cbranch_execz .LBB100_45
.LBB100_42:                             ;   in Loop: Header=BB100_3 Depth=1
	s_waitcnt vmcnt(3)
	v_cmp_le_f32_e32 vcc, 0, v30
	v_cmp_ge_f32_e64 s[2:3], 1.0, v30
	s_and_b64 s[52:53], vcc, s[2:3]
	s_mov_b64 s[2:3], 0
	s_and_saveexec_b64 s[50:51], s[52:53]
	s_cbranch_execz .LBB100_44
; %bb.43:                               ;   in Loop: Header=BB100_3 Depth=1
	s_waitcnt vmcnt(0)
	v_cvt_f32_u32_e32 v4, v8
	v_mov_b32_e32 v10, 0x2f800000
	v_add_u32_e32 v8, s58, v26
	s_mov_b64 s[2:3], exec
	v_fmac_f32_e32 v10, 0x2f800000, v4
	v_cndmask_b32_e64 v4, 0, v8, s[0:1]
	v_lshlrev_b64 v[8:9], 1, v[4:5]
	v_mov_b32_e32 v4, s13
	v_add_co_u32_e32 v8, vcc, s12, v8
	v_addc_co_u32_e32 v9, vcc, v4, v9, vcc
	v_cmp_le_f32_e32 vcc, v10, v30
	v_cndmask_b32_e64 v4, 0, 1.0, vcc
	global_store_short_d16_hi v[8:9], v4, off
.LBB100_44:                             ;   in Loop: Header=BB100_3 Depth=1
	s_or_b64 exec, exec, s[50:51]
	s_andn2_b64 s[0:1], s[48:49], exec
	s_and_b64 s[2:3], s[2:3], exec
	s_or_b64 s[4:5], s[4:5], exec
	s_andn2_b64 s[46:47], s[46:47], exec
	s_andn2_b64 s[44:45], s[44:45], exec
	;; [unrolled: 1-line block ×3, first 2 shown]
	s_or_b64 s[48:49], s[0:1], s[2:3]
.LBB100_45:                             ;   in Loop: Header=BB100_3 Depth=1
	s_or_b64 exec, exec, s[42:43]
	s_andn2_b64 s[2:3], s[40:41], exec
	s_and_b64 s[4:5], s[4:5], exec
	s_or_b64 s[40:41], s[2:3], s[4:5]
	s_andn2_b64 s[2:3], s[38:39], exec
	s_and_b64 s[4:5], s[46:47], exec
	s_or_b64 s[38:39], s[2:3], s[4:5]
	;; [unrolled: 3-line block ×3, first 2 shown]
	s_andn2_b64 s[2:3], s[34:35], exec
	s_and_b64 s[4:5], s[6:7], exec
	s_mov_b64 s[0:1], -1
	s_or_b64 s[34:35], s[2:3], s[4:5]
	s_and_saveexec_b64 s[2:3], s[48:49]
	s_cbranch_execz .LBB100_2
; %bb.46:                               ;   in Loop: Header=BB100_3 Depth=1
	v_add_u32_e32 v0, s59, v0
	v_cmp_le_u32_e32 vcc, s33, v0
	v_subrev_u32_e32 v7, s59, v7
	s_add_i32 s58, s58, s61
	s_andn2_b64 s[40:41], s[40:41], exec
	s_andn2_b64 s[38:39], s[38:39], exec
	;; [unrolled: 1-line block ×4, first 2 shown]
	s_orn2_b64 s[0:1], vcc, exec
	s_branch .LBB100_2
.LBB100_47:
	s_or_b64 exec, exec, s[24:25]
	s_xor_b64 s[6:7], s[30:31], -1
	s_xor_b64 s[8:9], s[28:29], -1
	;; [unrolled: 1-line block ×3, first 2 shown]
	s_mov_b64 s[2:3], 0
	s_and_saveexec_b64 s[4:5], s[0:1]
	s_xor_b64 s[0:1], exec, s[4:5]
	s_cbranch_execnz .LBB100_52
; %bb.48:
	s_andn2_saveexec_b64 s[0:1], s[0:1]
	s_cbranch_execnz .LBB100_60
.LBB100_49:
	s_or_b64 exec, exec, s[0:1]
	s_and_b64 exec, exec, s[2:3]
.LBB100_50:
	; divergent unreachable
.LBB100_51:
	s_endpgm
.LBB100_52:
	s_mov_b64 s[4:5], 0
	s_and_saveexec_b64 s[2:3], s[8:9]
	s_xor_b64 s[2:3], exec, s[2:3]
	s_cbranch_execz .LBB100_58
; %bb.53:
	s_and_saveexec_b64 s[8:9], s[6:7]
	s_xor_b64 s[6:7], exec, s[8:9]
	s_cbranch_execz .LBB100_56
; %bb.54:
	s_and_saveexec_b64 s[8:9], s[20:21]
	s_xor_b64 s[8:9], exec, s[8:9]
	s_cbranch_execnz .LBB100_63
.LBB100_55:
	s_or_b64 exec, exec, s[8:9]
	s_and_b64 s[4:5], s[4:5], exec
.LBB100_56:
	s_andn2_saveexec_b64 s[6:7], s[6:7]
	s_cbranch_execnz .LBB100_62
.LBB100_57:
	s_or_b64 exec, exec, s[6:7]
	s_and_b64 s[4:5], s[4:5], exec
.LBB100_58:
	s_andn2_saveexec_b64 s[2:3], s[2:3]
	s_cbranch_execnz .LBB100_61
.LBB100_59:
	s_or_b64 exec, exec, s[2:3]
	s_and_b64 s[2:3], s[4:5], exec
	s_andn2_saveexec_b64 s[0:1], s[0:1]
	s_cbranch_execz .LBB100_49
.LBB100_60:
	s_or_b64 s[2:3], s[2:3], exec
	s_trap 2
	s_or_b64 exec, exec, s[0:1]
	s_and_b64 exec, exec, s[2:3]
	s_cbranch_execnz .LBB100_50
	s_branch .LBB100_51
.LBB100_61:
	s_or_b64 s[4:5], s[4:5], exec
	s_trap 2
	s_branch .LBB100_59
.LBB100_62:
	s_trap 2
	s_or_b64 s[4:5], s[4:5], exec
	s_branch .LBB100_57
.LBB100_63:
	s_mov_b64 s[4:5], exec
	s_trap 2
	s_branch .LBB100_55
	.section	.rodata,"a",@progbits
	.p2align	6, 0x0
	.amdhsa_kernel _ZN2at4cuda12_GLOBAL__N_121kernelPointwiseApply2IZNS_6native9templates4cuda28bernoulli_tensor_cuda_kernelIN3c108BFloat16EfEEvRKNS_10TensorBaseESB_NS_15PhiloxCudaStateEEUliRS8_SD_SD_SD_RKfSF_SF_SF_E_S8_SE_jLi1ELi2ELi4ELi512ELi2EEEvNS0_6detail10TensorInfoIT0_T2_EENSI_IT1_SK_EESK_T_
		.amdhsa_group_segment_fixed_size 0
		.amdhsa_private_segment_fixed_size 0
		.amdhsa_kernarg_size 728
		.amdhsa_user_sgpr_count 6
		.amdhsa_user_sgpr_private_segment_buffer 1
		.amdhsa_user_sgpr_dispatch_ptr 0
		.amdhsa_user_sgpr_queue_ptr 0
		.amdhsa_user_sgpr_kernarg_segment_ptr 1
		.amdhsa_user_sgpr_dispatch_id 0
		.amdhsa_user_sgpr_flat_scratch_init 0
		.amdhsa_user_sgpr_kernarg_preload_length 0
		.amdhsa_user_sgpr_kernarg_preload_offset 0
		.amdhsa_user_sgpr_private_segment_size 0
		.amdhsa_uses_dynamic_stack 0
		.amdhsa_system_sgpr_private_segment_wavefront_offset 0
		.amdhsa_system_sgpr_workgroup_id_x 1
		.amdhsa_system_sgpr_workgroup_id_y 0
		.amdhsa_system_sgpr_workgroup_id_z 0
		.amdhsa_system_sgpr_workgroup_info 0
		.amdhsa_system_vgpr_workitem_id 0
		.amdhsa_next_free_vgpr 51
		.amdhsa_next_free_sgpr 64
		.amdhsa_accum_offset 52
		.amdhsa_reserve_vcc 1
		.amdhsa_reserve_flat_scratch 0
		.amdhsa_float_round_mode_32 0
		.amdhsa_float_round_mode_16_64 0
		.amdhsa_float_denorm_mode_32 3
		.amdhsa_float_denorm_mode_16_64 3
		.amdhsa_dx10_clamp 1
		.amdhsa_ieee_mode 1
		.amdhsa_fp16_overflow 0
		.amdhsa_tg_split 0
		.amdhsa_exception_fp_ieee_invalid_op 0
		.amdhsa_exception_fp_denorm_src 0
		.amdhsa_exception_fp_ieee_div_zero 0
		.amdhsa_exception_fp_ieee_overflow 0
		.amdhsa_exception_fp_ieee_underflow 0
		.amdhsa_exception_fp_ieee_inexact 0
		.amdhsa_exception_int_div_zero 0
	.end_amdhsa_kernel
	.section	.text._ZN2at4cuda12_GLOBAL__N_121kernelPointwiseApply2IZNS_6native9templates4cuda28bernoulli_tensor_cuda_kernelIN3c108BFloat16EfEEvRKNS_10TensorBaseESB_NS_15PhiloxCudaStateEEUliRS8_SD_SD_SD_RKfSF_SF_SF_E_S8_SE_jLi1ELi2ELi4ELi512ELi2EEEvNS0_6detail10TensorInfoIT0_T2_EENSI_IT1_SK_EESK_T_,"axG",@progbits,_ZN2at4cuda12_GLOBAL__N_121kernelPointwiseApply2IZNS_6native9templates4cuda28bernoulli_tensor_cuda_kernelIN3c108BFloat16EfEEvRKNS_10TensorBaseESB_NS_15PhiloxCudaStateEEUliRS8_SD_SD_SD_RKfSF_SF_SF_E_S8_SE_jLi1ELi2ELi4ELi512ELi2EEEvNS0_6detail10TensorInfoIT0_T2_EENSI_IT1_SK_EESK_T_,comdat
.Lfunc_end100:
	.size	_ZN2at4cuda12_GLOBAL__N_121kernelPointwiseApply2IZNS_6native9templates4cuda28bernoulli_tensor_cuda_kernelIN3c108BFloat16EfEEvRKNS_10TensorBaseESB_NS_15PhiloxCudaStateEEUliRS8_SD_SD_SD_RKfSF_SF_SF_E_S8_SE_jLi1ELi2ELi4ELi512ELi2EEEvNS0_6detail10TensorInfoIT0_T2_EENSI_IT1_SK_EESK_T_, .Lfunc_end100-_ZN2at4cuda12_GLOBAL__N_121kernelPointwiseApply2IZNS_6native9templates4cuda28bernoulli_tensor_cuda_kernelIN3c108BFloat16EfEEvRKNS_10TensorBaseESB_NS_15PhiloxCudaStateEEUliRS8_SD_SD_SD_RKfSF_SF_SF_E_S8_SE_jLi1ELi2ELi4ELi512ELi2EEEvNS0_6detail10TensorInfoIT0_T2_EENSI_IT1_SK_EESK_T_
                                        ; -- End function
	.section	.AMDGPU.csdata,"",@progbits
; Kernel info:
; codeLenInByte = 3032
; NumSgprs: 68
; NumVgprs: 51
; NumAgprs: 0
; TotalNumVgprs: 51
; ScratchSize: 0
; MemoryBound: 0
; FloatMode: 240
; IeeeMode: 1
; LDSByteSize: 0 bytes/workgroup (compile time only)
; SGPRBlocks: 8
; VGPRBlocks: 6
; NumSGPRsForWavesPerEU: 68
; NumVGPRsForWavesPerEU: 51
; AccumOffset: 52
; Occupancy: 8
; WaveLimiterHint : 1
; COMPUTE_PGM_RSRC2:SCRATCH_EN: 0
; COMPUTE_PGM_RSRC2:USER_SGPR: 6
; COMPUTE_PGM_RSRC2:TRAP_HANDLER: 0
; COMPUTE_PGM_RSRC2:TGID_X_EN: 1
; COMPUTE_PGM_RSRC2:TGID_Y_EN: 0
; COMPUTE_PGM_RSRC2:TGID_Z_EN: 0
; COMPUTE_PGM_RSRC2:TIDIG_COMP_CNT: 0
; COMPUTE_PGM_RSRC3_GFX90A:ACCUM_OFFSET: 12
; COMPUTE_PGM_RSRC3_GFX90A:TG_SPLIT: 0
	.section	.text._ZN2at4cuda12_GLOBAL__N_121kernelPointwiseApply2IZNS_6native9templates4cuda28bernoulli_tensor_cuda_kernelIN3c108BFloat16EfEEvRKNS_10TensorBaseESB_NS_15PhiloxCudaStateEEUliRS8_SD_SD_SD_RKfSF_SF_SF_E_S8_SE_jLi1ELin1ELi4ELi512ELi2EEEvNS0_6detail10TensorInfoIT0_T2_EENSI_IT1_SK_EESK_T_,"axG",@progbits,_ZN2at4cuda12_GLOBAL__N_121kernelPointwiseApply2IZNS_6native9templates4cuda28bernoulli_tensor_cuda_kernelIN3c108BFloat16EfEEvRKNS_10TensorBaseESB_NS_15PhiloxCudaStateEEUliRS8_SD_SD_SD_RKfSF_SF_SF_E_S8_SE_jLi1ELin1ELi4ELi512ELi2EEEvNS0_6detail10TensorInfoIT0_T2_EENSI_IT1_SK_EESK_T_,comdat
	.globl	_ZN2at4cuda12_GLOBAL__N_121kernelPointwiseApply2IZNS_6native9templates4cuda28bernoulli_tensor_cuda_kernelIN3c108BFloat16EfEEvRKNS_10TensorBaseESB_NS_15PhiloxCudaStateEEUliRS8_SD_SD_SD_RKfSF_SF_SF_E_S8_SE_jLi1ELin1ELi4ELi512ELi2EEEvNS0_6detail10TensorInfoIT0_T2_EENSI_IT1_SK_EESK_T_ ; -- Begin function _ZN2at4cuda12_GLOBAL__N_121kernelPointwiseApply2IZNS_6native9templates4cuda28bernoulli_tensor_cuda_kernelIN3c108BFloat16EfEEvRKNS_10TensorBaseESB_NS_15PhiloxCudaStateEEUliRS8_SD_SD_SD_RKfSF_SF_SF_E_S8_SE_jLi1ELin1ELi4ELi512ELi2EEEvNS0_6detail10TensorInfoIT0_T2_EENSI_IT1_SK_EESK_T_
	.p2align	8
	.type	_ZN2at4cuda12_GLOBAL__N_121kernelPointwiseApply2IZNS_6native9templates4cuda28bernoulli_tensor_cuda_kernelIN3c108BFloat16EfEEvRKNS_10TensorBaseESB_NS_15PhiloxCudaStateEEUliRS8_SD_SD_SD_RKfSF_SF_SF_E_S8_SE_jLi1ELin1ELi4ELi512ELi2EEEvNS0_6detail10TensorInfoIT0_T2_EENSI_IT1_SK_EESK_T_,@function
_ZN2at4cuda12_GLOBAL__N_121kernelPointwiseApply2IZNS_6native9templates4cuda28bernoulli_tensor_cuda_kernelIN3c108BFloat16EfEEvRKNS_10TensorBaseESB_NS_15PhiloxCudaStateEEUliRS8_SD_SD_SD_RKfSF_SF_SF_E_S8_SE_jLi1ELin1ELi4ELi512ELi2EEEvNS0_6detail10TensorInfoIT0_T2_EENSI_IT1_SK_EESK_T_: ; @_ZN2at4cuda12_GLOBAL__N_121kernelPointwiseApply2IZNS_6native9templates4cuda28bernoulli_tensor_cuda_kernelIN3c108BFloat16EfEEvRKNS_10TensorBaseESB_NS_15PhiloxCudaStateEEUliRS8_SD_SD_SD_RKfSF_SF_SF_E_S8_SE_jLi1ELin1ELi4ELi512ELi2EEEvNS0_6detail10TensorInfoIT0_T2_EENSI_IT1_SK_EESK_T_
; %bb.0:
	s_load_dword s2, s[4:5], 0x1e4
	s_load_dword s33, s[4:5], 0x1b0
	s_add_u32 s0, s4, 0x1d8
	s_addc_u32 s1, s5, 0
	s_waitcnt lgkmcnt(0)
	s_and_b32 s2, s2, 0xffff
	s_mul_i32 s6, s6, s2
	v_add_u32_e32 v5, s6, v0
	v_lshlrev_b32_e32 v24, 2, v5
	v_cmp_gt_u32_e32 vcc, s33, v24
	s_and_saveexec_b64 s[6:7], vcc
	s_cbranch_execz .LBB101_65
; %bb.1:
	s_load_dword s3, s[0:1], 0x0
	s_load_dwordx4 s[12:15], s[4:5], 0x1b8
	s_load_dword s8, s[4:5], 0x1a8
	s_load_dwordx2 s[10:11], s[4:5], 0x0
	s_load_dword s60, s[4:5], 0x6c
	s_waitcnt lgkmcnt(0)
	s_mul_i32 s9, s3, s2
	s_load_dwordx2 s[16:17], s[4:5], 0x1c8
	s_load_dword s2, s[4:5], 0x1d0
	s_add_u32 s6, s4, 0xd8
	s_addc_u32 s7, s5, 0
	s_cmp_gt_i32 s8, 1
	s_mov_b32 s62, 0xcd9e8d57
	s_cselect_b64 s[0:1], -1, 0
	s_waitcnt lgkmcnt(0)
	s_bitcmp1_b32 s2, 0
	v_mad_u64_u32 v[0:1], s[2:3], v5, s62, 0
	s_cselect_b64 s[22:23], -1, 0
	s_add_i32 s2, s8, -1
	s_mov_b32 s3, 0
	s_load_dword s61, s[4:5], 0x144
	s_load_dwordx2 s[18:19], s[4:5], 0xd8
	s_lshl_b32 s63, s9, 2
	s_add_i32 s64, s8, 1
	s_lshl_b64 s[2:3], s[2:3], 2
	s_add_u32 s2, s2, s6
	s_addc_u32 s3, s3, s7
	v_mov_b32_e32 v4, v1
	s_add_u32 s24, s2, 8
	v_cndmask_b32_e64 v1, 0, 1, s[0:1]
	v_mov_b32_e32 v3, 0
	s_addc_u32 s25, s3, 0
	s_mov_b64 s[26:27], 0
	s_mov_b32 s65, 0xd2511f53
	v_cmp_ne_u32_e64 s[0:1], 1, v1
	s_mov_b32 s66, 0xf1bbcdc8
                                        ; implicit-def: $sgpr28_sgpr29
                                        ; implicit-def: $sgpr30_sgpr31
                                        ; implicit-def: $sgpr34_sgpr35
                                        ; implicit-def: $sgpr20_sgpr21
                                        ; implicit-def: $sgpr36_sgpr37
                                        ; implicit-def: $sgpr38_sgpr39
                                        ; implicit-def: $sgpr40_sgpr41
                                        ; implicit-def: $sgpr42_sgpr43
	s_branch .LBB101_3
.LBB101_2:                              ;   in Loop: Header=BB101_3 Depth=1
	s_or_b64 exec, exec, s[4:5]
	s_and_b64 s[2:3], exec, s[2:3]
	s_or_b64 s[26:27], s[2:3], s[26:27]
	s_andn2_b64 s[2:3], s[20:21], exec
	s_and_b64 s[4:5], s[42:43], exec
	s_or_b64 s[20:21], s[2:3], s[4:5]
	s_andn2_b64 s[2:3], s[34:35], exec
	s_and_b64 s[4:5], s[40:41], exec
	;; [unrolled: 3-line block ×4, first 2 shown]
	s_or_b64 s[28:29], s[2:3], s[4:5]
	s_andn2_b64 exec, exec, s[26:27]
	s_cbranch_execz .LBB101_61
.LBB101_3:                              ; =>This Loop Header: Depth=1
                                        ;     Child Loop BB101_6 Depth 2
                                        ;     Child Loop BB101_11 Depth 2
	;; [unrolled: 1-line block ×4, first 2 shown]
	v_sub_u32_e32 v25, s33, v24
	v_cmp_lt_i32_e64 s[2:3], 0, v25
	s_waitcnt vmcnt(0)
	v_mov_b32_e32 v2, 0
	s_and_saveexec_b64 s[4:5], s[2:3]
	s_cbranch_execz .LBB101_8
; %bb.4:                                ;   in Loop: Header=BB101_3 Depth=1
	s_and_b64 vcc, exec, s[0:1]
	v_mov_b32_e32 v6, 0
	v_mov_b32_e32 v1, v24
	s_cbranch_vccnz .LBB101_7
; %bb.5:                                ;   in Loop: Header=BB101_3 Depth=1
	v_mov_b32_e32 v6, 0
	s_mov_b64 s[6:7], s[24:25]
	s_mov_b32 s8, s64
	v_mov_b32_e32 v1, v24
.LBB101_6:                              ;   Parent Loop BB101_3 Depth=1
                                        ; =>  This Inner Loop Header: Depth=2
	s_load_dword s9, s[6:7], 0x0
	s_load_dword s44, s[6:7], 0x64
	v_mov_b32_e32 v2, v1
	s_add_i32 s8, s8, -1
	s_waitcnt lgkmcnt(0)
	v_cvt_f32_u32_e32 v1, s9
	s_sub_i32 s45, 0, s9
	s_add_u32 s6, s6, -4
	s_addc_u32 s7, s7, -1
	v_rcp_iflag_f32_e32 v1, v1
	s_cmp_gt_u32 s8, 2
	v_mul_f32_e32 v1, 0x4f7ffffe, v1
	v_cvt_u32_f32_e32 v1, v1
	v_mul_lo_u32 v7, s45, v1
	v_mul_hi_u32 v7, v1, v7
	v_add_u32_e32 v1, v1, v7
	v_mul_hi_u32 v1, v2, v1
	v_mul_lo_u32 v7, v1, s9
	v_sub_u32_e32 v7, v2, v7
	v_add_u32_e32 v8, 1, v1
	v_cmp_le_u32_e32 vcc, s9, v7
	v_cndmask_b32_e32 v1, v1, v8, vcc
	v_subrev_u32_e32 v8, s9, v7
	v_cndmask_b32_e32 v7, v7, v8, vcc
	v_add_u32_e32 v8, 1, v1
	v_cmp_le_u32_e32 vcc, s9, v7
	v_cndmask_b32_e32 v1, v1, v8, vcc
	v_mul_lo_u32 v7, v1, s9
	v_sub_u32_e32 v2, v2, v7
	v_mad_u64_u32 v[6:7], s[44:45], s44, v2, v[6:7]
	s_cbranch_scc1 .LBB101_6
.LBB101_7:                              ;   in Loop: Header=BB101_3 Depth=1
	s_waitcnt lgkmcnt(0)
	v_mad_u64_u32 v[6:7], s[6:7], s61, v1, v[6:7]
	v_mov_b32_e32 v2, v6
.LBB101_8:                              ;   in Loop: Header=BB101_3 Depth=1
	s_or_b64 exec, exec, s[4:5]
	v_cmp_lt_i32_e64 s[4:5], 1, v25
	v_pk_mov_b32 v[6:7], 0, 0
	s_and_saveexec_b64 s[6:7], s[4:5]
	s_cbranch_execz .LBB101_13
; %bb.9:                                ;   in Loop: Header=BB101_3 Depth=1
	v_or_b32_e32 v1, 1, v24
	s_and_b64 vcc, exec, s[0:1]
	v_mov_b32_e32 v6, 0
	s_cbranch_vccnz .LBB101_12
; %bb.10:                               ;   in Loop: Header=BB101_3 Depth=1
	v_mov_b32_e32 v6, 0
	s_mov_b64 s[8:9], s[24:25]
	s_mov_b32 s44, s64
.LBB101_11:                             ;   Parent Loop BB101_3 Depth=1
                                        ; =>  This Inner Loop Header: Depth=2
	s_load_dword s45, s[8:9], 0x0
	s_load_dword s46, s[8:9], 0x64
	v_mov_b32_e32 v7, v1
	s_add_i32 s44, s44, -1
	s_waitcnt lgkmcnt(0)
	v_cvt_f32_u32_e32 v1, s45
	s_sub_i32 s47, 0, s45
	s_add_u32 s8, s8, -4
	s_addc_u32 s9, s9, -1
	v_rcp_iflag_f32_e32 v1, v1
	s_cmp_gt_u32 s44, 2
	v_mul_f32_e32 v1, 0x4f7ffffe, v1
	v_cvt_u32_f32_e32 v1, v1
	v_mul_lo_u32 v8, s47, v1
	v_mul_hi_u32 v8, v1, v8
	v_add_u32_e32 v1, v1, v8
	v_mul_hi_u32 v1, v7, v1
	v_mul_lo_u32 v8, v1, s45
	v_sub_u32_e32 v8, v7, v8
	v_add_u32_e32 v9, 1, v1
	v_cmp_le_u32_e32 vcc, s45, v8
	v_cndmask_b32_e32 v1, v1, v9, vcc
	v_subrev_u32_e32 v9, s45, v8
	v_cndmask_b32_e32 v8, v8, v9, vcc
	v_add_u32_e32 v9, 1, v1
	v_cmp_le_u32_e32 vcc, s45, v8
	v_cndmask_b32_e32 v1, v1, v9, vcc
	v_mul_lo_u32 v8, v1, s45
	v_sub_u32_e32 v7, v7, v8
	v_mad_u64_u32 v[6:7], s[46:47], s46, v7, v[6:7]
	s_cbranch_scc1 .LBB101_11
.LBB101_12:                             ;   in Loop: Header=BB101_3 Depth=1
	s_waitcnt lgkmcnt(0)
	v_mad_u64_u32 v[6:7], s[8:9], s61, v1, v[6:7]
	v_mov_b32_e32 v7, v3
.LBB101_13:                             ;   in Loop: Header=BB101_3 Depth=1
	s_or_b64 exec, exec, s[6:7]
	v_cmp_lt_i32_e64 s[6:7], 2, v25
	v_pk_mov_b32 v[10:11], 0, 0
	s_and_saveexec_b64 s[8:9], s[6:7]
	s_cbranch_execz .LBB101_18
; %bb.14:                               ;   in Loop: Header=BB101_3 Depth=1
	v_or_b32_e32 v1, 2, v24
	s_and_b64 vcc, exec, s[0:1]
	v_mov_b32_e32 v8, 0
	s_cbranch_vccnz .LBB101_17
; %bb.15:                               ;   in Loop: Header=BB101_3 Depth=1
	v_mov_b32_e32 v8, 0
	s_mov_b64 s[44:45], s[24:25]
	s_mov_b32 s46, s64
.LBB101_16:                             ;   Parent Loop BB101_3 Depth=1
                                        ; =>  This Inner Loop Header: Depth=2
	s_load_dword s47, s[44:45], 0x0
	s_load_dword s48, s[44:45], 0x64
	v_mov_b32_e32 v9, v1
	s_add_i32 s46, s46, -1
	s_waitcnt lgkmcnt(0)
	v_cvt_f32_u32_e32 v1, s47
	s_sub_i32 s49, 0, s47
	s_add_u32 s44, s44, -4
	s_addc_u32 s45, s45, -1
	v_rcp_iflag_f32_e32 v1, v1
	s_cmp_gt_u32 s46, 2
	v_mul_f32_e32 v1, 0x4f7ffffe, v1
	v_cvt_u32_f32_e32 v1, v1
	v_mul_lo_u32 v10, s49, v1
	v_mul_hi_u32 v10, v1, v10
	v_add_u32_e32 v1, v1, v10
	v_mul_hi_u32 v1, v9, v1
	v_mul_lo_u32 v10, v1, s47
	v_sub_u32_e32 v10, v9, v10
	v_add_u32_e32 v11, 1, v1
	v_cmp_le_u32_e32 vcc, s47, v10
	v_cndmask_b32_e32 v1, v1, v11, vcc
	v_subrev_u32_e32 v11, s47, v10
	v_cndmask_b32_e32 v10, v10, v11, vcc
	v_add_u32_e32 v11, 1, v1
	v_cmp_le_u32_e32 vcc, s47, v10
	v_cndmask_b32_e32 v1, v1, v11, vcc
	v_mul_lo_u32 v10, v1, s47
	v_sub_u32_e32 v9, v9, v10
	v_mad_u64_u32 v[8:9], s[48:49], s48, v9, v[8:9]
	s_cbranch_scc1 .LBB101_16
.LBB101_17:                             ;   in Loop: Header=BB101_3 Depth=1
	s_waitcnt lgkmcnt(0)
	v_mad_u64_u32 v[10:11], s[44:45], s61, v1, v[8:9]
	v_mov_b32_e32 v11, v3
.LBB101_18:                             ;   in Loop: Header=BB101_3 Depth=1
	s_or_b64 exec, exec, s[8:9]
	v_mul_lo_u32 v1, v24, s60
	v_add_u32_e32 v26, s60, v1
	v_pk_mov_b32 v[12:13], 0, 0
	v_add_u32_e32 v28, s60, v26
	v_cmp_lt_i32_e32 vcc, 3, v25
	v_pk_mov_b32 v[8:9], v[12:13], v[12:13] op_sel:[0,1]
	s_and_saveexec_b64 s[8:9], vcc
	s_cbranch_execz .LBB101_23
; %bb.19:                               ;   in Loop: Header=BB101_3 Depth=1
	v_or_b32_e32 v14, 3, v24
	s_and_b64 vcc, exec, s[0:1]
	v_mov_b32_e32 v12, 0
	s_cbranch_vccnz .LBB101_22
; %bb.20:                               ;   in Loop: Header=BB101_3 Depth=1
	v_mov_b32_e32 v12, 0
	s_mov_b64 s[44:45], s[24:25]
	s_mov_b32 s46, s64
.LBB101_21:                             ;   Parent Loop BB101_3 Depth=1
                                        ; =>  This Inner Loop Header: Depth=2
	s_load_dword s47, s[44:45], 0x0
	s_load_dword s48, s[44:45], 0x64
	v_mov_b32_e32 v8, v14
	s_add_i32 s46, s46, -1
	s_waitcnt lgkmcnt(0)
	v_cvt_f32_u32_e32 v9, s47
	s_sub_i32 s49, 0, s47
	s_add_u32 s44, s44, -4
	s_addc_u32 s45, s45, -1
	v_rcp_iflag_f32_e32 v9, v9
	s_cmp_gt_u32 s46, 2
	v_mul_f32_e32 v9, 0x4f7ffffe, v9
	v_cvt_u32_f32_e32 v9, v9
	v_mul_lo_u32 v13, s49, v9
	v_mul_hi_u32 v13, v9, v13
	v_add_u32_e32 v9, v9, v13
	v_mul_hi_u32 v9, v8, v9
	v_mul_lo_u32 v13, v9, s47
	v_sub_u32_e32 v13, v8, v13
	v_add_u32_e32 v14, 1, v9
	v_cmp_le_u32_e32 vcc, s47, v13
	v_cndmask_b32_e32 v9, v9, v14, vcc
	v_subrev_u32_e32 v14, s47, v13
	v_cndmask_b32_e32 v13, v13, v14, vcc
	v_add_u32_e32 v14, 1, v9
	v_cmp_le_u32_e32 vcc, s47, v13
	v_cndmask_b32_e32 v14, v9, v14, vcc
	v_mul_lo_u32 v9, v14, s47
	v_sub_u32_e32 v8, v8, v9
	v_mad_u64_u32 v[12:13], s[48:49], s48, v8, v[12:13]
	s_cbranch_scc1 .LBB101_21
.LBB101_22:                             ;   in Loop: Header=BB101_3 Depth=1
	s_waitcnt lgkmcnt(0)
	v_mad_u64_u32 v[12:13], s[44:45], s61, v14, v[12:13]
	v_add_u32_e32 v8, s60, v28
	v_mov_b32_e32 v9, v3
	v_mov_b32_e32 v13, v3
.LBB101_23:                             ;   in Loop: Header=BB101_3 Depth=1
	s_or_b64 exec, exec, s[8:9]
	v_lshlrev_b64 v[14:15], 2, v[2:3]
	s_waitcnt lgkmcnt(0)
	v_mov_b32_e32 v2, s19
	v_add_co_u32_e32 v14, vcc, s18, v14
	v_addc_co_u32_e32 v15, vcc, v2, v15, vcc
	v_lshlrev_b64 v[6:7], 2, v[6:7]
	v_add_co_u32_e32 v6, vcc, s18, v6
	v_addc_co_u32_e32 v7, vcc, v2, v7, vcc
	v_lshlrev_b64 v[10:11], 2, v[10:11]
	;; [unrolled: 3-line block ×3, first 2 shown]
	v_add_co_u32_e32 v12, vcc, s18, v12
	v_addc_co_u32_e32 v13, vcc, v2, v13, vcc
	global_load_dword v27, v[14:15], off
	global_load_dword v29, v[6:7], off
	;; [unrolled: 1-line block ×4, first 2 shown]
	s_andn2_b64 vcc, exec, s[22:23]
	v_pk_mov_b32 v[6:7], s[14:15], s[14:15] op_sel:[0,1]
	v_pk_mov_b32 v[10:11], s[12:13], s[12:13] op_sel:[0,1]
	s_cbranch_vccnz .LBB101_25
; %bb.24:                               ;   in Loop: Header=BB101_3 Depth=1
	v_pk_mov_b32 v[6:7], s[14:15], s[14:15] op_sel:[0,1]
	flat_load_dwordx2 v[6:7], v[6:7]
	v_pk_mov_b32 v[10:11], s[12:13], s[12:13] op_sel:[0,1]
	flat_load_dwordx2 v[10:11], v[10:11]
	v_mov_b32_e32 v12, s17
	s_waitcnt vmcnt(0) lgkmcnt(0)
	v_add_co_u32_e32 v6, vcc, s16, v6
	v_addc_co_u32_e32 v7, vcc, v7, v12, vcc
.LBB101_25:                             ;   in Loop: Header=BB101_3 Depth=1
	v_alignbit_b32 v20, v7, v6, 2
	v_lshrrev_b32_e32 v21, 2, v7
	v_xor_b32_e32 v12, v4, v10
	v_and_b32_e32 v31, 3, v6
	v_mad_u64_u32 v[6:7], s[8:9], v20, s65, 0
	v_xor_b32_e32 v12, v12, v21
	v_xor_b32_e32 v7, v7, v11
	v_add_u32_e32 v36, 0xbb67ae85, v11
	v_mad_u64_u32 v[12:13], s[8:9], v12, s65, 0
	v_mad_u64_u32 v[14:15], s[8:9], v7, s62, 0
	v_xor_b32_e32 v13, v36, v13
	v_add_u32_e32 v35, 0x9e3779b9, v10
	v_xor_b32_e32 v7, v0, v15
	v_xor_b32_e32 v13, v13, v6
	v_xor_b32_e32 v7, v7, v35
	v_add_u32_e32 v37, 0x3c6ef372, v10
	v_mad_u64_u32 v[16:17], s[8:9], v13, s62, 0
	v_add_u32_e32 v38, 0x76cf5d0a, v11
	v_mad_u64_u32 v[6:7], s[8:9], v7, s65, 0
	v_xor_b32_e32 v13, v37, v17
	v_xor_b32_e32 v13, v13, v14
	v_xor_b32_e32 v7, v38, v7
	v_xor_b32_e32 v7, v7, v12
	v_add_u32_e32 v40, 0x32370b8f, v11
	v_mad_u64_u32 v[12:13], s[8:9], v13, s65, 0
	v_add_u32_e32 v39, 0xdaa66d2b, v10
	v_mad_u64_u32 v[14:15], s[8:9], v7, s62, 0
	v_xor_b32_e32 v13, v40, v13
	;; [unrolled: 8-line block ×5, first 2 shown]
	v_xor_b32_e32 v13, v13, v14
	v_xor_b32_e32 v7, v46, v7
	;; [unrolled: 1-line block ×3, first 2 shown]
	v_add_u32_e32 v48, 0x1fd5c5a3, v11
	v_mad_u64_u32 v[12:13], s[8:9], v13, s65, 0
	v_xor_b32_e32 v13, v48, v13
	v_xor_b32_e32 v6, v13, v6
	v_add_u32_e32 v47, 0x5384540f, v10
	v_mad_u64_u32 v[18:19], s[8:9], v7, s62, 0
	v_add_co_u32_e32 v33, vcc, s66, v10
	v_mad_u64_u32 v[14:15], s[8:9], v6, s62, 0
	v_xor_b32_e32 v7, v47, v19
	v_xor_b32_e32 v6, v33, v15
	;; [unrolled: 1-line block ×4, first 2 shown]
	v_mad_u64_u32 v[16:17], s[8:9], v7, s65, 0
	v_mad_u64_u32 v[6:7], s[8:9], v6, s65, 0
	v_add_u32_e32 v34, 0x96a522ad, v11
	v_xor_b32_e32 v7, v7, v16
	v_xor_b32_e32 v32, v34, v7
	v_add_co_u32_e32 v7, vcc, 1, v20
	v_cndmask_b32_e64 v16, 0, 1, vcc
	v_addc_co_u32_e32 v22, vcc, 0, v21, vcc
	v_cmp_eq_u32_e32 vcc, 0, v22
	v_cndmask_b32_e32 v16, 0, v16, vcc
	v_add_u32_e32 v20, v16, v5
	v_cmp_eq_u32_e32 vcc, 0, v20
	v_mad_u64_u32 v[18:19], s[8:9], v7, s65, 0
	v_mad_u64_u32 v[20:21], s[8:9], v20, s62, 0
	v_add_u32_e32 v15, 0x8ff34781, v10
	v_cndmask_b32_e32 v16, 0, v16, vcc
	v_xor_b32_e32 v7, v21, v10
	v_xor_b32_e32 v10, v19, v11
	;; [unrolled: 1-line block ×4, first 2 shown]
	v_mad_u64_u32 v[22:23], s[8:9], v16, s62, 0
	v_add_u32_e32 v13, 0xdb3d7428, v11
	v_mad_u64_u32 v[10:11], s[8:9], v7, s65, 0
	v_xor_b32_e32 v7, v35, v23
	v_xor_b32_e32 v7, v7, v20
	v_xor_b32_e32 v11, v36, v11
	v_xor_b32_e32 v11, v11, v18
	v_mad_u64_u32 v[18:19], s[8:9], v7, s65, 0
	v_mad_u64_u32 v[20:21], s[8:9], v11, s62, 0
	v_xor_b32_e32 v11, v38, v19
	v_xor_b32_e32 v7, v37, v21
	v_xor_b32_e32 v16, v11, v10
	v_xor_b32_e32 v7, v7, v22
	v_mad_u64_u32 v[22:23], s[8:9], v16, s62, 0
	;; [unrolled: 6-line block ×7, first 2 shown]
	v_xor_b32_e32 v7, v13, v21
	v_xor_b32_e32 v7, v7, v10
	v_mad_u64_u32 v[22:23], s[8:9], v11, s62, 0
	v_mad_u64_u32 v[10:11], s[8:9], v7, s62, 0
	v_xor_b32_e32 v7, v11, v22
	v_xor_b32_e32 v7, v15, v7
	v_cmp_lt_i32_e32 vcc, 1, v31
                                        ; implicit-def: $vgpr19
	s_and_saveexec_b64 s[8:9], vcc
	s_xor_b64 s[8:9], exec, s[8:9]
	s_cbranch_execz .LBB101_31
; %bb.26:                               ;   in Loop: Header=BB101_3 Depth=1
	v_cmp_lt_i32_e32 vcc, 2, v31
                                        ; implicit-def: $vgpr19
	s_and_saveexec_b64 s[44:45], vcc
	s_xor_b64 s[44:45], exec, s[44:45]
; %bb.27:                               ;   in Loop: Header=BB101_3 Depth=1
	v_xor_b32_e32 v11, v33, v23
	v_xor_b32_e32 v11, v11, v18
	v_mul_hi_u32 v11, v11, s65
	v_xor_b32_e32 v11, v11, v20
	v_xor_b32_e32 v19, v34, v11
                                        ; implicit-def: $vgpr32
; %bb.28:                               ;   in Loop: Header=BB101_3 Depth=1
	s_andn2_saveexec_b64 s[44:45], s[44:45]
; %bb.29:                               ;   in Loop: Header=BB101_3 Depth=1
	v_mov_b32_e32 v19, v10
	v_mov_b32_e32 v10, v7
	;; [unrolled: 1-line block ×4, first 2 shown]
; %bb.30:                               ;   in Loop: Header=BB101_3 Depth=1
	s_or_b64 exec, exec, s[44:45]
                                        ; implicit-def: $vgpr12_vgpr13
                                        ; implicit-def: $vgpr14_vgpr15
                                        ; implicit-def: $vgpr31
                                        ; implicit-def: $vgpr32
                                        ; implicit-def: $vgpr16_vgpr17
                                        ; implicit-def: $vgpr13
                                        ; implicit-def: $vgpr15
.LBB101_31:                             ;   in Loop: Header=BB101_3 Depth=1
	s_andn2_saveexec_b64 s[8:9], s[8:9]
	s_cbranch_execz .LBB101_35
; %bb.32:                               ;   in Loop: Header=BB101_3 Depth=1
	v_xor_b32_e32 v10, v13, v17
	v_xor_b32_e32 v10, v10, v12
	v_mad_u64_u32 v[12:13], s[44:45], v10, s62, 0
	v_xor_b32_e32 v10, v13, v14
	v_xor_b32_e32 v11, v15, v10
	v_cmp_eq_u32_e32 vcc, 1, v31
	v_mov_b32_e32 v19, v6
	v_mov_b32_e32 v10, v32
	;; [unrolled: 1-line block ×3, first 2 shown]
	s_and_saveexec_b64 s[44:45], vcc
; %bb.33:                               ;   in Loop: Header=BB101_3 Depth=1
	v_mov_b32_e32 v19, v7
	v_mov_b32_e32 v10, v6
	;; [unrolled: 1-line block ×4, first 2 shown]
; %bb.34:                               ;   in Loop: Header=BB101_3 Depth=1
	s_or_b64 exec, exec, s[44:45]
	v_mov_b32_e32 v6, v11
	v_mov_b32_e32 v7, v13
.LBB101_35:                             ;   in Loop: Header=BB101_3 Depth=1
	s_or_b64 exec, exec, s[8:9]
	v_min_i32_e32 v11, 4, v25
	v_cmp_lt_i32_e32 vcc, 2, v11
	s_mov_b64 s[44:45], 0
	s_mov_b64 s[54:55], 0
	;; [unrolled: 1-line block ×3, first 2 shown]
                                        ; implicit-def: $sgpr46_sgpr47
                                        ; implicit-def: $sgpr48_sgpr49
                                        ; implicit-def: $sgpr50_sgpr51
	s_and_saveexec_b64 s[52:53], vcc
	s_xor_b64 s[52:53], exec, s[52:53]
	s_cbranch_execz .LBB101_47
; %bb.36:                               ;   in Loop: Header=BB101_3 Depth=1
	v_cmp_lt_i32_e32 vcc, 3, v11
	s_mov_b64 s[8:9], -1
	s_mov_b64 s[58:59], 0
                                        ; implicit-def: $sgpr46_sgpr47
                                        ; implicit-def: $sgpr56_sgpr57
	s_and_saveexec_b64 s[48:49], vcc
	s_cbranch_execz .LBB101_42
; %bb.37:                               ;   in Loop: Header=BB101_3 Depth=1
	v_cmp_eq_u32_e32 vcc, 4, v11
	s_mov_b64 s[8:9], 0
	s_mov_b64 s[58:59], -1
                                        ; implicit-def: $sgpr46_sgpr47
                                        ; implicit-def: $sgpr56_sgpr57
	s_and_saveexec_b64 s[50:51], vcc
	s_cbranch_execz .LBB101_41
; %bb.38:                               ;   in Loop: Header=BB101_3 Depth=1
	s_waitcnt vmcnt(0)
	v_cmp_le_f32_e32 vcc, 0, v2
	v_cmp_ge_f32_e64 s[8:9], 1.0, v2
	s_and_b64 s[58:59], vcc, s[8:9]
	s_mov_b64 s[46:47], 0
	s_mov_b64 s[8:9], 0
	s_and_saveexec_b64 s[56:57], s[58:59]
	s_cbranch_execz .LBB101_40
; %bb.39:                               ;   in Loop: Header=BB101_3 Depth=1
	v_cvt_f32_u32_e32 v12, v19
	v_mov_b32_e32 v13, 0x2f800000
	v_lshlrev_b64 v[8:9], 1, v[8:9]
	v_add_co_u32_e32 v8, vcc, s10, v8
	v_fmac_f32_e32 v13, 0x2f800000, v12
	v_mov_b32_e32 v12, s11
	v_addc_co_u32_e32 v9, vcc, v12, v9, vcc
	v_cmp_le_f32_e32 vcc, v13, v2
	s_mov_b64 s[8:9], exec
	v_cndmask_b32_e64 v2, 0, 1.0, vcc
	global_store_short_d16_hi v[8:9], v2, off
.LBB101_40:                             ;   in Loop: Header=BB101_3 Depth=1
	s_or_b64 exec, exec, s[56:57]
	s_mov_b64 s[56:57], -1
	s_xor_b64 s[58:59], exec, -1
	s_and_b64 s[8:9], s[8:9], exec
.LBB101_41:                             ;   in Loop: Header=BB101_3 Depth=1
	s_or_b64 exec, exec, s[50:51]
	s_and_b64 s[58:59], s[58:59], exec
	s_orn2_b64 s[8:9], s[8:9], exec
.LBB101_42:                             ;   in Loop: Header=BB101_3 Depth=1
	s_or_b64 exec, exec, s[48:49]
	s_mov_b64 s[50:51], s[46:47]
	s_and_saveexec_b64 s[48:49], s[8:9]
	s_cbranch_execz .LBB101_46
; %bb.43:                               ;   in Loop: Header=BB101_3 Depth=1
	s_waitcnt vmcnt(1)
	v_cmp_le_f32_e32 vcc, 0, v30
	v_cmp_ge_f32_e64 s[8:9], 1.0, v30
	s_and_b64 s[50:51], vcc, s[8:9]
	s_mov_b64 s[8:9], 0
	s_and_saveexec_b64 s[54:55], s[50:51]
	s_xor_b64 s[50:51], exec, s[54:55]
	s_cbranch_execz .LBB101_45
; %bb.44:                               ;   in Loop: Header=BB101_3 Depth=1
	v_cvt_f32_u32_e32 v8, v10
	v_mov_b32_e32 v10, 0x2f800000
	s_waitcnt vmcnt(0)
	v_cndmask_b32_e64 v2, 0, v28, s[6:7]
	s_mov_b64 s[8:9], exec
	v_fmac_f32_e32 v10, 0x2f800000, v8
	v_lshlrev_b64 v[8:9], 1, v[2:3]
	v_mov_b32_e32 v2, s11
	v_add_co_u32_e32 v8, vcc, s10, v8
	v_addc_co_u32_e32 v9, vcc, v2, v9, vcc
	v_cmp_le_f32_e32 vcc, v10, v30
	v_cndmask_b32_e64 v2, 0, 1.0, vcc
	global_store_short_d16_hi v[8:9], v2, off
.LBB101_45:                             ;   in Loop: Header=BB101_3 Depth=1
	s_or_b64 exec, exec, s[50:51]
	s_andn2_b64 s[50:51], s[46:47], exec
	s_or_b64 s[46:47], s[46:47], exec
	s_andn2_b64 s[56:57], s[56:57], exec
	s_and_b64 s[54:55], s[8:9], exec
.LBB101_46:                             ;   in Loop: Header=BB101_3 Depth=1
	s_or_b64 exec, exec, s[48:49]
	s_and_b64 s[50:51], s[50:51], exec
	s_and_b64 s[48:49], s[46:47], exec
	;; [unrolled: 1-line block ×5, first 2 shown]
.LBB101_47:                             ;   in Loop: Header=BB101_3 Depth=1
	s_andn2_saveexec_b64 s[6:7], s[52:53]
; %bb.48:                               ;   in Loop: Header=BB101_3 Depth=1
	v_cmp_lt_i32_e32 vcc, 1, v11
	s_andn2_b64 s[52:53], s[54:55], exec
	s_and_b64 s[54:55], vcc, exec
	s_mov_b64 s[44:45], exec
	s_andn2_b64 s[50:51], s[50:51], exec
	s_andn2_b64 s[48:49], s[48:49], exec
	;; [unrolled: 1-line block ×3, first 2 shown]
	s_or_b64 s[54:55], s[52:53], s[54:55]
; %bb.49:                               ;   in Loop: Header=BB101_3 Depth=1
	s_or_b64 exec, exec, s[6:7]
	s_mov_b64 s[52:53], 0
	s_mov_b64 s[6:7], s[50:51]
	s_and_saveexec_b64 s[56:57], s[54:55]
	s_cbranch_execnz .LBB101_52
; %bb.50:                               ;   in Loop: Header=BB101_3 Depth=1
	s_or_b64 exec, exec, s[56:57]
	s_and_saveexec_b64 s[4:5], s[44:45]
	s_cbranch_execnz .LBB101_55
.LBB101_51:                             ;   in Loop: Header=BB101_3 Depth=1
	s_or_b64 exec, exec, s[4:5]
	s_and_saveexec_b64 s[44:45], s[52:53]
	s_cbranch_execnz .LBB101_56
	s_branch .LBB101_59
.LBB101_52:                             ;   in Loop: Header=BB101_3 Depth=1
	s_waitcnt vmcnt(2)
	v_cmp_le_f32_e32 vcc, 0, v29
	v_cmp_ge_f32_e64 s[6:7], 1.0, v29
	s_and_b64 s[6:7], vcc, s[6:7]
	s_and_saveexec_b64 s[54:55], s[6:7]
	s_xor_b64 s[6:7], exec, s[54:55]
	s_cbranch_execz .LBB101_54
; %bb.53:                               ;   in Loop: Header=BB101_3 Depth=1
	v_cvt_f32_u32_e32 v7, v7
	s_waitcnt vmcnt(0)
	v_cndmask_b32_e64 v2, 0, v26, s[4:5]
	v_lshlrev_b64 v[8:9], 1, v[2:3]
	v_mov_b32_e32 v10, 0x2f800000
	v_mov_b32_e32 v2, s11
	v_add_co_u32_e32 v8, vcc, s10, v8
	v_fmac_f32_e32 v10, 0x2f800000, v7
	v_addc_co_u32_e32 v9, vcc, v2, v9, vcc
	v_cmp_le_f32_e32 vcc, v10, v29
	v_cndmask_b32_e64 v2, 0, 1.0, vcc
	s_mov_b64 s[52:53], exec
	global_store_short_d16_hi v[8:9], v2, off
.LBB101_54:                             ;   in Loop: Header=BB101_3 Depth=1
	s_or_b64 exec, exec, s[6:7]
	s_andn2_b64 s[6:7], s[50:51], exec
	s_or_b64 s[50:51], s[50:51], exec
	s_andn2_b64 s[48:49], s[48:49], exec
	s_andn2_b64 s[46:47], s[46:47], exec
	s_and_b64 s[52:53], s[52:53], exec
	s_andn2_b64 s[44:45], s[44:45], exec
	s_or_b64 exec, exec, s[56:57]
	s_and_saveexec_b64 s[4:5], s[44:45]
	s_cbranch_execz .LBB101_51
.LBB101_55:                             ;   in Loop: Header=BB101_3 Depth=1
	v_cmp_eq_u32_e32 vcc, 1, v11
	s_andn2_b64 s[44:45], s[52:53], exec
	s_and_b64 s[52:53], vcc, exec
	s_andn2_b64 s[6:7], s[6:7], exec
	s_andn2_b64 s[50:51], s[50:51], exec
	;; [unrolled: 1-line block ×4, first 2 shown]
	s_or_b64 s[8:9], s[8:9], exec
	s_or_b64 s[52:53], s[44:45], s[52:53]
	s_or_b64 exec, exec, s[4:5]
	s_and_saveexec_b64 s[44:45], s[52:53]
	s_cbranch_execz .LBB101_59
.LBB101_56:                             ;   in Loop: Header=BB101_3 Depth=1
	s_waitcnt vmcnt(3)
	v_cmp_le_f32_e32 vcc, 0, v27
	v_cmp_ge_f32_e64 s[4:5], 1.0, v27
	s_and_b64 s[54:55], vcc, s[4:5]
	s_mov_b64 s[4:5], 0
	s_and_saveexec_b64 s[52:53], s[54:55]
	s_cbranch_execz .LBB101_58
; %bb.57:                               ;   in Loop: Header=BB101_3 Depth=1
	v_cvt_f32_u32_e32 v6, v6
	v_mov_b32_e32 v8, 0x2f800000
	s_waitcnt vmcnt(0)
	v_cndmask_b32_e64 v2, 0, v1, s[2:3]
	v_mov_b32_e32 v1, s11
	v_fmac_f32_e32 v8, 0x2f800000, v6
	v_lshlrev_b64 v[6:7], 1, v[2:3]
	v_add_co_u32_e32 v6, vcc, s10, v6
	v_addc_co_u32_e32 v7, vcc, v1, v7, vcc
	v_cmp_le_f32_e32 vcc, v8, v27
	s_mov_b64 s[4:5], exec
	v_cndmask_b32_e64 v1, 0, 1.0, vcc
	global_store_short_d16_hi v[6:7], v1, off
.LBB101_58:                             ;   in Loop: Header=BB101_3 Depth=1
	s_or_b64 exec, exec, s[52:53]
	s_andn2_b64 s[2:3], s[8:9], exec
	s_and_b64 s[4:5], s[4:5], exec
	s_or_b64 s[6:7], s[6:7], exec
	s_andn2_b64 s[50:51], s[50:51], exec
	s_andn2_b64 s[48:49], s[48:49], exec
	;; [unrolled: 1-line block ×3, first 2 shown]
	s_or_b64 s[8:9], s[2:3], s[4:5]
.LBB101_59:                             ;   in Loop: Header=BB101_3 Depth=1
	s_or_b64 exec, exec, s[44:45]
	s_andn2_b64 s[4:5], s[42:43], exec
	s_and_b64 s[6:7], s[6:7], exec
	s_or_b64 s[42:43], s[4:5], s[6:7]
	s_andn2_b64 s[4:5], s[40:41], exec
	s_and_b64 s[6:7], s[50:51], exec
	s_or_b64 s[40:41], s[4:5], s[6:7]
	;; [unrolled: 3-line block ×3, first 2 shown]
	s_andn2_b64 s[4:5], s[36:37], exec
	s_and_b64 s[6:7], s[46:47], exec
	s_mov_b64 s[2:3], -1
	s_or_b64 s[36:37], s[4:5], s[6:7]
	s_and_saveexec_b64 s[4:5], s[8:9]
	s_cbranch_execz .LBB101_2
; %bb.60:                               ;   in Loop: Header=BB101_3 Depth=1
	v_add_u32_e32 v24, s63, v24
	v_cmp_le_u32_e32 vcc, s33, v24
	s_andn2_b64 s[42:43], s[42:43], exec
	s_andn2_b64 s[40:41], s[40:41], exec
	;; [unrolled: 1-line block ×4, first 2 shown]
	s_orn2_b64 s[2:3], vcc, exec
	s_branch .LBB101_2
.LBB101_61:
	s_or_b64 exec, exec, s[26:27]
	s_xor_b64 s[6:7], s[34:35], -1
	s_xor_b64 s[8:9], s[30:31], -1
	;; [unrolled: 1-line block ×3, first 2 shown]
	s_mov_b64 s[2:3], 0
	s_and_saveexec_b64 s[4:5], s[0:1]
	s_xor_b64 s[0:1], exec, s[4:5]
	s_cbranch_execnz .LBB101_66
; %bb.62:
	s_andn2_saveexec_b64 s[0:1], s[0:1]
	s_cbranch_execnz .LBB101_74
.LBB101_63:
	s_or_b64 exec, exec, s[0:1]
	s_and_b64 exec, exec, s[2:3]
.LBB101_64:
	; divergent unreachable
.LBB101_65:
	s_endpgm
.LBB101_66:
	s_mov_b64 s[4:5], 0
	s_and_saveexec_b64 s[2:3], s[8:9]
	s_xor_b64 s[2:3], exec, s[2:3]
	s_cbranch_execz .LBB101_72
; %bb.67:
	s_and_saveexec_b64 s[8:9], s[6:7]
	s_xor_b64 s[6:7], exec, s[8:9]
	s_cbranch_execz .LBB101_70
; %bb.68:
	s_and_saveexec_b64 s[8:9], s[20:21]
	s_xor_b64 s[8:9], exec, s[8:9]
	s_cbranch_execnz .LBB101_77
.LBB101_69:
	s_or_b64 exec, exec, s[8:9]
	s_and_b64 s[4:5], s[4:5], exec
.LBB101_70:
	s_andn2_saveexec_b64 s[6:7], s[6:7]
	s_cbranch_execnz .LBB101_76
.LBB101_71:
	s_or_b64 exec, exec, s[6:7]
	s_and_b64 s[4:5], s[4:5], exec
.LBB101_72:
	s_andn2_saveexec_b64 s[2:3], s[2:3]
	s_cbranch_execnz .LBB101_75
.LBB101_73:
	s_or_b64 exec, exec, s[2:3]
	s_and_b64 s[2:3], s[4:5], exec
	s_andn2_saveexec_b64 s[0:1], s[0:1]
	s_cbranch_execz .LBB101_63
.LBB101_74:
	s_or_b64 s[2:3], s[2:3], exec
	s_trap 2
	s_or_b64 exec, exec, s[0:1]
	s_and_b64 exec, exec, s[2:3]
	s_cbranch_execnz .LBB101_64
	s_branch .LBB101_65
.LBB101_75:
	s_or_b64 s[4:5], s[4:5], exec
	s_trap 2
	s_branch .LBB101_73
.LBB101_76:
	s_trap 2
	s_or_b64 s[4:5], s[4:5], exec
	s_branch .LBB101_71
.LBB101_77:
	s_mov_b64 s[4:5], exec
	s_trap 2
	s_branch .LBB101_69
	.section	.rodata,"a",@progbits
	.p2align	6, 0x0
	.amdhsa_kernel _ZN2at4cuda12_GLOBAL__N_121kernelPointwiseApply2IZNS_6native9templates4cuda28bernoulli_tensor_cuda_kernelIN3c108BFloat16EfEEvRKNS_10TensorBaseESB_NS_15PhiloxCudaStateEEUliRS8_SD_SD_SD_RKfSF_SF_SF_E_S8_SE_jLi1ELin1ELi4ELi512ELi2EEEvNS0_6detail10TensorInfoIT0_T2_EENSI_IT1_SK_EESK_T_
		.amdhsa_group_segment_fixed_size 0
		.amdhsa_private_segment_fixed_size 0
		.amdhsa_kernarg_size 728
		.amdhsa_user_sgpr_count 6
		.amdhsa_user_sgpr_private_segment_buffer 1
		.amdhsa_user_sgpr_dispatch_ptr 0
		.amdhsa_user_sgpr_queue_ptr 0
		.amdhsa_user_sgpr_kernarg_segment_ptr 1
		.amdhsa_user_sgpr_dispatch_id 0
		.amdhsa_user_sgpr_flat_scratch_init 0
		.amdhsa_user_sgpr_kernarg_preload_length 0
		.amdhsa_user_sgpr_kernarg_preload_offset 0
		.amdhsa_user_sgpr_private_segment_size 0
		.amdhsa_uses_dynamic_stack 0
		.amdhsa_system_sgpr_private_segment_wavefront_offset 0
		.amdhsa_system_sgpr_workgroup_id_x 1
		.amdhsa_system_sgpr_workgroup_id_y 0
		.amdhsa_system_sgpr_workgroup_id_z 0
		.amdhsa_system_sgpr_workgroup_info 0
		.amdhsa_system_vgpr_workitem_id 0
		.amdhsa_next_free_vgpr 49
		.amdhsa_next_free_sgpr 67
		.amdhsa_accum_offset 52
		.amdhsa_reserve_vcc 1
		.amdhsa_reserve_flat_scratch 0
		.amdhsa_float_round_mode_32 0
		.amdhsa_float_round_mode_16_64 0
		.amdhsa_float_denorm_mode_32 3
		.amdhsa_float_denorm_mode_16_64 3
		.amdhsa_dx10_clamp 1
		.amdhsa_ieee_mode 1
		.amdhsa_fp16_overflow 0
		.amdhsa_tg_split 0
		.amdhsa_exception_fp_ieee_invalid_op 0
		.amdhsa_exception_fp_denorm_src 0
		.amdhsa_exception_fp_ieee_div_zero 0
		.amdhsa_exception_fp_ieee_overflow 0
		.amdhsa_exception_fp_ieee_underflow 0
		.amdhsa_exception_fp_ieee_inexact 0
		.amdhsa_exception_int_div_zero 0
	.end_amdhsa_kernel
	.section	.text._ZN2at4cuda12_GLOBAL__N_121kernelPointwiseApply2IZNS_6native9templates4cuda28bernoulli_tensor_cuda_kernelIN3c108BFloat16EfEEvRKNS_10TensorBaseESB_NS_15PhiloxCudaStateEEUliRS8_SD_SD_SD_RKfSF_SF_SF_E_S8_SE_jLi1ELin1ELi4ELi512ELi2EEEvNS0_6detail10TensorInfoIT0_T2_EENSI_IT1_SK_EESK_T_,"axG",@progbits,_ZN2at4cuda12_GLOBAL__N_121kernelPointwiseApply2IZNS_6native9templates4cuda28bernoulli_tensor_cuda_kernelIN3c108BFloat16EfEEvRKNS_10TensorBaseESB_NS_15PhiloxCudaStateEEUliRS8_SD_SD_SD_RKfSF_SF_SF_E_S8_SE_jLi1ELin1ELi4ELi512ELi2EEEvNS0_6detail10TensorInfoIT0_T2_EENSI_IT1_SK_EESK_T_,comdat
.Lfunc_end101:
	.size	_ZN2at4cuda12_GLOBAL__N_121kernelPointwiseApply2IZNS_6native9templates4cuda28bernoulli_tensor_cuda_kernelIN3c108BFloat16EfEEvRKNS_10TensorBaseESB_NS_15PhiloxCudaStateEEUliRS8_SD_SD_SD_RKfSF_SF_SF_E_S8_SE_jLi1ELin1ELi4ELi512ELi2EEEvNS0_6detail10TensorInfoIT0_T2_EENSI_IT1_SK_EESK_T_, .Lfunc_end101-_ZN2at4cuda12_GLOBAL__N_121kernelPointwiseApply2IZNS_6native9templates4cuda28bernoulli_tensor_cuda_kernelIN3c108BFloat16EfEEvRKNS_10TensorBaseESB_NS_15PhiloxCudaStateEEUliRS8_SD_SD_SD_RKfSF_SF_SF_E_S8_SE_jLi1ELin1ELi4ELi512ELi2EEEvNS0_6detail10TensorInfoIT0_T2_EENSI_IT1_SK_EESK_T_
                                        ; -- End function
	.section	.AMDGPU.csdata,"",@progbits
; Kernel info:
; codeLenInByte = 3504
; NumSgprs: 71
; NumVgprs: 49
; NumAgprs: 0
; TotalNumVgprs: 49
; ScratchSize: 0
; MemoryBound: 0
; FloatMode: 240
; IeeeMode: 1
; LDSByteSize: 0 bytes/workgroup (compile time only)
; SGPRBlocks: 8
; VGPRBlocks: 6
; NumSGPRsForWavesPerEU: 71
; NumVGPRsForWavesPerEU: 49
; AccumOffset: 52
; Occupancy: 8
; WaveLimiterHint : 1
; COMPUTE_PGM_RSRC2:SCRATCH_EN: 0
; COMPUTE_PGM_RSRC2:USER_SGPR: 6
; COMPUTE_PGM_RSRC2:TRAP_HANDLER: 0
; COMPUTE_PGM_RSRC2:TGID_X_EN: 1
; COMPUTE_PGM_RSRC2:TGID_Y_EN: 0
; COMPUTE_PGM_RSRC2:TGID_Z_EN: 0
; COMPUTE_PGM_RSRC2:TIDIG_COMP_CNT: 0
; COMPUTE_PGM_RSRC3_GFX90A:ACCUM_OFFSET: 12
; COMPUTE_PGM_RSRC3_GFX90A:TG_SPLIT: 0
	.section	.text._ZN2at4cuda12_GLOBAL__N_121kernelPointwiseApply2IZNS_6native9templates4cuda28bernoulli_tensor_cuda_kernelIN3c108BFloat16EfEEvRKNS_10TensorBaseESB_NS_15PhiloxCudaStateEEUliRS8_SD_SD_SD_RKfSF_SF_SF_E_S8_SE_jLi2ELi1ELi4ELi512ELi2EEEvNS0_6detail10TensorInfoIT0_T2_EENSI_IT1_SK_EESK_T_,"axG",@progbits,_ZN2at4cuda12_GLOBAL__N_121kernelPointwiseApply2IZNS_6native9templates4cuda28bernoulli_tensor_cuda_kernelIN3c108BFloat16EfEEvRKNS_10TensorBaseESB_NS_15PhiloxCudaStateEEUliRS8_SD_SD_SD_RKfSF_SF_SF_E_S8_SE_jLi2ELi1ELi4ELi512ELi2EEEvNS0_6detail10TensorInfoIT0_T2_EENSI_IT1_SK_EESK_T_,comdat
	.globl	_ZN2at4cuda12_GLOBAL__N_121kernelPointwiseApply2IZNS_6native9templates4cuda28bernoulli_tensor_cuda_kernelIN3c108BFloat16EfEEvRKNS_10TensorBaseESB_NS_15PhiloxCudaStateEEUliRS8_SD_SD_SD_RKfSF_SF_SF_E_S8_SE_jLi2ELi1ELi4ELi512ELi2EEEvNS0_6detail10TensorInfoIT0_T2_EENSI_IT1_SK_EESK_T_ ; -- Begin function _ZN2at4cuda12_GLOBAL__N_121kernelPointwiseApply2IZNS_6native9templates4cuda28bernoulli_tensor_cuda_kernelIN3c108BFloat16EfEEvRKNS_10TensorBaseESB_NS_15PhiloxCudaStateEEUliRS8_SD_SD_SD_RKfSF_SF_SF_E_S8_SE_jLi2ELi1ELi4ELi512ELi2EEEvNS0_6detail10TensorInfoIT0_T2_EENSI_IT1_SK_EESK_T_
	.p2align	8
	.type	_ZN2at4cuda12_GLOBAL__N_121kernelPointwiseApply2IZNS_6native9templates4cuda28bernoulli_tensor_cuda_kernelIN3c108BFloat16EfEEvRKNS_10TensorBaseESB_NS_15PhiloxCudaStateEEUliRS8_SD_SD_SD_RKfSF_SF_SF_E_S8_SE_jLi2ELi1ELi4ELi512ELi2EEEvNS0_6detail10TensorInfoIT0_T2_EENSI_IT1_SK_EESK_T_,@function
_ZN2at4cuda12_GLOBAL__N_121kernelPointwiseApply2IZNS_6native9templates4cuda28bernoulli_tensor_cuda_kernelIN3c108BFloat16EfEEvRKNS_10TensorBaseESB_NS_15PhiloxCudaStateEEUliRS8_SD_SD_SD_RKfSF_SF_SF_E_S8_SE_jLi2ELi1ELi4ELi512ELi2EEEvNS0_6detail10TensorInfoIT0_T2_EENSI_IT1_SK_EESK_T_: ; @_ZN2at4cuda12_GLOBAL__N_121kernelPointwiseApply2IZNS_6native9templates4cuda28bernoulli_tensor_cuda_kernelIN3c108BFloat16EfEEvRKNS_10TensorBaseESB_NS_15PhiloxCudaStateEEUliRS8_SD_SD_SD_RKfSF_SF_SF_E_S8_SE_jLi2ELi1ELi4ELi512ELi2EEEvNS0_6detail10TensorInfoIT0_T2_EENSI_IT1_SK_EESK_T_
; %bb.0:
	s_load_dword s2, s[4:5], 0x1e4
	s_load_dword s33, s[4:5], 0x1b0
	s_add_u32 s0, s4, 0x1d8
	s_addc_u32 s1, s5, 0
	s_waitcnt lgkmcnt(0)
	s_and_b32 s2, s2, 0xffff
	s_mul_i32 s6, s6, s2
	v_add_u32_e32 v1, s6, v0
	v_lshlrev_b32_e32 v0, 2, v1
	v_cmp_gt_u32_e32 vcc, s33, v0
	s_and_saveexec_b64 s[6:7], vcc
	s_cbranch_execz .LBB102_51
; %bb.1:
	s_load_dwordx2 s[12:13], s[4:5], 0x0
	s_load_dword s52, s[4:5], 0xc
	s_load_dwordx2 s[14:15], s[4:5], 0x6c
	s_load_dwordx2 s[16:17], s[4:5], 0xd8
	s_load_dword s3, s[0:1], 0x0
	s_load_dwordx2 s[18:19], s[4:5], 0x1c8
	s_load_dword s6, s[4:5], 0x1d0
	s_load_dword s7, s[4:5], 0x144
	s_load_dwordx4 s[8:11], s[4:5], 0x1b8
	s_waitcnt lgkmcnt(0)
	v_cvt_f32_u32_e32 v2, s52
	s_mov_b32 s53, 0xcd9e8d57
	s_bitcmp1_b32 s6, 0
	s_cselect_b64 s[22:23], -1, 0
	v_rcp_iflag_f32_e32 v4, v2
	v_mad_u64_u32 v[2:3], s[0:1], v1, s53, 0
	s_sub_i32 s56, 0, s52
	v_mul_f32_e32 v4, 0x4f7ffffe, v4
	v_cvt_u32_f32_e32 v4, v4
	v_mov_b32_e32 v6, v3
	s_mul_i32 s3, s3, s2
	s_lshl_b32 s55, s3, 2
	v_mul_lo_u32 v3, s56, v4
	v_mul_hi_u32 v3, v4, v3
	v_add_u32_e32 v3, v4, v3
	v_add_u32_e32 v4, 2, v0
	v_mul_lo_u32 v32, v0, s7
	v_mul_lo_u32 v34, s7, v4
	v_add_u32_e32 v4, 3, v0
	s_mov_b32 s54, 0
	v_mov_b32_e32 v5, 0
	v_sub_u32_e32 v7, s33, v0
	v_add_u32_e32 v33, s7, v32
	s_mul_i32 s57, s55, s7
	v_mul_lo_u32 v35, s7, v4
	s_mov_b64 s[24:25], 0
	s_mov_b32 s58, 0xd2511f53
	s_mov_b32 s59, 0xf1bbcdc8
                                        ; implicit-def: $sgpr26_sgpr27
                                        ; implicit-def: $sgpr28_sgpr29
                                        ; implicit-def: $sgpr30_sgpr31
                                        ; implicit-def: $sgpr20_sgpr21
                                        ; implicit-def: $sgpr34_sgpr35
                                        ; implicit-def: $sgpr36_sgpr37
                                        ; implicit-def: $sgpr38_sgpr39
                                        ; implicit-def: $sgpr40_sgpr41
	s_branch .LBB102_3
.LBB102_2:                              ;   in Loop: Header=BB102_3 Depth=1
	s_or_b64 exec, exec, s[2:3]
	s_and_b64 s[0:1], exec, s[0:1]
	s_or_b64 s[24:25], s[0:1], s[24:25]
	s_andn2_b64 s[0:1], s[20:21], exec
	s_and_b64 s[2:3], s[40:41], exec
	s_or_b64 s[20:21], s[0:1], s[2:3]
	s_andn2_b64 s[0:1], s[30:31], exec
	s_and_b64 s[2:3], s[38:39], exec
	;; [unrolled: 3-line block ×4, first 2 shown]
	s_or_b64 s[26:27], s[0:1], s[2:3]
	s_andn2_b64 exec, exec, s[24:25]
	s_cbranch_execz .LBB102_47
.LBB102_3:                              ; =>This Inner Loop Header: Depth=1
	v_pk_mov_b32 v[10:11], 0, 0
	v_cmp_lt_i32_e32 vcc, 0, v7
	v_pk_mov_b32 v[8:9], v[10:11], v[10:11] op_sel:[0,1]
	s_and_saveexec_b64 s[2:3], vcc
	s_cbranch_execz .LBB102_5
; %bb.4:                                ;   in Loop: Header=BB102_3 Depth=1
	s_waitcnt vmcnt(3)
	v_mul_hi_u32 v4, v3, v0
	v_not_b32_e32 v12, v4
	v_mad_u64_u32 v[8:9], s[0:1], s56, v4, v[0:1]
	v_add_u32_e32 v9, 1, v4
	v_cmp_le_u32_e64 s[0:1], s52, v8
	v_mad_u64_u32 v[12:13], s[4:5], s52, v12, v[0:1]
	v_cndmask_b32_e64 v4, v4, v9, s[0:1]
	v_cndmask_b32_e64 v8, v8, v12, s[0:1]
	v_add_u32_e32 v9, 1, v4
	v_cmp_le_u32_e64 s[0:1], s52, v8
	v_cndmask_b32_e64 v12, v4, v9, s[0:1]
	v_mad_u64_u32 v[8:9], s[0:1], s56, v12, v[0:1]
	v_mul_lo_u32 v4, v8, s15
	v_mad_u64_u32 v[8:9], s[0:1], v12, s14, v[4:5]
	v_mov_b32_e32 v9, v5
.LBB102_5:                              ;   in Loop: Header=BB102_3 Depth=1
	s_or_b64 exec, exec, s[2:3]
	v_cmp_lt_i32_e64 s[0:1], 1, v7
	s_and_saveexec_b64 s[4:5], s[0:1]
	s_cbranch_execz .LBB102_7
; %bb.6:                                ;   in Loop: Header=BB102_3 Depth=1
	s_waitcnt vmcnt(3)
	v_add_u32_e32 v4, 1, v0
	v_mul_hi_u32 v10, v4, v3
	v_mul_lo_u32 v11, v10, s52
	v_sub_u32_e32 v11, v4, v11
	v_add_u32_e32 v12, 1, v10
	v_cmp_le_u32_e64 s[2:3], s52, v11
	v_cndmask_b32_e64 v10, v10, v12, s[2:3]
	v_subrev_u32_e32 v12, s52, v11
	v_cndmask_b32_e64 v11, v11, v12, s[2:3]
	v_add_u32_e32 v12, 1, v10
	v_cmp_le_u32_e64 s[2:3], s52, v11
	v_cndmask_b32_e64 v10, v10, v12, s[2:3]
	v_mul_lo_u32 v11, v10, s52
	v_sub_u32_e32 v4, v4, v11
	v_mul_lo_u32 v4, v4, s15
	v_mad_u64_u32 v[10:11], s[2:3], v10, s14, v[4:5]
	v_mov_b32_e32 v11, v5
.LBB102_7:                              ;   in Loop: Header=BB102_3 Depth=1
	s_or_b64 exec, exec, s[4:5]
	v_pk_mov_b32 v[16:17], 0, 0
	v_cmp_lt_i32_e64 s[2:3], 2, v7
	v_pk_mov_b32 v[14:15], v[16:17], v[16:17] op_sel:[0,1]
	s_and_saveexec_b64 s[6:7], s[2:3]
	s_cbranch_execz .LBB102_9
; %bb.8:                                ;   in Loop: Header=BB102_3 Depth=1
	s_waitcnt vmcnt(3)
	v_add_u32_e32 v4, 2, v0
	v_mul_hi_u32 v12, v4, v3
	v_mul_lo_u32 v13, v12, s52
	v_sub_u32_e32 v13, v4, v13
	v_add_u32_e32 v14, 1, v12
	v_cmp_le_u32_e64 s[4:5], s52, v13
	v_cndmask_b32_e64 v12, v12, v14, s[4:5]
	v_subrev_u32_e32 v14, s52, v13
	v_cndmask_b32_e64 v13, v13, v14, s[4:5]
	v_add_u32_e32 v14, 1, v12
	v_cmp_le_u32_e64 s[4:5], s52, v13
	v_cndmask_b32_e64 v12, v12, v14, s[4:5]
	v_mul_lo_u32 v13, v12, s52
	v_sub_u32_e32 v4, v4, v13
	v_mul_lo_u32 v4, v4, s15
	v_mad_u64_u32 v[14:15], s[4:5], v12, s14, v[4:5]
	v_mov_b32_e32 v15, v5
.LBB102_9:                              ;   in Loop: Header=BB102_3 Depth=1
	s_or_b64 exec, exec, s[6:7]
	v_cmp_lt_i32_e64 s[4:5], 3, v7
	s_and_saveexec_b64 s[42:43], s[4:5]
	s_cbranch_execz .LBB102_11
; %bb.10:                               ;   in Loop: Header=BB102_3 Depth=1
	s_waitcnt vmcnt(3)
	v_add_u32_e32 v4, 3, v0
	v_mul_hi_u32 v12, v4, v3
	v_mul_lo_u32 v13, v12, s52
	v_sub_u32_e32 v13, v4, v13
	v_add_u32_e32 v16, 1, v12
	v_cmp_le_u32_e64 s[6:7], s52, v13
	v_cndmask_b32_e64 v12, v12, v16, s[6:7]
	v_subrev_u32_e32 v16, s52, v13
	v_cndmask_b32_e64 v13, v13, v16, s[6:7]
	v_add_u32_e32 v16, 1, v12
	v_cmp_le_u32_e64 s[6:7], s52, v13
	v_cndmask_b32_e64 v12, v12, v16, s[6:7]
	v_mul_lo_u32 v13, v12, s52
	v_sub_u32_e32 v4, v4, v13
	v_mul_lo_u32 v4, v4, s15
	v_mad_u64_u32 v[16:17], s[6:7], v12, s14, v[4:5]
	v_mov_b32_e32 v17, v5
.LBB102_11:                             ;   in Loop: Header=BB102_3 Depth=1
	s_or_b64 exec, exec, s[42:43]
	s_waitcnt vmcnt(3)
	v_add_u32_e32 v4, s54, v32
	v_cndmask_b32_e32 v4, 0, v4, vcc
	v_add_u32_e32 v18, s54, v33
	v_lshlrev_b64 v[12:13], 2, v[4:5]
	v_mov_b32_e32 v24, s17
	v_add_co_u32_e32 v12, vcc, s16, v12
	v_cndmask_b32_e64 v4, 0, v18, s[0:1]
	v_add_u32_e32 v20, s54, v34
	v_addc_co_u32_e32 v13, vcc, v24, v13, vcc
	v_lshlrev_b64 v[18:19], 2, v[4:5]
	v_add_co_u32_e32 v18, vcc, s16, v18
	v_cndmask_b32_e64 v4, 0, v20, s[2:3]
	v_add_u32_e32 v22, s54, v35
	v_addc_co_u32_e32 v19, vcc, v24, v19, vcc
	v_lshlrev_b64 v[20:21], 2, v[4:5]
	v_add_co_u32_e32 v20, vcc, s16, v20
	v_cndmask_b32_e64 v4, 0, v22, s[4:5]
	v_addc_co_u32_e32 v21, vcc, v24, v21, vcc
	v_lshlrev_b64 v[22:23], 2, v[4:5]
	v_add_co_u32_e32 v22, vcc, s16, v22
	v_addc_co_u32_e32 v23, vcc, v24, v23, vcc
	global_load_dword v4, v[12:13], off
	global_load_dword v36, v[18:19], off
	;; [unrolled: 1-line block ×4, first 2 shown]
	s_andn2_b64 vcc, exec, s[22:23]
	v_pk_mov_b32 v[12:13], s[10:11], s[10:11] op_sel:[0,1]
	v_pk_mov_b32 v[18:19], s[8:9], s[8:9] op_sel:[0,1]
	s_cbranch_vccnz .LBB102_13
; %bb.12:                               ;   in Loop: Header=BB102_3 Depth=1
	v_pk_mov_b32 v[12:13], s[10:11], s[10:11] op_sel:[0,1]
	flat_load_dwordx2 v[12:13], v[12:13]
	v_pk_mov_b32 v[18:19], s[8:9], s[8:9] op_sel:[0,1]
	flat_load_dwordx2 v[18:19], v[18:19]
	v_mov_b32_e32 v20, s19
	s_waitcnt vmcnt(0) lgkmcnt(0)
	v_add_co_u32_e32 v12, vcc, s18, v12
	v_addc_co_u32_e32 v13, vcc, v13, v20, vcc
.LBB102_13:                             ;   in Loop: Header=BB102_3 Depth=1
	v_alignbit_b32 v28, v13, v12, 2
	v_lshrrev_b32_e32 v29, 2, v13
	v_xor_b32_e32 v20, v6, v18
	v_and_b32_e32 v39, 3, v12
	v_mad_u64_u32 v[12:13], s[0:1], v28, s58, 0
	v_xor_b32_e32 v20, v20, v29
	v_xor_b32_e32 v13, v13, v19
	v_add_u32_e32 v44, 0xbb67ae85, v19
	v_mad_u64_u32 v[20:21], s[0:1], v20, s58, 0
	v_mad_u64_u32 v[22:23], s[0:1], v13, s53, 0
	v_xor_b32_e32 v21, v44, v21
	v_add_u32_e32 v43, 0x9e3779b9, v18
	v_xor_b32_e32 v13, v2, v23
	v_xor_b32_e32 v21, v21, v12
	v_xor_b32_e32 v13, v13, v43
	v_add_u32_e32 v45, 0x3c6ef372, v18
	v_mad_u64_u32 v[24:25], s[0:1], v21, s53, 0
	v_add_u32_e32 v46, 0x76cf5d0a, v19
	v_mad_u64_u32 v[12:13], s[0:1], v13, s58, 0
	v_xor_b32_e32 v21, v45, v25
	v_xor_b32_e32 v21, v21, v22
	v_xor_b32_e32 v13, v46, v13
	v_xor_b32_e32 v13, v13, v20
	v_add_u32_e32 v48, 0x32370b8f, v19
	v_mad_u64_u32 v[20:21], s[0:1], v21, s58, 0
	v_add_u32_e32 v47, 0xdaa66d2b, v18
	v_mad_u64_u32 v[22:23], s[0:1], v13, s53, 0
	v_xor_b32_e32 v21, v48, v21
	;; [unrolled: 8-line block ×5, first 2 shown]
	v_xor_b32_e32 v21, v21, v22
	v_xor_b32_e32 v13, v54, v13
	;; [unrolled: 1-line block ×3, first 2 shown]
	v_add_u32_e32 v56, 0x1fd5c5a3, v19
	v_mad_u64_u32 v[20:21], s[0:1], v21, s58, 0
	v_xor_b32_e32 v21, v56, v21
	v_xor_b32_e32 v12, v21, v12
	v_add_u32_e32 v55, 0x5384540f, v18
	v_mad_u64_u32 v[26:27], s[0:1], v13, s53, 0
	v_add_co_u32_e32 v41, vcc, s59, v18
	v_mad_u64_u32 v[22:23], s[0:1], v12, s53, 0
	v_xor_b32_e32 v13, v55, v27
	v_xor_b32_e32 v12, v41, v23
	;; [unrolled: 1-line block ×4, first 2 shown]
	v_mad_u64_u32 v[24:25], s[0:1], v13, s58, 0
	v_mad_u64_u32 v[12:13], s[0:1], v12, s58, 0
	v_add_u32_e32 v42, 0x96a522ad, v19
	v_xor_b32_e32 v13, v13, v24
	v_xor_b32_e32 v40, v42, v13
	v_add_co_u32_e32 v13, vcc, 1, v28
	v_cndmask_b32_e64 v24, 0, 1, vcc
	v_addc_co_u32_e32 v30, vcc, 0, v29, vcc
	v_cmp_eq_u32_e32 vcc, 0, v30
	v_cndmask_b32_e32 v24, 0, v24, vcc
	v_add_u32_e32 v28, v24, v1
	v_cmp_eq_u32_e32 vcc, 0, v28
	v_mad_u64_u32 v[26:27], s[0:1], v13, s58, 0
	v_mad_u64_u32 v[28:29], s[0:1], v28, s53, 0
	v_add_u32_e32 v23, 0x8ff34781, v18
	v_cndmask_b32_e32 v24, 0, v24, vcc
	v_xor_b32_e32 v13, v29, v18
	v_xor_b32_e32 v18, v27, v19
	;; [unrolled: 1-line block ×4, first 2 shown]
	v_mad_u64_u32 v[30:31], s[0:1], v24, s53, 0
	v_add_u32_e32 v21, 0xdb3d7428, v19
	v_mad_u64_u32 v[18:19], s[0:1], v13, s58, 0
	v_xor_b32_e32 v13, v43, v31
	v_xor_b32_e32 v13, v13, v28
	v_xor_b32_e32 v19, v44, v19
	v_xor_b32_e32 v19, v19, v26
	v_mad_u64_u32 v[26:27], s[0:1], v13, s58, 0
	v_mad_u64_u32 v[28:29], s[0:1], v19, s53, 0
	v_xor_b32_e32 v19, v46, v27
	v_xor_b32_e32 v13, v45, v29
	v_xor_b32_e32 v24, v19, v18
	v_xor_b32_e32 v13, v13, v30
	v_mad_u64_u32 v[30:31], s[0:1], v24, s53, 0
	;; [unrolled: 6-line block ×7, first 2 shown]
	v_xor_b32_e32 v13, v21, v29
	v_xor_b32_e32 v13, v13, v18
	v_mad_u64_u32 v[30:31], s[0:1], v19, s53, 0
	v_mad_u64_u32 v[18:19], s[0:1], v13, s53, 0
	v_xor_b32_e32 v13, v19, v30
	v_xor_b32_e32 v13, v23, v13
	v_cmp_lt_i32_e32 vcc, 1, v39
                                        ; implicit-def: $vgpr27
	s_and_saveexec_b64 s[0:1], vcc
	s_xor_b64 s[0:1], exec, s[0:1]
	s_cbranch_execz .LBB102_19
; %bb.14:                               ;   in Loop: Header=BB102_3 Depth=1
	v_cmp_lt_i32_e32 vcc, 2, v39
                                        ; implicit-def: $vgpr27
	s_and_saveexec_b64 s[2:3], vcc
	s_xor_b64 s[2:3], exec, s[2:3]
; %bb.15:                               ;   in Loop: Header=BB102_3 Depth=1
	v_xor_b32_e32 v19, v41, v31
	v_xor_b32_e32 v19, v19, v26
	v_mul_hi_u32 v19, v19, s58
	v_xor_b32_e32 v19, v19, v28
	v_xor_b32_e32 v27, v42, v19
                                        ; implicit-def: $vgpr40
; %bb.16:                               ;   in Loop: Header=BB102_3 Depth=1
	s_andn2_saveexec_b64 s[2:3], s[2:3]
; %bb.17:                               ;   in Loop: Header=BB102_3 Depth=1
	v_mov_b32_e32 v27, v18
	v_mov_b32_e32 v18, v13
	;; [unrolled: 1-line block ×4, first 2 shown]
; %bb.18:                               ;   in Loop: Header=BB102_3 Depth=1
	s_or_b64 exec, exec, s[2:3]
                                        ; implicit-def: $vgpr20_vgpr21
                                        ; implicit-def: $vgpr22_vgpr23
                                        ; implicit-def: $vgpr39
                                        ; implicit-def: $vgpr40
                                        ; implicit-def: $vgpr24_vgpr25
                                        ; implicit-def: $vgpr21
                                        ; implicit-def: $vgpr23
.LBB102_19:                             ;   in Loop: Header=BB102_3 Depth=1
	s_andn2_saveexec_b64 s[0:1], s[0:1]
	s_cbranch_execz .LBB102_23
; %bb.20:                               ;   in Loop: Header=BB102_3 Depth=1
	v_xor_b32_e32 v18, v21, v25
	v_xor_b32_e32 v18, v18, v20
	v_mad_u64_u32 v[20:21], s[2:3], v18, s53, 0
	v_xor_b32_e32 v18, v21, v22
	v_xor_b32_e32 v19, v23, v18
	v_cmp_eq_u32_e32 vcc, 1, v39
	v_mov_b32_e32 v27, v12
	v_mov_b32_e32 v18, v40
	;; [unrolled: 1-line block ×3, first 2 shown]
	s_and_saveexec_b64 s[2:3], vcc
; %bb.21:                               ;   in Loop: Header=BB102_3 Depth=1
	v_mov_b32_e32 v27, v13
	v_mov_b32_e32 v18, v12
	;; [unrolled: 1-line block ×4, first 2 shown]
; %bb.22:                               ;   in Loop: Header=BB102_3 Depth=1
	s_or_b64 exec, exec, s[2:3]
	v_mov_b32_e32 v12, v19
	v_mov_b32_e32 v13, v21
.LBB102_23:                             ;   in Loop: Header=BB102_3 Depth=1
	s_or_b64 exec, exec, s[0:1]
	v_min_i32_e32 v19, 4, v7
	v_cmp_lt_i32_e32 vcc, 2, v19
	s_mov_b64 s[2:3], 0
	s_mov_b64 s[48:49], 0
                                        ; implicit-def: $sgpr4_sgpr5
                                        ; implicit-def: $sgpr6_sgpr7
                                        ; implicit-def: $sgpr42_sgpr43
	s_and_saveexec_b64 s[0:1], vcc
	s_xor_b64 s[44:45], exec, s[0:1]
	s_cbranch_execz .LBB102_33
; %bb.24:                               ;   in Loop: Header=BB102_3 Depth=1
	v_cmp_lt_i32_e32 vcc, 3, v19
	s_mov_b64 s[42:43], -1
                                        ; implicit-def: $sgpr4_sgpr5
                                        ; implicit-def: $sgpr46_sgpr47
	s_and_saveexec_b64 s[6:7], vcc
	s_cbranch_execz .LBB102_28
; %bb.25:                               ;   in Loop: Header=BB102_3 Depth=1
	s_waitcnt vmcnt(0)
	v_cmp_le_f32_e32 vcc, 0, v38
	v_cmp_ge_f32_e64 s[0:1], 1.0, v38
	s_and_b64 s[46:47], vcc, s[0:1]
	s_mov_b64 s[4:5], 0
	s_mov_b64 s[0:1], 0
	s_and_saveexec_b64 s[42:43], s[46:47]
	s_cbranch_execz .LBB102_27
; %bb.26:                               ;   in Loop: Header=BB102_3 Depth=1
	v_cvt_f32_u32_e32 v20, v27
	v_mov_b32_e32 v21, 0x2f800000
	v_lshlrev_b64 v[16:17], 1, v[16:17]
	v_add_co_u32_e32 v16, vcc, s12, v16
	v_fmac_f32_e32 v21, 0x2f800000, v20
	v_mov_b32_e32 v20, s13
	v_addc_co_u32_e32 v17, vcc, v20, v17, vcc
	v_cmp_le_f32_e32 vcc, v21, v38
	s_mov_b64 s[0:1], exec
	v_cndmask_b32_e64 v20, 0, 1.0, vcc
	global_store_short_d16_hi v[16:17], v20, off
.LBB102_27:                             ;   in Loop: Header=BB102_3 Depth=1
	s_or_b64 exec, exec, s[42:43]
	s_mov_b64 s[46:47], -1
	s_orn2_b64 s[42:43], s[0:1], exec
.LBB102_28:                             ;   in Loop: Header=BB102_3 Depth=1
	s_or_b64 exec, exec, s[6:7]
	s_mov_b64 s[0:1], 0
	s_mov_b64 s[48:49], s[4:5]
	s_and_saveexec_b64 s[6:7], s[42:43]
	s_cbranch_execz .LBB102_32
; %bb.29:                               ;   in Loop: Header=BB102_3 Depth=1
	s_waitcnt vmcnt(1)
	v_cmp_le_f32_e32 vcc, 0, v37
	v_cmp_ge_f32_e64 s[0:1], 1.0, v37
	s_and_b64 s[42:43], vcc, s[0:1]
	s_mov_b64 s[0:1], 0
	s_and_saveexec_b64 s[48:49], s[42:43]
	s_xor_b64 s[42:43], exec, s[48:49]
	s_cbranch_execz .LBB102_31
; %bb.30:                               ;   in Loop: Header=BB102_3 Depth=1
	v_cvt_f32_u32_e32 v16, v18
	v_mov_b32_e32 v17, 0x2f800000
	v_lshlrev_b64 v[14:15], 1, v[14:15]
	v_add_co_u32_e32 v14, vcc, s12, v14
	v_fmac_f32_e32 v17, 0x2f800000, v16
	v_mov_b32_e32 v16, s13
	v_addc_co_u32_e32 v15, vcc, v16, v15, vcc
	v_cmp_le_f32_e32 vcc, v17, v37
	v_cndmask_b32_e64 v16, 0, 1.0, vcc
	s_mov_b64 s[0:1], exec
	global_store_short_d16_hi v[14:15], v16, off
.LBB102_31:                             ;   in Loop: Header=BB102_3 Depth=1
	s_or_b64 exec, exec, s[42:43]
	s_andn2_b64 s[48:49], s[4:5], exec
	s_or_b64 s[4:5], s[4:5], exec
	s_andn2_b64 s[46:47], s[46:47], exec
	s_and_b64 s[0:1], s[0:1], exec
.LBB102_32:                             ;   in Loop: Header=BB102_3 Depth=1
	s_or_b64 exec, exec, s[6:7]
	s_and_b64 s[42:43], s[48:49], exec
	s_and_b64 s[6:7], s[4:5], exec
	s_and_b64 s[4:5], s[46:47], exec
	s_and_b64 s[48:49], s[0:1], exec
.LBB102_33:                             ;   in Loop: Header=BB102_3 Depth=1
	s_andn2_saveexec_b64 s[0:1], s[44:45]
; %bb.34:                               ;   in Loop: Header=BB102_3 Depth=1
	v_cmp_lt_i32_e32 vcc, 1, v19
	s_andn2_b64 s[44:45], s[48:49], exec
	s_and_b64 s[46:47], vcc, exec
	s_mov_b64 s[2:3], exec
	s_andn2_b64 s[42:43], s[42:43], exec
	s_andn2_b64 s[6:7], s[6:7], exec
	;; [unrolled: 1-line block ×3, first 2 shown]
	s_or_b64 s[48:49], s[44:45], s[46:47]
; %bb.35:                               ;   in Loop: Header=BB102_3 Depth=1
	s_or_b64 exec, exec, s[0:1]
	s_mov_b64 s[44:45], 0
	s_mov_b64 s[0:1], 0
	;; [unrolled: 1-line block ×3, first 2 shown]
	s_and_saveexec_b64 s[50:51], s[48:49]
	s_cbranch_execnz .LBB102_38
; %bb.36:                               ;   in Loop: Header=BB102_3 Depth=1
	s_or_b64 exec, exec, s[50:51]
	s_and_saveexec_b64 s[48:49], s[2:3]
	s_cbranch_execnz .LBB102_41
.LBB102_37:                             ;   in Loop: Header=BB102_3 Depth=1
	s_or_b64 exec, exec, s[48:49]
	s_and_saveexec_b64 s[2:3], s[0:1]
	s_cbranch_execnz .LBB102_42
	s_branch .LBB102_45
.LBB102_38:                             ;   in Loop: Header=BB102_3 Depth=1
	s_waitcnt vmcnt(2)
	v_cmp_le_f32_e32 vcc, 0, v36
	v_cmp_ge_f32_e64 s[0:1], 1.0, v36
	s_and_b64 s[46:47], vcc, s[0:1]
	s_mov_b64 s[0:1], 0
	s_and_saveexec_b64 s[48:49], s[46:47]
	s_xor_b64 s[46:47], exec, s[48:49]
	s_cbranch_execz .LBB102_40
; %bb.39:                               ;   in Loop: Header=BB102_3 Depth=1
	v_cvt_f32_u32_e32 v13, v13
	v_mov_b32_e32 v14, 0x2f800000
	v_lshlrev_b64 v[10:11], 1, v[10:11]
	v_add_co_u32_e32 v10, vcc, s12, v10
	v_fmac_f32_e32 v14, 0x2f800000, v13
	v_mov_b32_e32 v13, s13
	v_addc_co_u32_e32 v11, vcc, v13, v11, vcc
	v_cmp_le_f32_e32 vcc, v14, v36
	v_cndmask_b32_e64 v13, 0, 1.0, vcc
	s_mov_b64 s[0:1], exec
	global_store_short_d16_hi v[10:11], v13, off
.LBB102_40:                             ;   in Loop: Header=BB102_3 Depth=1
	s_or_b64 exec, exec, s[46:47]
	s_andn2_b64 s[46:47], s[42:43], exec
	s_or_b64 s[42:43], s[42:43], exec
	s_andn2_b64 s[6:7], s[6:7], exec
	s_andn2_b64 s[4:5], s[4:5], exec
	s_and_b64 s[0:1], s[0:1], exec
	s_andn2_b64 s[2:3], s[2:3], exec
	s_or_b64 exec, exec, s[50:51]
	s_and_saveexec_b64 s[48:49], s[2:3]
	s_cbranch_execz .LBB102_37
.LBB102_41:                             ;   in Loop: Header=BB102_3 Depth=1
	v_cmp_eq_u32_e32 vcc, 1, v19
	s_andn2_b64 s[0:1], s[0:1], exec
	s_and_b64 s[2:3], vcc, exec
	s_mov_b64 s[44:45], exec
	s_andn2_b64 s[46:47], s[46:47], exec
	s_andn2_b64 s[42:43], s[42:43], exec
	;; [unrolled: 1-line block ×4, first 2 shown]
	s_or_b64 s[0:1], s[0:1], s[2:3]
	s_or_b64 exec, exec, s[48:49]
	s_and_saveexec_b64 s[2:3], s[0:1]
	s_cbranch_execz .LBB102_45
.LBB102_42:                             ;   in Loop: Header=BB102_3 Depth=1
	s_waitcnt vmcnt(3)
	v_cmp_le_f32_e32 vcc, 0, v4
	v_cmp_ge_f32_e64 s[0:1], 1.0, v4
	s_and_b64 s[50:51], vcc, s[0:1]
	s_mov_b64 s[0:1], 0
	s_and_saveexec_b64 s[48:49], s[50:51]
	s_cbranch_execz .LBB102_44
; %bb.43:                               ;   in Loop: Header=BB102_3 Depth=1
	v_cvt_f32_u32_e32 v10, v12
	v_mov_b32_e32 v11, 0x2f800000
	v_lshlrev_b64 v[8:9], 1, v[8:9]
	v_add_co_u32_e32 v8, vcc, s12, v8
	v_fmac_f32_e32 v11, 0x2f800000, v10
	v_mov_b32_e32 v10, s13
	v_addc_co_u32_e32 v9, vcc, v10, v9, vcc
	v_cmp_le_f32_e32 vcc, v11, v4
	s_mov_b64 s[0:1], exec
	v_cndmask_b32_e64 v4, 0, 1.0, vcc
	global_store_short_d16_hi v[8:9], v4, off
.LBB102_44:                             ;   in Loop: Header=BB102_3 Depth=1
	s_or_b64 exec, exec, s[48:49]
	s_andn2_b64 s[44:45], s[44:45], exec
	s_and_b64 s[0:1], s[0:1], exec
	s_or_b64 s[46:47], s[46:47], exec
	s_andn2_b64 s[42:43], s[42:43], exec
	s_andn2_b64 s[6:7], s[6:7], exec
	;; [unrolled: 1-line block ×3, first 2 shown]
	s_or_b64 s[44:45], s[44:45], s[0:1]
.LBB102_45:                             ;   in Loop: Header=BB102_3 Depth=1
	s_or_b64 exec, exec, s[2:3]
	s_andn2_b64 s[2:3], s[40:41], exec
	s_and_b64 s[40:41], s[46:47], exec
	s_or_b64 s[40:41], s[2:3], s[40:41]
	s_andn2_b64 s[2:3], s[38:39], exec
	s_and_b64 s[38:39], s[42:43], exec
	s_or_b64 s[38:39], s[2:3], s[38:39]
	;; [unrolled: 3-line block ×3, first 2 shown]
	s_andn2_b64 s[2:3], s[34:35], exec
	s_and_b64 s[4:5], s[4:5], exec
	s_mov_b64 s[0:1], -1
	s_or_b64 s[34:35], s[2:3], s[4:5]
	s_and_saveexec_b64 s[2:3], s[44:45]
	s_cbranch_execz .LBB102_2
; %bb.46:                               ;   in Loop: Header=BB102_3 Depth=1
	v_add_u32_e32 v0, s55, v0
	v_cmp_le_u32_e32 vcc, s33, v0
	v_subrev_u32_e32 v7, s55, v7
	s_add_i32 s54, s54, s57
	s_andn2_b64 s[40:41], s[40:41], exec
	s_andn2_b64 s[38:39], s[38:39], exec
	;; [unrolled: 1-line block ×4, first 2 shown]
	s_orn2_b64 s[0:1], vcc, exec
	s_branch .LBB102_2
.LBB102_47:
	s_or_b64 exec, exec, s[24:25]
	s_xor_b64 s[6:7], s[30:31], -1
	s_xor_b64 s[8:9], s[28:29], -1
	;; [unrolled: 1-line block ×3, first 2 shown]
	s_mov_b64 s[2:3], 0
	s_and_saveexec_b64 s[4:5], s[0:1]
	s_xor_b64 s[0:1], exec, s[4:5]
	s_cbranch_execnz .LBB102_52
; %bb.48:
	s_andn2_saveexec_b64 s[0:1], s[0:1]
	s_cbranch_execnz .LBB102_60
.LBB102_49:
	s_or_b64 exec, exec, s[0:1]
	s_and_b64 exec, exec, s[2:3]
.LBB102_50:
	; divergent unreachable
.LBB102_51:
	s_endpgm
.LBB102_52:
	s_mov_b64 s[4:5], 0
	s_and_saveexec_b64 s[2:3], s[8:9]
	s_xor_b64 s[2:3], exec, s[2:3]
	s_cbranch_execz .LBB102_58
; %bb.53:
	s_and_saveexec_b64 s[8:9], s[6:7]
	s_xor_b64 s[6:7], exec, s[8:9]
	s_cbranch_execz .LBB102_56
; %bb.54:
	s_and_saveexec_b64 s[8:9], s[20:21]
	s_xor_b64 s[8:9], exec, s[8:9]
	s_cbranch_execnz .LBB102_63
.LBB102_55:
	s_or_b64 exec, exec, s[8:9]
	s_and_b64 s[4:5], s[4:5], exec
.LBB102_56:
	s_andn2_saveexec_b64 s[6:7], s[6:7]
	s_cbranch_execnz .LBB102_62
.LBB102_57:
	s_or_b64 exec, exec, s[6:7]
	s_and_b64 s[4:5], s[4:5], exec
.LBB102_58:
	s_andn2_saveexec_b64 s[2:3], s[2:3]
	s_cbranch_execnz .LBB102_61
.LBB102_59:
	s_or_b64 exec, exec, s[2:3]
	s_and_b64 s[2:3], s[4:5], exec
	s_andn2_saveexec_b64 s[0:1], s[0:1]
	s_cbranch_execz .LBB102_49
.LBB102_60:
	s_or_b64 s[2:3], s[2:3], exec
	s_trap 2
	s_or_b64 exec, exec, s[0:1]
	s_and_b64 exec, exec, s[2:3]
	s_cbranch_execnz .LBB102_50
	s_branch .LBB102_51
.LBB102_61:
	s_or_b64 s[4:5], s[4:5], exec
	s_trap 2
	s_branch .LBB102_59
.LBB102_62:
	s_trap 2
	s_or_b64 s[4:5], s[4:5], exec
	s_branch .LBB102_57
.LBB102_63:
	s_mov_b64 s[4:5], exec
	s_trap 2
	s_branch .LBB102_55
	.section	.rodata,"a",@progbits
	.p2align	6, 0x0
	.amdhsa_kernel _ZN2at4cuda12_GLOBAL__N_121kernelPointwiseApply2IZNS_6native9templates4cuda28bernoulli_tensor_cuda_kernelIN3c108BFloat16EfEEvRKNS_10TensorBaseESB_NS_15PhiloxCudaStateEEUliRS8_SD_SD_SD_RKfSF_SF_SF_E_S8_SE_jLi2ELi1ELi4ELi512ELi2EEEvNS0_6detail10TensorInfoIT0_T2_EENSI_IT1_SK_EESK_T_
		.amdhsa_group_segment_fixed_size 0
		.amdhsa_private_segment_fixed_size 0
		.amdhsa_kernarg_size 728
		.amdhsa_user_sgpr_count 6
		.amdhsa_user_sgpr_private_segment_buffer 1
		.amdhsa_user_sgpr_dispatch_ptr 0
		.amdhsa_user_sgpr_queue_ptr 0
		.amdhsa_user_sgpr_kernarg_segment_ptr 1
		.amdhsa_user_sgpr_dispatch_id 0
		.amdhsa_user_sgpr_flat_scratch_init 0
		.amdhsa_user_sgpr_kernarg_preload_length 0
		.amdhsa_user_sgpr_kernarg_preload_offset 0
		.amdhsa_user_sgpr_private_segment_size 0
		.amdhsa_uses_dynamic_stack 0
		.amdhsa_system_sgpr_private_segment_wavefront_offset 0
		.amdhsa_system_sgpr_workgroup_id_x 1
		.amdhsa_system_sgpr_workgroup_id_y 0
		.amdhsa_system_sgpr_workgroup_id_z 0
		.amdhsa_system_sgpr_workgroup_info 0
		.amdhsa_system_vgpr_workitem_id 0
		.amdhsa_next_free_vgpr 57
		.amdhsa_next_free_sgpr 60
		.amdhsa_accum_offset 60
		.amdhsa_reserve_vcc 1
		.amdhsa_reserve_flat_scratch 0
		.amdhsa_float_round_mode_32 0
		.amdhsa_float_round_mode_16_64 0
		.amdhsa_float_denorm_mode_32 3
		.amdhsa_float_denorm_mode_16_64 3
		.amdhsa_dx10_clamp 1
		.amdhsa_ieee_mode 1
		.amdhsa_fp16_overflow 0
		.amdhsa_tg_split 0
		.amdhsa_exception_fp_ieee_invalid_op 0
		.amdhsa_exception_fp_denorm_src 0
		.amdhsa_exception_fp_ieee_div_zero 0
		.amdhsa_exception_fp_ieee_overflow 0
		.amdhsa_exception_fp_ieee_underflow 0
		.amdhsa_exception_fp_ieee_inexact 0
		.amdhsa_exception_int_div_zero 0
	.end_amdhsa_kernel
	.section	.text._ZN2at4cuda12_GLOBAL__N_121kernelPointwiseApply2IZNS_6native9templates4cuda28bernoulli_tensor_cuda_kernelIN3c108BFloat16EfEEvRKNS_10TensorBaseESB_NS_15PhiloxCudaStateEEUliRS8_SD_SD_SD_RKfSF_SF_SF_E_S8_SE_jLi2ELi1ELi4ELi512ELi2EEEvNS0_6detail10TensorInfoIT0_T2_EENSI_IT1_SK_EESK_T_,"axG",@progbits,_ZN2at4cuda12_GLOBAL__N_121kernelPointwiseApply2IZNS_6native9templates4cuda28bernoulli_tensor_cuda_kernelIN3c108BFloat16EfEEvRKNS_10TensorBaseESB_NS_15PhiloxCudaStateEEUliRS8_SD_SD_SD_RKfSF_SF_SF_E_S8_SE_jLi2ELi1ELi4ELi512ELi2EEEvNS0_6detail10TensorInfoIT0_T2_EENSI_IT1_SK_EESK_T_,comdat
.Lfunc_end102:
	.size	_ZN2at4cuda12_GLOBAL__N_121kernelPointwiseApply2IZNS_6native9templates4cuda28bernoulli_tensor_cuda_kernelIN3c108BFloat16EfEEvRKNS_10TensorBaseESB_NS_15PhiloxCudaStateEEUliRS8_SD_SD_SD_RKfSF_SF_SF_E_S8_SE_jLi2ELi1ELi4ELi512ELi2EEEvNS0_6detail10TensorInfoIT0_T2_EENSI_IT1_SK_EESK_T_, .Lfunc_end102-_ZN2at4cuda12_GLOBAL__N_121kernelPointwiseApply2IZNS_6native9templates4cuda28bernoulli_tensor_cuda_kernelIN3c108BFloat16EfEEvRKNS_10TensorBaseESB_NS_15PhiloxCudaStateEEUliRS8_SD_SD_SD_RKfSF_SF_SF_E_S8_SE_jLi2ELi1ELi4ELi512ELi2EEEvNS0_6detail10TensorInfoIT0_T2_EENSI_IT1_SK_EESK_T_
                                        ; -- End function
	.section	.AMDGPU.csdata,"",@progbits
; Kernel info:
; codeLenInByte = 3092
; NumSgprs: 64
; NumVgprs: 57
; NumAgprs: 0
; TotalNumVgprs: 57
; ScratchSize: 0
; MemoryBound: 0
; FloatMode: 240
; IeeeMode: 1
; LDSByteSize: 0 bytes/workgroup (compile time only)
; SGPRBlocks: 7
; VGPRBlocks: 7
; NumSGPRsForWavesPerEU: 64
; NumVGPRsForWavesPerEU: 57
; AccumOffset: 60
; Occupancy: 8
; WaveLimiterHint : 1
; COMPUTE_PGM_RSRC2:SCRATCH_EN: 0
; COMPUTE_PGM_RSRC2:USER_SGPR: 6
; COMPUTE_PGM_RSRC2:TRAP_HANDLER: 0
; COMPUTE_PGM_RSRC2:TGID_X_EN: 1
; COMPUTE_PGM_RSRC2:TGID_Y_EN: 0
; COMPUTE_PGM_RSRC2:TGID_Z_EN: 0
; COMPUTE_PGM_RSRC2:TIDIG_COMP_CNT: 0
; COMPUTE_PGM_RSRC3_GFX90A:ACCUM_OFFSET: 14
; COMPUTE_PGM_RSRC3_GFX90A:TG_SPLIT: 0
	.section	.text._ZN2at4cuda12_GLOBAL__N_121kernelPointwiseApply2IZNS_6native9templates4cuda28bernoulli_tensor_cuda_kernelIN3c108BFloat16EfEEvRKNS_10TensorBaseESB_NS_15PhiloxCudaStateEEUliRS8_SD_SD_SD_RKfSF_SF_SF_E_S8_SE_jLi2ELi2ELi4ELi512ELi2EEEvNS0_6detail10TensorInfoIT0_T2_EENSI_IT1_SK_EESK_T_,"axG",@progbits,_ZN2at4cuda12_GLOBAL__N_121kernelPointwiseApply2IZNS_6native9templates4cuda28bernoulli_tensor_cuda_kernelIN3c108BFloat16EfEEvRKNS_10TensorBaseESB_NS_15PhiloxCudaStateEEUliRS8_SD_SD_SD_RKfSF_SF_SF_E_S8_SE_jLi2ELi2ELi4ELi512ELi2EEEvNS0_6detail10TensorInfoIT0_T2_EENSI_IT1_SK_EESK_T_,comdat
	.globl	_ZN2at4cuda12_GLOBAL__N_121kernelPointwiseApply2IZNS_6native9templates4cuda28bernoulli_tensor_cuda_kernelIN3c108BFloat16EfEEvRKNS_10TensorBaseESB_NS_15PhiloxCudaStateEEUliRS8_SD_SD_SD_RKfSF_SF_SF_E_S8_SE_jLi2ELi2ELi4ELi512ELi2EEEvNS0_6detail10TensorInfoIT0_T2_EENSI_IT1_SK_EESK_T_ ; -- Begin function _ZN2at4cuda12_GLOBAL__N_121kernelPointwiseApply2IZNS_6native9templates4cuda28bernoulli_tensor_cuda_kernelIN3c108BFloat16EfEEvRKNS_10TensorBaseESB_NS_15PhiloxCudaStateEEUliRS8_SD_SD_SD_RKfSF_SF_SF_E_S8_SE_jLi2ELi2ELi4ELi512ELi2EEEvNS0_6detail10TensorInfoIT0_T2_EENSI_IT1_SK_EESK_T_
	.p2align	8
	.type	_ZN2at4cuda12_GLOBAL__N_121kernelPointwiseApply2IZNS_6native9templates4cuda28bernoulli_tensor_cuda_kernelIN3c108BFloat16EfEEvRKNS_10TensorBaseESB_NS_15PhiloxCudaStateEEUliRS8_SD_SD_SD_RKfSF_SF_SF_E_S8_SE_jLi2ELi2ELi4ELi512ELi2EEEvNS0_6detail10TensorInfoIT0_T2_EENSI_IT1_SK_EESK_T_,@function
_ZN2at4cuda12_GLOBAL__N_121kernelPointwiseApply2IZNS_6native9templates4cuda28bernoulli_tensor_cuda_kernelIN3c108BFloat16EfEEvRKNS_10TensorBaseESB_NS_15PhiloxCudaStateEEUliRS8_SD_SD_SD_RKfSF_SF_SF_E_S8_SE_jLi2ELi2ELi4ELi512ELi2EEEvNS0_6detail10TensorInfoIT0_T2_EENSI_IT1_SK_EESK_T_: ; @_ZN2at4cuda12_GLOBAL__N_121kernelPointwiseApply2IZNS_6native9templates4cuda28bernoulli_tensor_cuda_kernelIN3c108BFloat16EfEEvRKNS_10TensorBaseESB_NS_15PhiloxCudaStateEEUliRS8_SD_SD_SD_RKfSF_SF_SF_E_S8_SE_jLi2ELi2ELi4ELi512ELi2EEEvNS0_6detail10TensorInfoIT0_T2_EENSI_IT1_SK_EESK_T_
; %bb.0:
	s_load_dword s2, s[4:5], 0x1e4
	s_load_dword s33, s[4:5], 0x1b0
	s_add_u32 s0, s4, 0x1d8
	s_addc_u32 s1, s5, 0
	s_waitcnt lgkmcnt(0)
	s_and_b32 s18, s2, 0xffff
	s_mul_i32 s6, s6, s18
	v_add_u32_e32 v1, s6, v0
	v_lshlrev_b32_e32 v0, 2, v1
	v_cmp_gt_u32_e32 vcc, s33, v0
	s_and_saveexec_b64 s[2:3], vcc
	s_cbranch_execz .LBB103_59
; %bb.1:
	s_load_dwordx2 s[2:3], s[4:5], 0x0
	s_load_dword s54, s[4:5], 0xc
	s_load_dwordx2 s[6:7], s[4:5], 0x6c
	s_load_dwordx2 s[12:13], s[4:5], 0xd8
	s_load_dword s19, s[0:1], 0x0
	s_load_dword s20, s[4:5], 0x1d0
	;; [unrolled: 1-line block ×3, first 2 shown]
	s_load_dwordx2 s[14:15], s[4:5], 0x144
	s_load_dwordx2 s[16:17], s[4:5], 0x1c8
	s_load_dwordx4 s[8:11], s[4:5], 0x1b8
	s_waitcnt lgkmcnt(0)
	v_cvt_f32_u32_e32 v4, s54
	v_cvt_f32_u32_e32 v7, s55
	s_mov_b32 s56, 0xcd9e8d57
	v_mad_u64_u32 v[2:3], s[0:1], v1, s56, 0
	v_rcp_iflag_f32_e32 v4, v4
	v_mov_b32_e32 v6, v3
	s_bitcmp1_b32 s20, 0
	s_cselect_b64 s[4:5], -1, 0
	v_mul_f32_e32 v3, 0x4f7ffffe, v4
	v_rcp_iflag_f32_e32 v4, v7
	v_cvt_u32_f32_e32 v3, v3
	s_sub_i32 s58, 0, s54
	s_sub_i32 s59, 0, s55
	v_mul_f32_e32 v4, 0x4f7ffffe, v4
	v_cvt_u32_f32_e32 v4, v4
	v_mul_lo_u32 v7, s58, v3
	v_mul_hi_u32 v7, v3, v7
	v_add_u32_e32 v3, v3, v7
	v_mul_lo_u32 v7, s59, v4
	s_mul_i32 s19, s19, s18
	v_mul_hi_u32 v7, v4, v7
	v_mov_b32_e32 v5, 0
	s_lshl_b32 s57, s19, 2
	v_add_u32_e32 v7, v4, v7
	v_sub_u32_e32 v32, s33, v0
	s_mov_b64 s[20:21], 0
	s_mov_b32 s60, 0xd2511f53
	s_mov_b32 s61, 0xf1bbcdc8
                                        ; implicit-def: $sgpr22_sgpr23
                                        ; implicit-def: $sgpr24_sgpr25
                                        ; implicit-def: $sgpr26_sgpr27
                                        ; implicit-def: $sgpr18_sgpr19
                                        ; implicit-def: $sgpr28_sgpr29
                                        ; implicit-def: $sgpr30_sgpr31
                                        ; implicit-def: $sgpr34_sgpr35
                                        ; implicit-def: $sgpr36_sgpr37
	s_branch .LBB103_3
.LBB103_2:                              ;   in Loop: Header=BB103_3 Depth=1
	s_or_b64 exec, exec, s[38:39]
	s_and_b64 s[0:1], exec, s[0:1]
	s_or_b64 s[20:21], s[0:1], s[20:21]
	s_andn2_b64 s[0:1], s[18:19], exec
	s_and_b64 s[18:19], s[36:37], exec
	s_or_b64 s[18:19], s[0:1], s[18:19]
	s_andn2_b64 s[0:1], s[26:27], exec
	s_and_b64 s[26:27], s[34:35], exec
	s_or_b64 s[26:27], s[0:1], s[26:27]
	s_andn2_b64 s[0:1], s[24:25], exec
	s_and_b64 s[24:25], s[30:31], exec
	s_or_b64 s[24:25], s[0:1], s[24:25]
	s_andn2_b64 s[0:1], s[22:23], exec
	s_and_b64 s[22:23], s[28:29], exec
	s_or_b64 s[22:23], s[0:1], s[22:23]
	s_andn2_b64 exec, exec, s[20:21]
	s_cbranch_execz .LBB103_55
.LBB103_3:                              ; =>This Inner Loop Header: Depth=1
	v_cmp_lt_i32_e32 vcc, 0, v32
	v_mov_b32_e32 v8, 0
	s_and_saveexec_b64 s[38:39], vcc
	s_cbranch_execz .LBB103_5
; %bb.4:                                ;   in Loop: Header=BB103_3 Depth=1
	s_waitcnt vmcnt(3)
	v_mul_hi_u32 v4, v3, v0
	v_not_b32_e32 v10, v4
	s_waitcnt vmcnt(2)
	v_mad_u64_u32 v[8:9], s[0:1], s58, v4, v[0:1]
	v_add_u32_e32 v9, 1, v4
	v_cmp_le_u32_e64 s[0:1], s54, v8
	v_mad_u64_u32 v[10:11], s[40:41], s54, v10, v[0:1]
	v_cndmask_b32_e64 v4, v4, v9, s[0:1]
	v_cndmask_b32_e64 v8, v8, v10, s[0:1]
	v_add_u32_e32 v9, 1, v4
	v_cmp_le_u32_e64 s[0:1], s54, v8
	v_cndmask_b32_e64 v10, v4, v9, s[0:1]
	v_mad_u64_u32 v[8:9], s[0:1], s58, v10, v[0:1]
	v_mul_lo_u32 v4, v8, s7
	v_mad_u64_u32 v[8:9], s[0:1], v10, s6, v[4:5]
.LBB103_5:                              ;   in Loop: Header=BB103_3 Depth=1
	s_or_b64 exec, exec, s[38:39]
	s_waitcnt vmcnt(3)
	v_mov_b32_e32 v4, 0
	s_and_saveexec_b64 s[0:1], vcc
	s_cbranch_execz .LBB103_7
; %bb.6:                                ;   in Loop: Header=BB103_3 Depth=1
	v_mul_hi_u32 v4, v7, v0
	s_waitcnt vmcnt(2)
	v_not_b32_e32 v9, v4
	v_mad_u64_u32 v[10:11], s[38:39], s59, v4, v[0:1]
	v_add_u32_e32 v11, 1, v4
	v_cmp_le_u32_e32 vcc, s55, v10
	v_mad_u64_u32 v[12:13], s[38:39], s55, v9, v[0:1]
	v_cndmask_b32_e32 v4, v4, v11, vcc
	v_cndmask_b32_e32 v9, v10, v12, vcc
	v_add_u32_e32 v10, 1, v4
	v_cmp_le_u32_e32 vcc, s55, v9
	v_cndmask_b32_e32 v9, v4, v10, vcc
	v_mad_u64_u32 v[10:11], s[38:39], s59, v9, v[0:1]
	v_mul_lo_u32 v4, v10, s15
	v_mad_u64_u32 v[10:11], s[38:39], v9, s14, v[4:5]
	v_mov_b32_e32 v4, v10
.LBB103_7:                              ;   in Loop: Header=BB103_3 Depth=1
	s_or_b64 exec, exec, s[0:1]
	v_pk_mov_b32 v[14:15], 0, 0
	s_waitcnt vmcnt(2)
	v_add_u32_e32 v9, 1, v0
	v_cmp_lt_i32_e32 vcc, 1, v32
	v_pk_mov_b32 v[10:11], v[14:15], v[14:15] op_sel:[0,1]
	s_and_saveexec_b64 s[38:39], vcc
	s_cbranch_execz .LBB103_9
; %bb.8:                                ;   in Loop: Header=BB103_3 Depth=1
	v_mul_hi_u32 v10, v9, v3
	v_mul_lo_u32 v11, v10, s54
	v_sub_u32_e32 v11, v9, v11
	v_add_u32_e32 v12, 1, v10
	v_cmp_le_u32_e64 s[0:1], s54, v11
	v_cndmask_b32_e64 v10, v10, v12, s[0:1]
	v_subrev_u32_e32 v12, s54, v11
	v_cndmask_b32_e64 v11, v11, v12, s[0:1]
	v_add_u32_e32 v12, 1, v10
	v_cmp_le_u32_e64 s[0:1], s54, v11
	v_cndmask_b32_e64 v11, v10, v12, s[0:1]
	v_mul_lo_u32 v10, v11, s54
	v_sub_u32_e32 v10, v9, v10
	v_mul_lo_u32 v10, v10, s7
	v_mad_u64_u32 v[10:11], s[0:1], v11, s6, v[10:11]
	v_mov_b32_e32 v11, v5
.LBB103_9:                              ;   in Loop: Header=BB103_3 Depth=1
	s_or_b64 exec, exec, s[38:39]
	s_and_saveexec_b64 s[0:1], vcc
	s_cbranch_execz .LBB103_11
; %bb.10:                               ;   in Loop: Header=BB103_3 Depth=1
	v_mul_hi_u32 v12, v9, v7
	v_mul_lo_u32 v13, v12, s55
	v_sub_u32_e32 v13, v9, v13
	v_add_u32_e32 v14, 1, v12
	v_cmp_le_u32_e32 vcc, s55, v13
	v_cndmask_b32_e32 v12, v12, v14, vcc
	v_subrev_u32_e32 v14, s55, v13
	v_cndmask_b32_e32 v13, v13, v14, vcc
	v_add_u32_e32 v14, 1, v12
	v_cmp_le_u32_e32 vcc, s55, v13
	v_cndmask_b32_e32 v13, v12, v14, vcc
	v_mul_lo_u32 v12, v13, s55
	v_sub_u32_e32 v9, v9, v12
	v_mul_lo_u32 v12, v9, s15
	v_mad_u64_u32 v[14:15], s[38:39], v13, s14, v[12:13]
	v_mov_b32_e32 v15, v5
.LBB103_11:                             ;   in Loop: Header=BB103_3 Depth=1
	s_or_b64 exec, exec, s[0:1]
	v_pk_mov_b32 v[18:19], 0, 0
	v_add_u32_e32 v9, 2, v0
	v_cmp_lt_i32_e32 vcc, 2, v32
	v_pk_mov_b32 v[12:13], v[18:19], v[18:19] op_sel:[0,1]
	s_and_saveexec_b64 s[38:39], vcc
	s_cbranch_execz .LBB103_13
; %bb.12:                               ;   in Loop: Header=BB103_3 Depth=1
	v_mul_hi_u32 v12, v9, v3
	v_mul_lo_u32 v13, v12, s54
	v_sub_u32_e32 v13, v9, v13
	v_add_u32_e32 v16, 1, v12
	v_cmp_le_u32_e64 s[0:1], s54, v13
	v_cndmask_b32_e64 v12, v12, v16, s[0:1]
	v_subrev_u32_e32 v16, s54, v13
	v_cndmask_b32_e64 v13, v13, v16, s[0:1]
	v_add_u32_e32 v16, 1, v12
	v_cmp_le_u32_e64 s[0:1], s54, v13
	v_cndmask_b32_e64 v13, v12, v16, s[0:1]
	v_mul_lo_u32 v12, v13, s54
	v_sub_u32_e32 v12, v9, v12
	v_mul_lo_u32 v12, v12, s7
	v_mad_u64_u32 v[12:13], s[0:1], v13, s6, v[12:13]
	v_mov_b32_e32 v13, v5
.LBB103_13:                             ;   in Loop: Header=BB103_3 Depth=1
	s_or_b64 exec, exec, s[38:39]
	s_and_saveexec_b64 s[0:1], vcc
	s_cbranch_execz .LBB103_15
; %bb.14:                               ;   in Loop: Header=BB103_3 Depth=1
	v_mul_hi_u32 v16, v9, v7
	v_mul_lo_u32 v17, v16, s55
	v_sub_u32_e32 v17, v9, v17
	v_add_u32_e32 v18, 1, v16
	v_cmp_le_u32_e32 vcc, s55, v17
	v_cndmask_b32_e32 v16, v16, v18, vcc
	v_subrev_u32_e32 v18, s55, v17
	v_cndmask_b32_e32 v17, v17, v18, vcc
	v_add_u32_e32 v18, 1, v16
	v_cmp_le_u32_e32 vcc, s55, v17
	v_cndmask_b32_e32 v17, v16, v18, vcc
	v_mul_lo_u32 v16, v17, s55
	v_sub_u32_e32 v9, v9, v16
	v_mul_lo_u32 v16, v9, s15
	v_mad_u64_u32 v[18:19], s[38:39], v17, s14, v[16:17]
	v_mov_b32_e32 v19, v5
.LBB103_15:                             ;   in Loop: Header=BB103_3 Depth=1
	s_or_b64 exec, exec, s[0:1]
	v_pk_mov_b32 v[20:21], 0, 0
	v_add_u32_e32 v9, 3, v0
	v_cmp_lt_i32_e32 vcc, 3, v32
	v_pk_mov_b32 v[16:17], v[20:21], v[20:21] op_sel:[0,1]
	s_and_saveexec_b64 s[38:39], vcc
	s_cbranch_execz .LBB103_17
; %bb.16:                               ;   in Loop: Header=BB103_3 Depth=1
	v_mul_hi_u32 v16, v9, v3
	v_mul_lo_u32 v17, v16, s54
	v_sub_u32_e32 v17, v9, v17
	v_add_u32_e32 v22, 1, v16
	v_cmp_le_u32_e64 s[0:1], s54, v17
	v_cndmask_b32_e64 v16, v16, v22, s[0:1]
	v_subrev_u32_e32 v22, s54, v17
	v_cndmask_b32_e64 v17, v17, v22, s[0:1]
	v_add_u32_e32 v22, 1, v16
	v_cmp_le_u32_e64 s[0:1], s54, v17
	v_cndmask_b32_e64 v17, v16, v22, s[0:1]
	v_mul_lo_u32 v16, v17, s54
	v_sub_u32_e32 v16, v9, v16
	v_mul_lo_u32 v16, v16, s7
	v_mad_u64_u32 v[16:17], s[0:1], v17, s6, v[16:17]
	v_mov_b32_e32 v17, v5
.LBB103_17:                             ;   in Loop: Header=BB103_3 Depth=1
	s_or_b64 exec, exec, s[38:39]
	s_and_saveexec_b64 s[0:1], vcc
	s_cbranch_execz .LBB103_19
; %bb.18:                               ;   in Loop: Header=BB103_3 Depth=1
	v_mul_hi_u32 v20, v9, v7
	v_mul_lo_u32 v21, v20, s55
	v_sub_u32_e32 v21, v9, v21
	v_add_u32_e32 v22, 1, v20
	v_cmp_le_u32_e32 vcc, s55, v21
	v_cndmask_b32_e32 v20, v20, v22, vcc
	v_subrev_u32_e32 v22, s55, v21
	v_cndmask_b32_e32 v21, v21, v22, vcc
	v_add_u32_e32 v22, 1, v20
	v_cmp_le_u32_e32 vcc, s55, v21
	v_cndmask_b32_e32 v21, v20, v22, vcc
	v_mul_lo_u32 v20, v21, s55
	v_sub_u32_e32 v9, v9, v20
	v_mul_lo_u32 v20, v9, s15
	v_mad_u64_u32 v[20:21], s[38:39], v21, s14, v[20:21]
	v_mov_b32_e32 v21, v5
.LBB103_19:                             ;   in Loop: Header=BB103_3 Depth=1
	s_or_b64 exec, exec, s[0:1]
	v_lshlrev_b64 v[22:23], 2, v[4:5]
	v_mov_b32_e32 v4, s13
	v_add_co_u32_e32 v22, vcc, s12, v22
	v_addc_co_u32_e32 v23, vcc, v4, v23, vcc
	v_lshlrev_b64 v[14:15], 2, v[14:15]
	v_add_co_u32_e32 v14, vcc, s12, v14
	v_addc_co_u32_e32 v15, vcc, v4, v15, vcc
	v_lshlrev_b64 v[18:19], 2, v[18:19]
	;; [unrolled: 3-line block ×3, first 2 shown]
	v_add_co_u32_e32 v20, vcc, s12, v20
	v_addc_co_u32_e32 v21, vcc, v4, v21, vcc
	global_load_dword v4, v[22:23], off
	global_load_dword v9, v[14:15], off
	;; [unrolled: 1-line block ×4, first 2 shown]
	s_andn2_b64 vcc, exec, s[4:5]
	v_pk_mov_b32 v[14:15], s[10:11], s[10:11] op_sel:[0,1]
	v_pk_mov_b32 v[18:19], s[8:9], s[8:9] op_sel:[0,1]
	s_cbranch_vccnz .LBB103_21
; %bb.20:                               ;   in Loop: Header=BB103_3 Depth=1
	v_pk_mov_b32 v[14:15], s[10:11], s[10:11] op_sel:[0,1]
	flat_load_dwordx2 v[14:15], v[14:15]
	v_pk_mov_b32 v[18:19], s[8:9], s[8:9] op_sel:[0,1]
	flat_load_dwordx2 v[18:19], v[18:19]
	v_mov_b32_e32 v20, s17
	s_waitcnt vmcnt(0) lgkmcnt(0)
	v_add_co_u32_e32 v14, vcc, s16, v14
	v_addc_co_u32_e32 v15, vcc, v15, v20, vcc
.LBB103_21:                             ;   in Loop: Header=BB103_3 Depth=1
	v_alignbit_b32 v28, v15, v14, 2
	v_lshrrev_b32_e32 v29, 2, v15
	v_xor_b32_e32 v20, v6, v18
	v_and_b32_e32 v35, 3, v14
	v_mad_u64_u32 v[14:15], s[0:1], v28, s60, 0
	v_xor_b32_e32 v20, v20, v29
	v_xor_b32_e32 v15, v15, v19
	v_add_u32_e32 v40, 0xbb67ae85, v19
	v_mad_u64_u32 v[20:21], s[0:1], v20, s60, 0
	v_mad_u64_u32 v[22:23], s[0:1], v15, s56, 0
	v_xor_b32_e32 v21, v40, v21
	v_add_u32_e32 v39, 0x9e3779b9, v18
	v_xor_b32_e32 v15, v2, v23
	v_xor_b32_e32 v21, v21, v14
	v_xor_b32_e32 v15, v15, v39
	v_add_u32_e32 v41, 0x3c6ef372, v18
	v_mad_u64_u32 v[24:25], s[0:1], v21, s56, 0
	v_add_u32_e32 v42, 0x76cf5d0a, v19
	v_mad_u64_u32 v[14:15], s[0:1], v15, s60, 0
	v_xor_b32_e32 v21, v41, v25
	v_xor_b32_e32 v21, v21, v22
	v_xor_b32_e32 v15, v42, v15
	v_xor_b32_e32 v15, v15, v20
	v_add_u32_e32 v44, 0x32370b8f, v19
	v_mad_u64_u32 v[20:21], s[0:1], v21, s60, 0
	v_add_u32_e32 v43, 0xdaa66d2b, v18
	v_mad_u64_u32 v[22:23], s[0:1], v15, s56, 0
	v_xor_b32_e32 v21, v44, v21
	;; [unrolled: 8-line block ×5, first 2 shown]
	v_xor_b32_e32 v21, v21, v22
	v_xor_b32_e32 v15, v50, v15
	;; [unrolled: 1-line block ×3, first 2 shown]
	v_add_u32_e32 v52, 0x1fd5c5a3, v19
	v_mad_u64_u32 v[20:21], s[0:1], v21, s60, 0
	v_xor_b32_e32 v21, v52, v21
	v_xor_b32_e32 v14, v21, v14
	v_add_u32_e32 v51, 0x5384540f, v18
	v_mad_u64_u32 v[26:27], s[0:1], v15, s56, 0
	v_add_co_u32_e32 v37, vcc, s61, v18
	v_mad_u64_u32 v[22:23], s[0:1], v14, s56, 0
	v_xor_b32_e32 v15, v51, v27
	v_xor_b32_e32 v14, v37, v23
	;; [unrolled: 1-line block ×4, first 2 shown]
	v_mad_u64_u32 v[24:25], s[0:1], v15, s60, 0
	v_mad_u64_u32 v[14:15], s[0:1], v14, s60, 0
	v_add_u32_e32 v38, 0x96a522ad, v19
	v_xor_b32_e32 v15, v15, v24
	v_xor_b32_e32 v36, v38, v15
	v_add_co_u32_e32 v15, vcc, 1, v28
	v_cndmask_b32_e64 v24, 0, 1, vcc
	v_addc_co_u32_e32 v30, vcc, 0, v29, vcc
	v_cmp_eq_u32_e32 vcc, 0, v30
	v_cndmask_b32_e32 v24, 0, v24, vcc
	v_add_u32_e32 v28, v24, v1
	v_cmp_eq_u32_e32 vcc, 0, v28
	v_mad_u64_u32 v[26:27], s[0:1], v15, s60, 0
	v_mad_u64_u32 v[28:29], s[0:1], v28, s56, 0
	v_add_u32_e32 v23, 0x8ff34781, v18
	v_cndmask_b32_e32 v24, 0, v24, vcc
	v_xor_b32_e32 v15, v29, v18
	v_xor_b32_e32 v18, v27, v19
	;; [unrolled: 1-line block ×4, first 2 shown]
	v_mad_u64_u32 v[30:31], s[0:1], v24, s56, 0
	v_add_u32_e32 v21, 0xdb3d7428, v19
	v_mad_u64_u32 v[18:19], s[0:1], v15, s60, 0
	v_xor_b32_e32 v15, v39, v31
	v_xor_b32_e32 v15, v15, v28
	v_xor_b32_e32 v19, v40, v19
	v_xor_b32_e32 v19, v19, v26
	v_mad_u64_u32 v[26:27], s[0:1], v15, s60, 0
	v_mad_u64_u32 v[28:29], s[0:1], v19, s56, 0
	v_xor_b32_e32 v19, v42, v27
	v_xor_b32_e32 v15, v41, v29
	v_xor_b32_e32 v24, v19, v18
	v_xor_b32_e32 v15, v15, v30
	v_mad_u64_u32 v[30:31], s[0:1], v24, s56, 0
	v_mad_u64_u32 v[18:19], s[0:1], v15, s60, 0
	v_xor_b32_e32 v15, v43, v31
	v_xor_b32_e32 v15, v15, v28
	v_xor_b32_e32 v19, v44, v19
	v_xor_b32_e32 v19, v19, v26
	v_mad_u64_u32 v[26:27], s[0:1], v15, s60, 0
	v_mad_u64_u32 v[28:29], s[0:1], v19, s56, 0
	v_xor_b32_e32 v19, v46, v27
	v_xor_b32_e32 v15, v45, v29
	v_xor_b32_e32 v24, v19, v18
	v_xor_b32_e32 v15, v15, v30
	v_mad_u64_u32 v[30:31], s[0:1], v24, s56, 0
	v_mad_u64_u32 v[18:19], s[0:1], v15, s60, 0
	v_xor_b32_e32 v15, v47, v31
	v_xor_b32_e32 v15, v15, v28
	v_xor_b32_e32 v19, v48, v19
	v_xor_b32_e32 v19, v19, v26
	v_mad_u64_u32 v[28:29], s[0:1], v15, s60, 0
	v_mad_u64_u32 v[40:41], s[0:1], v19, s56, 0
	v_xor_b32_e32 v19, v50, v29
	v_xor_b32_e32 v15, v49, v41
	v_xor_b32_e32 v24, v19, v18
	v_xor_b32_e32 v15, v15, v30
	v_mad_u64_u32 v[26:27], s[0:1], v24, s56, 0
	v_mad_u64_u32 v[18:19], s[0:1], v15, s60, 0
	v_xor_b32_e32 v15, v51, v27
	v_xor_b32_e32 v15, v15, v40
	v_xor_b32_e32 v19, v52, v19
	v_xor_b32_e32 v19, v19, v28
	v_mad_u64_u32 v[28:29], s[0:1], v15, s60, 0
	v_xor_b32_e32 v15, v21, v29
	v_xor_b32_e32 v15, v15, v18
	v_mad_u64_u32 v[30:31], s[0:1], v19, s56, 0
	v_mad_u64_u32 v[18:19], s[0:1], v15, s56, 0
	v_xor_b32_e32 v15, v19, v30
	v_xor_b32_e32 v15, v23, v15
	v_cmp_lt_i32_e32 vcc, 1, v35
                                        ; implicit-def: $vgpr27
	s_and_saveexec_b64 s[0:1], vcc
	s_xor_b64 s[0:1], exec, s[0:1]
	s_cbranch_execz .LBB103_27
; %bb.22:                               ;   in Loop: Header=BB103_3 Depth=1
	v_cmp_lt_i32_e32 vcc, 2, v35
                                        ; implicit-def: $vgpr27
	s_and_saveexec_b64 s[38:39], vcc
	s_xor_b64 s[38:39], exec, s[38:39]
; %bb.23:                               ;   in Loop: Header=BB103_3 Depth=1
	v_xor_b32_e32 v19, v37, v31
	v_xor_b32_e32 v19, v19, v26
	v_mul_hi_u32 v19, v19, s60
	v_xor_b32_e32 v19, v19, v28
	v_xor_b32_e32 v27, v38, v19
                                        ; implicit-def: $vgpr36
; %bb.24:                               ;   in Loop: Header=BB103_3 Depth=1
	s_andn2_saveexec_b64 s[38:39], s[38:39]
; %bb.25:                               ;   in Loop: Header=BB103_3 Depth=1
	v_mov_b32_e32 v27, v18
	v_mov_b32_e32 v18, v15
	;; [unrolled: 1-line block ×4, first 2 shown]
; %bb.26:                               ;   in Loop: Header=BB103_3 Depth=1
	s_or_b64 exec, exec, s[38:39]
                                        ; implicit-def: $vgpr20_vgpr21
                                        ; implicit-def: $vgpr22_vgpr23
                                        ; implicit-def: $vgpr35
                                        ; implicit-def: $vgpr36
                                        ; implicit-def: $vgpr24_vgpr25
                                        ; implicit-def: $vgpr21
                                        ; implicit-def: $vgpr23
.LBB103_27:                             ;   in Loop: Header=BB103_3 Depth=1
	s_andn2_saveexec_b64 s[0:1], s[0:1]
	s_cbranch_execz .LBB103_31
; %bb.28:                               ;   in Loop: Header=BB103_3 Depth=1
	v_xor_b32_e32 v18, v21, v25
	v_xor_b32_e32 v18, v18, v20
	v_mad_u64_u32 v[20:21], s[38:39], v18, s56, 0
	v_xor_b32_e32 v18, v21, v22
	v_xor_b32_e32 v19, v23, v18
	v_cmp_eq_u32_e32 vcc, 1, v35
	v_mov_b32_e32 v27, v14
	v_mov_b32_e32 v18, v36
	;; [unrolled: 1-line block ×3, first 2 shown]
	s_and_saveexec_b64 s[38:39], vcc
; %bb.29:                               ;   in Loop: Header=BB103_3 Depth=1
	v_mov_b32_e32 v27, v15
	v_mov_b32_e32 v18, v14
	;; [unrolled: 1-line block ×4, first 2 shown]
; %bb.30:                               ;   in Loop: Header=BB103_3 Depth=1
	s_or_b64 exec, exec, s[38:39]
	v_mov_b32_e32 v14, v19
	v_mov_b32_e32 v15, v21
.LBB103_31:                             ;   in Loop: Header=BB103_3 Depth=1
	s_or_b64 exec, exec, s[0:1]
	v_min_i32_e32 v19, 4, v32
	v_cmp_lt_i32_e32 vcc, 2, v19
	s_mov_b64 s[38:39], 0
	s_mov_b64 s[50:51], 0
                                        ; implicit-def: $sgpr40_sgpr41
                                        ; implicit-def: $sgpr42_sgpr43
                                        ; implicit-def: $sgpr44_sgpr45
	s_and_saveexec_b64 s[0:1], vcc
	s_xor_b64 s[46:47], exec, s[0:1]
	s_cbranch_execz .LBB103_41
; %bb.32:                               ;   in Loop: Header=BB103_3 Depth=1
	v_cmp_lt_i32_e32 vcc, 3, v19
	s_mov_b64 s[44:45], -1
                                        ; implicit-def: $sgpr40_sgpr41
                                        ; implicit-def: $sgpr48_sgpr49
	s_and_saveexec_b64 s[42:43], vcc
	s_cbranch_execz .LBB103_36
; %bb.33:                               ;   in Loop: Header=BB103_3 Depth=1
	s_waitcnt vmcnt(0)
	v_cmp_le_f32_e32 vcc, 0, v34
	v_cmp_ge_f32_e64 s[0:1], 1.0, v34
	s_and_b64 s[48:49], vcc, s[0:1]
	s_mov_b64 s[40:41], 0
	s_mov_b64 s[0:1], 0
	s_and_saveexec_b64 s[44:45], s[48:49]
	s_cbranch_execz .LBB103_35
; %bb.34:                               ;   in Loop: Header=BB103_3 Depth=1
	v_cvt_f32_u32_e32 v20, v27
	v_mov_b32_e32 v21, 0x2f800000
	v_lshlrev_b64 v[16:17], 1, v[16:17]
	v_add_co_u32_e32 v16, vcc, s2, v16
	v_fmac_f32_e32 v21, 0x2f800000, v20
	v_mov_b32_e32 v20, s3
	v_addc_co_u32_e32 v17, vcc, v20, v17, vcc
	v_cmp_le_f32_e32 vcc, v21, v34
	s_mov_b64 s[0:1], exec
	v_cndmask_b32_e64 v20, 0, 1.0, vcc
	global_store_short_d16_hi v[16:17], v20, off
.LBB103_35:                             ;   in Loop: Header=BB103_3 Depth=1
	s_or_b64 exec, exec, s[44:45]
	s_mov_b64 s[48:49], -1
	s_orn2_b64 s[44:45], s[0:1], exec
.LBB103_36:                             ;   in Loop: Header=BB103_3 Depth=1
	s_or_b64 exec, exec, s[42:43]
	s_mov_b64 s[0:1], 0
	s_mov_b64 s[50:51], s[40:41]
	s_and_saveexec_b64 s[42:43], s[44:45]
	s_cbranch_execz .LBB103_40
; %bb.37:                               ;   in Loop: Header=BB103_3 Depth=1
	s_waitcnt vmcnt(1)
	v_cmp_le_f32_e32 vcc, 0, v33
	v_cmp_ge_f32_e64 s[0:1], 1.0, v33
	s_and_b64 s[44:45], vcc, s[0:1]
	s_mov_b64 s[0:1], 0
	s_and_saveexec_b64 s[50:51], s[44:45]
	s_xor_b64 s[44:45], exec, s[50:51]
	s_cbranch_execz .LBB103_39
; %bb.38:                               ;   in Loop: Header=BB103_3 Depth=1
	v_cvt_f32_u32_e32 v16, v18
	v_mov_b32_e32 v17, 0x2f800000
	v_lshlrev_b64 v[12:13], 1, v[12:13]
	v_add_co_u32_e32 v12, vcc, s2, v12
	v_fmac_f32_e32 v17, 0x2f800000, v16
	v_mov_b32_e32 v16, s3
	v_addc_co_u32_e32 v13, vcc, v16, v13, vcc
	v_cmp_le_f32_e32 vcc, v17, v33
	v_cndmask_b32_e64 v16, 0, 1.0, vcc
	s_mov_b64 s[0:1], exec
	global_store_short_d16_hi v[12:13], v16, off
.LBB103_39:                             ;   in Loop: Header=BB103_3 Depth=1
	s_or_b64 exec, exec, s[44:45]
	s_andn2_b64 s[50:51], s[40:41], exec
	s_or_b64 s[40:41], s[40:41], exec
	s_andn2_b64 s[48:49], s[48:49], exec
	s_and_b64 s[0:1], s[0:1], exec
.LBB103_40:                             ;   in Loop: Header=BB103_3 Depth=1
	s_or_b64 exec, exec, s[42:43]
	s_and_b64 s[44:45], s[50:51], exec
	s_and_b64 s[42:43], s[40:41], exec
	;; [unrolled: 1-line block ×4, first 2 shown]
.LBB103_41:                             ;   in Loop: Header=BB103_3 Depth=1
	s_andn2_saveexec_b64 s[0:1], s[46:47]
; %bb.42:                               ;   in Loop: Header=BB103_3 Depth=1
	v_cmp_lt_i32_e32 vcc, 1, v19
	s_andn2_b64 s[46:47], s[50:51], exec
	s_and_b64 s[48:49], vcc, exec
	s_mov_b64 s[38:39], exec
	s_andn2_b64 s[44:45], s[44:45], exec
	s_andn2_b64 s[42:43], s[42:43], exec
	;; [unrolled: 1-line block ×3, first 2 shown]
	s_or_b64 s[50:51], s[46:47], s[48:49]
; %bb.43:                               ;   in Loop: Header=BB103_3 Depth=1
	s_or_b64 exec, exec, s[0:1]
	s_mov_b64 s[46:47], 0
	s_mov_b64 s[0:1], 0
	;; [unrolled: 1-line block ×3, first 2 shown]
	s_and_saveexec_b64 s[52:53], s[50:51]
	s_cbranch_execnz .LBB103_46
; %bb.44:                               ;   in Loop: Header=BB103_3 Depth=1
	s_or_b64 exec, exec, s[52:53]
	s_and_saveexec_b64 s[50:51], s[38:39]
	s_cbranch_execnz .LBB103_49
.LBB103_45:                             ;   in Loop: Header=BB103_3 Depth=1
	s_or_b64 exec, exec, s[50:51]
	s_and_saveexec_b64 s[38:39], s[0:1]
	s_cbranch_execnz .LBB103_50
	s_branch .LBB103_53
.LBB103_46:                             ;   in Loop: Header=BB103_3 Depth=1
	s_waitcnt vmcnt(2)
	v_cmp_le_f32_e32 vcc, 0, v9
	v_cmp_ge_f32_e64 s[0:1], 1.0, v9
	s_and_b64 s[48:49], vcc, s[0:1]
	s_mov_b64 s[0:1], 0
	s_and_saveexec_b64 s[50:51], s[48:49]
	s_xor_b64 s[48:49], exec, s[50:51]
	s_cbranch_execz .LBB103_48
; %bb.47:                               ;   in Loop: Header=BB103_3 Depth=1
	v_cvt_f32_u32_e32 v12, v15
	v_mov_b32_e32 v13, 0x2f800000
	v_lshlrev_b64 v[10:11], 1, v[10:11]
	v_add_co_u32_e32 v10, vcc, s2, v10
	v_fmac_f32_e32 v13, 0x2f800000, v12
	v_mov_b32_e32 v12, s3
	v_addc_co_u32_e32 v11, vcc, v12, v11, vcc
	v_cmp_le_f32_e32 vcc, v13, v9
	v_cndmask_b32_e64 v9, 0, 1.0, vcc
	s_mov_b64 s[0:1], exec
	global_store_short_d16_hi v[10:11], v9, off
.LBB103_48:                             ;   in Loop: Header=BB103_3 Depth=1
	s_or_b64 exec, exec, s[48:49]
	s_andn2_b64 s[48:49], s[44:45], exec
	s_or_b64 s[44:45], s[44:45], exec
	s_andn2_b64 s[42:43], s[42:43], exec
	s_andn2_b64 s[40:41], s[40:41], exec
	s_and_b64 s[0:1], s[0:1], exec
	s_andn2_b64 s[38:39], s[38:39], exec
	s_or_b64 exec, exec, s[52:53]
	s_and_saveexec_b64 s[50:51], s[38:39]
	s_cbranch_execz .LBB103_45
.LBB103_49:                             ;   in Loop: Header=BB103_3 Depth=1
	v_cmp_eq_u32_e32 vcc, 1, v19
	s_andn2_b64 s[0:1], s[0:1], exec
	s_and_b64 s[38:39], vcc, exec
	s_mov_b64 s[46:47], exec
	s_andn2_b64 s[48:49], s[48:49], exec
	s_andn2_b64 s[44:45], s[44:45], exec
	;; [unrolled: 1-line block ×4, first 2 shown]
	s_or_b64 s[0:1], s[0:1], s[38:39]
	s_or_b64 exec, exec, s[50:51]
	s_and_saveexec_b64 s[38:39], s[0:1]
	s_cbranch_execz .LBB103_53
.LBB103_50:                             ;   in Loop: Header=BB103_3 Depth=1
	s_waitcnt vmcnt(3)
	v_cmp_le_f32_e32 vcc, 0, v4
	v_cmp_ge_f32_e64 s[0:1], 1.0, v4
	s_and_b64 s[52:53], vcc, s[0:1]
	s_mov_b64 s[0:1], 0
	s_and_saveexec_b64 s[50:51], s[52:53]
	s_cbranch_execz .LBB103_52
; %bb.51:                               ;   in Loop: Header=BB103_3 Depth=1
	v_cvt_f32_u32_e32 v10, v14
	s_waitcnt vmcnt(2)
	v_mov_b32_e32 v9, v5
	v_mov_b32_e32 v11, 0x2f800000
	v_lshlrev_b64 v[8:9], 1, v[8:9]
	v_fmac_f32_e32 v11, 0x2f800000, v10
	v_mov_b32_e32 v10, s3
	v_add_co_u32_e32 v8, vcc, s2, v8
	v_addc_co_u32_e32 v9, vcc, v10, v9, vcc
	v_cmp_le_f32_e32 vcc, v11, v4
	s_mov_b64 s[0:1], exec
	v_cndmask_b32_e64 v4, 0, 1.0, vcc
	global_store_short_d16_hi v[8:9], v4, off
.LBB103_52:                             ;   in Loop: Header=BB103_3 Depth=1
	s_or_b64 exec, exec, s[50:51]
	s_andn2_b64 s[46:47], s[46:47], exec
	s_and_b64 s[0:1], s[0:1], exec
	s_or_b64 s[48:49], s[48:49], exec
	s_andn2_b64 s[44:45], s[44:45], exec
	s_andn2_b64 s[42:43], s[42:43], exec
	;; [unrolled: 1-line block ×3, first 2 shown]
	s_or_b64 s[46:47], s[46:47], s[0:1]
.LBB103_53:                             ;   in Loop: Header=BB103_3 Depth=1
	s_or_b64 exec, exec, s[38:39]
	s_andn2_b64 s[36:37], s[36:37], exec
	s_and_b64 s[38:39], s[48:49], exec
	s_or_b64 s[36:37], s[36:37], s[38:39]
	s_andn2_b64 s[34:35], s[34:35], exec
	s_and_b64 s[38:39], s[44:45], exec
	s_or_b64 s[34:35], s[34:35], s[38:39]
	;; [unrolled: 3-line block ×3, first 2 shown]
	s_andn2_b64 s[28:29], s[28:29], exec
	s_and_b64 s[38:39], s[40:41], exec
	s_mov_b64 s[0:1], -1
	s_or_b64 s[28:29], s[28:29], s[38:39]
	s_and_saveexec_b64 s[38:39], s[46:47]
	s_cbranch_execz .LBB103_2
; %bb.54:                               ;   in Loop: Header=BB103_3 Depth=1
	v_add_u32_e32 v0, s57, v0
	v_cmp_le_u32_e32 vcc, s33, v0
	v_subrev_u32_e32 v32, s57, v32
	s_andn2_b64 s[36:37], s[36:37], exec
	s_andn2_b64 s[34:35], s[34:35], exec
	;; [unrolled: 1-line block ×4, first 2 shown]
	s_orn2_b64 s[0:1], vcc, exec
	s_branch .LBB103_2
.LBB103_55:
	s_or_b64 exec, exec, s[20:21]
	s_xor_b64 s[6:7], s[26:27], -1
	s_xor_b64 s[8:9], s[24:25], -1
	;; [unrolled: 1-line block ×3, first 2 shown]
	s_mov_b64 s[2:3], 0
	s_and_saveexec_b64 s[4:5], s[0:1]
	s_xor_b64 s[0:1], exec, s[4:5]
	s_cbranch_execnz .LBB103_60
; %bb.56:
	s_andn2_saveexec_b64 s[0:1], s[0:1]
	s_cbranch_execnz .LBB103_68
.LBB103_57:
	s_or_b64 exec, exec, s[0:1]
	s_and_b64 exec, exec, s[2:3]
.LBB103_58:
	; divergent unreachable
.LBB103_59:
	s_endpgm
.LBB103_60:
	s_mov_b64 s[4:5], 0
	s_and_saveexec_b64 s[2:3], s[8:9]
	s_xor_b64 s[2:3], exec, s[2:3]
	s_cbranch_execz .LBB103_66
; %bb.61:
	s_and_saveexec_b64 s[8:9], s[6:7]
	s_xor_b64 s[6:7], exec, s[8:9]
	s_cbranch_execz .LBB103_64
; %bb.62:
	s_and_saveexec_b64 s[8:9], s[18:19]
	s_xor_b64 s[8:9], exec, s[8:9]
	s_cbranch_execnz .LBB103_71
.LBB103_63:
	s_or_b64 exec, exec, s[8:9]
	s_and_b64 s[4:5], s[4:5], exec
.LBB103_64:
	s_andn2_saveexec_b64 s[6:7], s[6:7]
	s_cbranch_execnz .LBB103_70
.LBB103_65:
	s_or_b64 exec, exec, s[6:7]
	s_and_b64 s[4:5], s[4:5], exec
.LBB103_66:
	s_andn2_saveexec_b64 s[2:3], s[2:3]
	s_cbranch_execnz .LBB103_69
.LBB103_67:
	s_or_b64 exec, exec, s[2:3]
	s_and_b64 s[2:3], s[4:5], exec
	s_andn2_saveexec_b64 s[0:1], s[0:1]
	s_cbranch_execz .LBB103_57
.LBB103_68:
	s_or_b64 s[2:3], s[2:3], exec
	s_trap 2
	s_or_b64 exec, exec, s[0:1]
	s_and_b64 exec, exec, s[2:3]
	s_cbranch_execnz .LBB103_58
	s_branch .LBB103_59
.LBB103_69:
	s_or_b64 s[4:5], s[4:5], exec
	s_trap 2
	s_branch .LBB103_67
.LBB103_70:
	s_trap 2
	s_or_b64 s[4:5], s[4:5], exec
	s_branch .LBB103_65
.LBB103_71:
	s_mov_b64 s[4:5], exec
	s_trap 2
	s_branch .LBB103_63
	.section	.rodata,"a",@progbits
	.p2align	6, 0x0
	.amdhsa_kernel _ZN2at4cuda12_GLOBAL__N_121kernelPointwiseApply2IZNS_6native9templates4cuda28bernoulli_tensor_cuda_kernelIN3c108BFloat16EfEEvRKNS_10TensorBaseESB_NS_15PhiloxCudaStateEEUliRS8_SD_SD_SD_RKfSF_SF_SF_E_S8_SE_jLi2ELi2ELi4ELi512ELi2EEEvNS0_6detail10TensorInfoIT0_T2_EENSI_IT1_SK_EESK_T_
		.amdhsa_group_segment_fixed_size 0
		.amdhsa_private_segment_fixed_size 0
		.amdhsa_kernarg_size 728
		.amdhsa_user_sgpr_count 6
		.amdhsa_user_sgpr_private_segment_buffer 1
		.amdhsa_user_sgpr_dispatch_ptr 0
		.amdhsa_user_sgpr_queue_ptr 0
		.amdhsa_user_sgpr_kernarg_segment_ptr 1
		.amdhsa_user_sgpr_dispatch_id 0
		.amdhsa_user_sgpr_flat_scratch_init 0
		.amdhsa_user_sgpr_kernarg_preload_length 0
		.amdhsa_user_sgpr_kernarg_preload_offset 0
		.amdhsa_user_sgpr_private_segment_size 0
		.amdhsa_uses_dynamic_stack 0
		.amdhsa_system_sgpr_private_segment_wavefront_offset 0
		.amdhsa_system_sgpr_workgroup_id_x 1
		.amdhsa_system_sgpr_workgroup_id_y 0
		.amdhsa_system_sgpr_workgroup_id_z 0
		.amdhsa_system_sgpr_workgroup_info 0
		.amdhsa_system_vgpr_workitem_id 0
		.amdhsa_next_free_vgpr 53
		.amdhsa_next_free_sgpr 62
		.amdhsa_accum_offset 56
		.amdhsa_reserve_vcc 1
		.amdhsa_reserve_flat_scratch 0
		.amdhsa_float_round_mode_32 0
		.amdhsa_float_round_mode_16_64 0
		.amdhsa_float_denorm_mode_32 3
		.amdhsa_float_denorm_mode_16_64 3
		.amdhsa_dx10_clamp 1
		.amdhsa_ieee_mode 1
		.amdhsa_fp16_overflow 0
		.amdhsa_tg_split 0
		.amdhsa_exception_fp_ieee_invalid_op 0
		.amdhsa_exception_fp_denorm_src 0
		.amdhsa_exception_fp_ieee_div_zero 0
		.amdhsa_exception_fp_ieee_overflow 0
		.amdhsa_exception_fp_ieee_underflow 0
		.amdhsa_exception_fp_ieee_inexact 0
		.amdhsa_exception_int_div_zero 0
	.end_amdhsa_kernel
	.section	.text._ZN2at4cuda12_GLOBAL__N_121kernelPointwiseApply2IZNS_6native9templates4cuda28bernoulli_tensor_cuda_kernelIN3c108BFloat16EfEEvRKNS_10TensorBaseESB_NS_15PhiloxCudaStateEEUliRS8_SD_SD_SD_RKfSF_SF_SF_E_S8_SE_jLi2ELi2ELi4ELi512ELi2EEEvNS0_6detail10TensorInfoIT0_T2_EENSI_IT1_SK_EESK_T_,"axG",@progbits,_ZN2at4cuda12_GLOBAL__N_121kernelPointwiseApply2IZNS_6native9templates4cuda28bernoulli_tensor_cuda_kernelIN3c108BFloat16EfEEvRKNS_10TensorBaseESB_NS_15PhiloxCudaStateEEUliRS8_SD_SD_SD_RKfSF_SF_SF_E_S8_SE_jLi2ELi2ELi4ELi512ELi2EEEvNS0_6detail10TensorInfoIT0_T2_EENSI_IT1_SK_EESK_T_,comdat
.Lfunc_end103:
	.size	_ZN2at4cuda12_GLOBAL__N_121kernelPointwiseApply2IZNS_6native9templates4cuda28bernoulli_tensor_cuda_kernelIN3c108BFloat16EfEEvRKNS_10TensorBaseESB_NS_15PhiloxCudaStateEEUliRS8_SD_SD_SD_RKfSF_SF_SF_E_S8_SE_jLi2ELi2ELi4ELi512ELi2EEEvNS0_6detail10TensorInfoIT0_T2_EENSI_IT1_SK_EESK_T_, .Lfunc_end103-_ZN2at4cuda12_GLOBAL__N_121kernelPointwiseApply2IZNS_6native9templates4cuda28bernoulli_tensor_cuda_kernelIN3c108BFloat16EfEEvRKNS_10TensorBaseESB_NS_15PhiloxCudaStateEEUliRS8_SD_SD_SD_RKfSF_SF_SF_E_S8_SE_jLi2ELi2ELi4ELi512ELi2EEEvNS0_6detail10TensorInfoIT0_T2_EENSI_IT1_SK_EESK_T_
                                        ; -- End function
	.section	.AMDGPU.csdata,"",@progbits
; Kernel info:
; codeLenInByte = 3452
; NumSgprs: 66
; NumVgprs: 53
; NumAgprs: 0
; TotalNumVgprs: 53
; ScratchSize: 0
; MemoryBound: 0
; FloatMode: 240
; IeeeMode: 1
; LDSByteSize: 0 bytes/workgroup (compile time only)
; SGPRBlocks: 8
; VGPRBlocks: 6
; NumSGPRsForWavesPerEU: 66
; NumVGPRsForWavesPerEU: 53
; AccumOffset: 56
; Occupancy: 8
; WaveLimiterHint : 1
; COMPUTE_PGM_RSRC2:SCRATCH_EN: 0
; COMPUTE_PGM_RSRC2:USER_SGPR: 6
; COMPUTE_PGM_RSRC2:TRAP_HANDLER: 0
; COMPUTE_PGM_RSRC2:TGID_X_EN: 1
; COMPUTE_PGM_RSRC2:TGID_Y_EN: 0
; COMPUTE_PGM_RSRC2:TGID_Z_EN: 0
; COMPUTE_PGM_RSRC2:TIDIG_COMP_CNT: 0
; COMPUTE_PGM_RSRC3_GFX90A:ACCUM_OFFSET: 13
; COMPUTE_PGM_RSRC3_GFX90A:TG_SPLIT: 0
	.section	.text._ZN2at4cuda12_GLOBAL__N_121kernelPointwiseApply2IZNS_6native9templates4cuda28bernoulli_tensor_cuda_kernelIN3c108BFloat16EfEEvRKNS_10TensorBaseESB_NS_15PhiloxCudaStateEEUliRS8_SD_SD_SD_RKfSF_SF_SF_E_S8_SE_jLi2ELin1ELi4ELi512ELi2EEEvNS0_6detail10TensorInfoIT0_T2_EENSI_IT1_SK_EESK_T_,"axG",@progbits,_ZN2at4cuda12_GLOBAL__N_121kernelPointwiseApply2IZNS_6native9templates4cuda28bernoulli_tensor_cuda_kernelIN3c108BFloat16EfEEvRKNS_10TensorBaseESB_NS_15PhiloxCudaStateEEUliRS8_SD_SD_SD_RKfSF_SF_SF_E_S8_SE_jLi2ELin1ELi4ELi512ELi2EEEvNS0_6detail10TensorInfoIT0_T2_EENSI_IT1_SK_EESK_T_,comdat
	.globl	_ZN2at4cuda12_GLOBAL__N_121kernelPointwiseApply2IZNS_6native9templates4cuda28bernoulli_tensor_cuda_kernelIN3c108BFloat16EfEEvRKNS_10TensorBaseESB_NS_15PhiloxCudaStateEEUliRS8_SD_SD_SD_RKfSF_SF_SF_E_S8_SE_jLi2ELin1ELi4ELi512ELi2EEEvNS0_6detail10TensorInfoIT0_T2_EENSI_IT1_SK_EESK_T_ ; -- Begin function _ZN2at4cuda12_GLOBAL__N_121kernelPointwiseApply2IZNS_6native9templates4cuda28bernoulli_tensor_cuda_kernelIN3c108BFloat16EfEEvRKNS_10TensorBaseESB_NS_15PhiloxCudaStateEEUliRS8_SD_SD_SD_RKfSF_SF_SF_E_S8_SE_jLi2ELin1ELi4ELi512ELi2EEEvNS0_6detail10TensorInfoIT0_T2_EENSI_IT1_SK_EESK_T_
	.p2align	8
	.type	_ZN2at4cuda12_GLOBAL__N_121kernelPointwiseApply2IZNS_6native9templates4cuda28bernoulli_tensor_cuda_kernelIN3c108BFloat16EfEEvRKNS_10TensorBaseESB_NS_15PhiloxCudaStateEEUliRS8_SD_SD_SD_RKfSF_SF_SF_E_S8_SE_jLi2ELin1ELi4ELi512ELi2EEEvNS0_6detail10TensorInfoIT0_T2_EENSI_IT1_SK_EESK_T_,@function
_ZN2at4cuda12_GLOBAL__N_121kernelPointwiseApply2IZNS_6native9templates4cuda28bernoulli_tensor_cuda_kernelIN3c108BFloat16EfEEvRKNS_10TensorBaseESB_NS_15PhiloxCudaStateEEUliRS8_SD_SD_SD_RKfSF_SF_SF_E_S8_SE_jLi2ELin1ELi4ELi512ELi2EEEvNS0_6detail10TensorInfoIT0_T2_EENSI_IT1_SK_EESK_T_: ; @_ZN2at4cuda12_GLOBAL__N_121kernelPointwiseApply2IZNS_6native9templates4cuda28bernoulli_tensor_cuda_kernelIN3c108BFloat16EfEEvRKNS_10TensorBaseESB_NS_15PhiloxCudaStateEEUliRS8_SD_SD_SD_RKfSF_SF_SF_E_S8_SE_jLi2ELin1ELi4ELi512ELi2EEEvNS0_6detail10TensorInfoIT0_T2_EENSI_IT1_SK_EESK_T_
; %bb.0:
	s_load_dword s2, s[4:5], 0x1e4
	s_load_dword s33, s[4:5], 0x1b0
	s_add_u32 s0, s4, 0x1d8
	s_addc_u32 s1, s5, 0
	s_waitcnt lgkmcnt(0)
	s_and_b32 s2, s2, 0xffff
	s_mul_i32 s6, s6, s2
	v_add_u32_e32 v5, s6, v0
	v_lshlrev_b32_e32 v30, 2, v5
	v_cmp_gt_u32_e32 vcc, s33, v30
	s_and_saveexec_b64 s[6:7], vcc
	s_cbranch_execz .LBB104_73
; %bb.1:
	s_load_dword s3, s[0:1], 0x0
	s_load_dwordx2 s[6:7], s[4:5], 0x1c8
	s_load_dwordx4 s[8:11], s[4:5], 0x1b8
	s_load_dword s20, s[4:5], 0x1a8
	s_load_dwordx2 s[12:13], s[4:5], 0x0
	s_load_dword s54, s[4:5], 0xc
	s_waitcnt lgkmcnt(0)
	s_mul_i32 s21, s3, s2
	s_load_dword s2, s[4:5], 0x1d0
	s_load_dword s55, s[4:5], 0x144
	s_add_u32 s18, s4, 0xd8
	s_addc_u32 s19, s5, 0
	v_cvt_f32_u32_e32 v0, s54
	s_cmp_gt_i32 s20, 1
	s_mov_b32 s56, 0xcd9e8d57
	s_cselect_b64 s[0:1], -1, 0
	v_rcp_iflag_f32_e32 v2, v0
	s_waitcnt lgkmcnt(0)
	s_bitcmp1_b32 s2, 0
	v_mad_u64_u32 v[0:1], s[2:3], v5, s56, 0
	v_mul_f32_e32 v2, 0x4f7ffffe, v2
	v_cvt_u32_f32_e32 v2, v2
	s_load_dwordx2 s[14:15], s[4:5], 0x6c
	s_load_dwordx2 s[16:17], s[4:5], 0xd8
	s_cselect_b64 s[4:5], -1, 0
	s_sub_i32 s2, 0, s54
	s_mov_b32 s3, 0
	v_mov_b32_e32 v4, v1
	v_mul_lo_u32 v1, s2, v2
	s_add_i32 s2, s20, -1
	s_lshl_b32 s57, s21, 2
	s_add_i32 s58, s20, 1
	s_lshl_b64 s[2:3], s[2:3], 2
	s_add_u32 s2, s2, s18
	s_addc_u32 s3, s3, s19
	v_mul_hi_u32 v1, v2, v1
	s_add_u32 s20, s2, 8
	v_mov_b32_e32 v3, 0
	v_add_u32_e32 v1, v2, v1
	s_addc_u32 s21, s3, 0
	s_mov_b64 s[22:23], 0
	v_cndmask_b32_e64 v31, 0, 1, s[0:1]
	s_mov_b32 s59, 0xd2511f53
	s_mov_b32 s60, 0xf1bbcdc8
                                        ; implicit-def: $sgpr24_sgpr25
                                        ; implicit-def: $sgpr26_sgpr27
                                        ; implicit-def: $sgpr28_sgpr29
                                        ; implicit-def: $sgpr18_sgpr19
                                        ; implicit-def: $sgpr30_sgpr31
                                        ; implicit-def: $sgpr34_sgpr35
                                        ; implicit-def: $sgpr36_sgpr37
                                        ; implicit-def: $sgpr38_sgpr39
	s_branch .LBB104_3
.LBB104_2:                              ;   in Loop: Header=BB104_3 Depth=1
	s_or_b64 exec, exec, s[2:3]
	s_and_b64 s[0:1], exec, s[0:1]
	s_or_b64 s[22:23], s[0:1], s[22:23]
	s_andn2_b64 s[0:1], s[18:19], exec
	s_and_b64 s[2:3], s[38:39], exec
	s_or_b64 s[18:19], s[0:1], s[2:3]
	s_andn2_b64 s[0:1], s[28:29], exec
	s_and_b64 s[2:3], s[36:37], exec
	;; [unrolled: 3-line block ×4, first 2 shown]
	s_or_b64 s[24:25], s[0:1], s[2:3]
	s_andn2_b64 exec, exec, s[22:23]
	s_cbranch_execz .LBB104_69
.LBB104_3:                              ; =>This Loop Header: Depth=1
                                        ;     Child Loop BB104_8 Depth 2
                                        ;     Child Loop BB104_15 Depth 2
	;; [unrolled: 1-line block ×4, first 2 shown]
	v_sub_u32_e32 v32, s33, v30
	v_cmp_lt_i32_e32 vcc, 0, v32
	v_mov_b32_e32 v6, 0
	s_and_saveexec_b64 s[2:3], vcc
	s_cbranch_execz .LBB104_5
; %bb.4:                                ;   in Loop: Header=BB104_3 Depth=1
	s_waitcnt vmcnt(3)
	v_mul_hi_u32 v2, v30, v1
	v_mul_lo_u32 v6, v2, s54
	v_sub_u32_e32 v6, v30, v6
	s_waitcnt vmcnt(2)
	v_add_u32_e32 v7, 1, v2
	v_cmp_le_u32_e64 s[0:1], s54, v6
	v_cndmask_b32_e64 v2, v2, v7, s[0:1]
	v_subrev_u32_e32 v7, s54, v6
	v_cndmask_b32_e64 v6, v6, v7, s[0:1]
	v_add_u32_e32 v7, 1, v2
	v_cmp_le_u32_e64 s[0:1], s54, v6
	v_cndmask_b32_e64 v6, v2, v7, s[0:1]
	v_mul_lo_u32 v2, v6, s54
	v_sub_u32_e32 v2, v30, v2
	s_waitcnt lgkmcnt(0)
	v_mul_lo_u32 v2, v2, s15
	v_mad_u64_u32 v[6:7], s[0:1], v6, s14, v[2:3]
.LBB104_5:                              ;   in Loop: Header=BB104_3 Depth=1
	s_or_b64 exec, exec, s[2:3]
	s_waitcnt vmcnt(3)
	v_mov_b32_e32 v2, 0
	v_cmp_ne_u32_e64 s[0:1], 1, v31
	s_and_saveexec_b64 s[2:3], vcc
	s_cbranch_execz .LBB104_10
; %bb.6:                                ;   in Loop: Header=BB104_3 Depth=1
	s_and_b64 vcc, exec, s[0:1]
	v_mov_b32_e32 v8, 0
	v_mov_b32_e32 v2, v30
	s_cbranch_vccnz .LBB104_9
; %bb.7:                                ;   in Loop: Header=BB104_3 Depth=1
	v_mov_b32_e32 v8, 0
	s_mov_b64 s[40:41], s[20:21]
	s_mov_b32 s42, s58
	v_mov_b32_e32 v2, v30
.LBB104_8:                              ;   Parent Loop BB104_3 Depth=1
                                        ; =>  This Inner Loop Header: Depth=2
	s_load_dword s43, s[40:41], 0x0
	s_load_dword s44, s[40:41], 0x64
	s_waitcnt vmcnt(2)
	v_mov_b32_e32 v7, v2
	s_add_i32 s42, s42, -1
	s_waitcnt lgkmcnt(0)
	v_cvt_f32_u32_e32 v2, s43
	s_sub_i32 s45, 0, s43
	s_add_u32 s40, s40, -4
	s_addc_u32 s41, s41, -1
	v_rcp_iflag_f32_e32 v2, v2
	s_cmp_gt_u32 s42, 2
	v_mul_f32_e32 v2, 0x4f7ffffe, v2
	v_cvt_u32_f32_e32 v2, v2
	s_waitcnt vmcnt(1)
	v_mul_lo_u32 v9, s45, v2
	v_mul_hi_u32 v9, v2, v9
	v_add_u32_e32 v2, v2, v9
	v_mul_hi_u32 v2, v7, v2
	v_mul_lo_u32 v9, v2, s43
	v_sub_u32_e32 v9, v7, v9
	v_add_u32_e32 v10, 1, v2
	v_cmp_le_u32_e32 vcc, s43, v9
	v_cndmask_b32_e32 v2, v2, v10, vcc
	v_subrev_u32_e32 v10, s43, v9
	v_cndmask_b32_e32 v9, v9, v10, vcc
	v_add_u32_e32 v10, 1, v2
	v_cmp_le_u32_e32 vcc, s43, v9
	v_cndmask_b32_e32 v2, v2, v10, vcc
	v_mul_lo_u32 v9, v2, s43
	v_sub_u32_e32 v7, v7, v9
	v_mad_u64_u32 v[8:9], s[44:45], s44, v7, v[8:9]
	s_cbranch_scc1 .LBB104_8
.LBB104_9:                              ;   in Loop: Header=BB104_3 Depth=1
	s_waitcnt vmcnt(1)
	v_mad_u64_u32 v[8:9], s[40:41], s55, v2, v[8:9]
	v_mov_b32_e32 v2, v8
.LBB104_10:                             ;   in Loop: Header=BB104_3 Depth=1
	s_or_b64 exec, exec, s[2:3]
	s_waitcnt vmcnt(2)
	v_or_b32_e32 v7, 1, v30
	v_cmp_lt_i32_e32 vcc, 1, v32
	v_mov_b32_e32 v12, 0
	v_mov_b32_e32 v8, 0
	s_and_saveexec_b64 s[40:41], vcc
	s_cbranch_execz .LBB104_12
; %bb.11:                               ;   in Loop: Header=BB104_3 Depth=1
	v_mul_hi_u32 v8, v7, v1
	s_waitcnt vmcnt(1)
	v_mul_lo_u32 v9, v8, s54
	v_sub_u32_e32 v9, v7, v9
	v_add_u32_e32 v10, 1, v8
	v_cmp_le_u32_e64 s[2:3], s54, v9
	v_cndmask_b32_e64 v8, v8, v10, s[2:3]
	v_subrev_u32_e32 v10, s54, v9
	v_cndmask_b32_e64 v9, v9, v10, s[2:3]
	v_add_u32_e32 v10, 1, v8
	v_cmp_le_u32_e64 s[2:3], s54, v9
	v_cndmask_b32_e64 v9, v8, v10, s[2:3]
	v_mul_lo_u32 v8, v9, s54
	v_sub_u32_e32 v8, v7, v8
	s_waitcnt lgkmcnt(0)
	v_mul_lo_u32 v8, v8, s15
	v_mad_u64_u32 v[8:9], s[2:3], v9, s14, v[8:9]
.LBB104_12:                             ;   in Loop: Header=BB104_3 Depth=1
	s_or_b64 exec, exec, s[40:41]
	s_and_saveexec_b64 s[2:3], vcc
	s_cbranch_execz .LBB104_17
; %bb.13:                               ;   in Loop: Header=BB104_3 Depth=1
	s_and_b64 vcc, exec, s[0:1]
	v_mov_b32_e32 v10, 0
	s_cbranch_vccnz .LBB104_16
; %bb.14:                               ;   in Loop: Header=BB104_3 Depth=1
	v_mov_b32_e32 v10, 0
	s_mov_b64 s[40:41], s[20:21]
	s_mov_b32 s42, s58
.LBB104_15:                             ;   Parent Loop BB104_3 Depth=1
                                        ; =>  This Inner Loop Header: Depth=2
	s_load_dword s43, s[40:41], 0x0
	s_load_dword s44, s[40:41], 0x64
	s_waitcnt vmcnt(1)
	v_mov_b32_e32 v9, v7
	s_add_i32 s42, s42, -1
	s_waitcnt lgkmcnt(0)
	v_cvt_f32_u32_e32 v7, s43
	s_sub_i32 s45, 0, s43
	s_add_u32 s40, s40, -4
	s_addc_u32 s41, s41, -1
	v_rcp_iflag_f32_e32 v7, v7
	s_cmp_gt_u32 s42, 2
	v_mul_f32_e32 v7, 0x4f7ffffe, v7
	v_cvt_u32_f32_e32 v7, v7
	s_waitcnt vmcnt(0)
	v_mul_lo_u32 v11, s45, v7
	v_mul_hi_u32 v11, v7, v11
	v_add_u32_e32 v7, v7, v11
	v_mul_hi_u32 v7, v9, v7
	v_mul_lo_u32 v11, v7, s43
	v_sub_u32_e32 v11, v9, v11
	v_add_u32_e32 v12, 1, v7
	v_cmp_le_u32_e32 vcc, s43, v11
	v_cndmask_b32_e32 v7, v7, v12, vcc
	v_subrev_u32_e32 v12, s43, v11
	v_cndmask_b32_e32 v11, v11, v12, vcc
	v_add_u32_e32 v12, 1, v7
	v_cmp_le_u32_e32 vcc, s43, v11
	v_cndmask_b32_e32 v7, v7, v12, vcc
	v_mul_lo_u32 v11, v7, s43
	v_sub_u32_e32 v9, v9, v11
	v_mad_u64_u32 v[10:11], s[44:45], s44, v9, v[10:11]
	s_cbranch_scc1 .LBB104_15
.LBB104_16:                             ;   in Loop: Header=BB104_3 Depth=1
	s_waitcnt vmcnt(0)
	v_mad_u64_u32 v[12:13], s[40:41], s55, v7, v[10:11]
.LBB104_17:                             ;   in Loop: Header=BB104_3 Depth=1
	s_or_b64 exec, exec, s[2:3]
	v_or_b32_e32 v7, 2, v30
	v_cmp_lt_i32_e32 vcc, 2, v32
	v_mov_b32_e32 v10, 0
	s_and_saveexec_b64 s[40:41], vcc
	s_cbranch_execz .LBB104_19
; %bb.18:                               ;   in Loop: Header=BB104_3 Depth=1
	s_waitcnt vmcnt(1)
	v_mul_hi_u32 v9, v7, v1
	v_mul_lo_u32 v10, v9, s54
	v_sub_u32_e32 v10, v7, v10
	s_waitcnt vmcnt(0)
	v_add_u32_e32 v11, 1, v9
	v_cmp_le_u32_e64 s[2:3], s54, v10
	v_cndmask_b32_e64 v9, v9, v11, s[2:3]
	v_subrev_u32_e32 v11, s54, v10
	v_cndmask_b32_e64 v10, v10, v11, s[2:3]
	v_add_u32_e32 v11, 1, v9
	v_cmp_le_u32_e64 s[2:3], s54, v10
	v_cndmask_b32_e64 v9, v9, v11, s[2:3]
	v_mul_lo_u32 v10, v9, s54
	v_sub_u32_e32 v10, v7, v10
	s_waitcnt lgkmcnt(0)
	v_mul_lo_u32 v10, v10, s15
	v_mad_u64_u32 v[10:11], s[2:3], v9, s14, v[10:11]
.LBB104_19:                             ;   in Loop: Header=BB104_3 Depth=1
	s_or_b64 exec, exec, s[40:41]
	v_pk_mov_b32 v[16:17], 0, 0
	s_and_saveexec_b64 s[2:3], vcc
	s_cbranch_execz .LBB104_24
; %bb.20:                               ;   in Loop: Header=BB104_3 Depth=1
	s_and_b64 vcc, exec, s[0:1]
	v_mov_b32_e32 v14, 0
	s_cbranch_vccnz .LBB104_23
; %bb.21:                               ;   in Loop: Header=BB104_3 Depth=1
	v_mov_b32_e32 v14, 0
	s_mov_b64 s[40:41], s[20:21]
	s_mov_b32 s42, s58
.LBB104_22:                             ;   Parent Loop BB104_3 Depth=1
                                        ; =>  This Inner Loop Header: Depth=2
	s_load_dword s43, s[40:41], 0x0
	s_load_dword s44, s[40:41], 0x64
	s_waitcnt vmcnt(1)
	v_mov_b32_e32 v9, v7
	s_add_i32 s42, s42, -1
	s_waitcnt lgkmcnt(0)
	v_cvt_f32_u32_e32 v7, s43
	s_sub_i32 s45, 0, s43
	s_add_u32 s40, s40, -4
	s_addc_u32 s41, s41, -1
	v_rcp_iflag_f32_e32 v7, v7
	s_cmp_gt_u32 s42, 2
	v_mul_f32_e32 v7, 0x4f7ffffe, v7
	v_cvt_u32_f32_e32 v7, v7
	s_waitcnt vmcnt(0)
	v_mul_lo_u32 v11, s45, v7
	v_mul_hi_u32 v11, v7, v11
	v_add_u32_e32 v7, v7, v11
	v_mul_hi_u32 v7, v9, v7
	v_mul_lo_u32 v11, v7, s43
	v_sub_u32_e32 v11, v9, v11
	v_add_u32_e32 v13, 1, v7
	v_cmp_le_u32_e32 vcc, s43, v11
	v_cndmask_b32_e32 v7, v7, v13, vcc
	v_subrev_u32_e32 v13, s43, v11
	v_cndmask_b32_e32 v11, v11, v13, vcc
	v_add_u32_e32 v13, 1, v7
	v_cmp_le_u32_e32 vcc, s43, v11
	v_cndmask_b32_e32 v7, v7, v13, vcc
	v_mul_lo_u32 v11, v7, s43
	v_sub_u32_e32 v9, v9, v11
	v_mad_u64_u32 v[14:15], s[44:45], s44, v9, v[14:15]
	s_cbranch_scc1 .LBB104_22
.LBB104_23:                             ;   in Loop: Header=BB104_3 Depth=1
	v_mad_u64_u32 v[16:17], s[40:41], s55, v7, v[14:15]
	v_mov_b32_e32 v17, v3
.LBB104_24:                             ;   in Loop: Header=BB104_3 Depth=1
	s_or_b64 exec, exec, s[2:3]
	v_pk_mov_b32 v[18:19], 0, 0
	v_or_b32_e32 v7, 3, v30
	v_cmp_lt_i32_e32 vcc, 3, v32
	v_pk_mov_b32 v[14:15], v[18:19], v[18:19] op_sel:[0,1]
	s_and_saveexec_b64 s[40:41], vcc
	s_cbranch_execz .LBB104_26
; %bb.25:                               ;   in Loop: Header=BB104_3 Depth=1
	s_waitcnt vmcnt(1)
	v_mul_hi_u32 v9, v7, v1
	s_waitcnt vmcnt(0)
	v_mul_lo_u32 v11, v9, s54
	v_sub_u32_e32 v11, v7, v11
	v_add_u32_e32 v13, 1, v9
	v_cmp_le_u32_e64 s[2:3], s54, v11
	v_cndmask_b32_e64 v9, v9, v13, s[2:3]
	v_subrev_u32_e32 v13, s54, v11
	v_cndmask_b32_e64 v11, v11, v13, s[2:3]
	v_add_u32_e32 v13, 1, v9
	v_cmp_le_u32_e64 s[2:3], s54, v11
	v_cndmask_b32_e64 v9, v9, v13, s[2:3]
	v_mul_lo_u32 v11, v9, s54
	v_sub_u32_e32 v11, v7, v11
	s_waitcnt lgkmcnt(0)
	v_mul_lo_u32 v14, v11, s15
	v_mad_u64_u32 v[14:15], s[2:3], v9, s14, v[14:15]
	v_mov_b32_e32 v15, v3
.LBB104_26:                             ;   in Loop: Header=BB104_3 Depth=1
	s_or_b64 exec, exec, s[40:41]
	s_and_saveexec_b64 s[2:3], vcc
	s_cbranch_execz .LBB104_31
; %bb.27:                               ;   in Loop: Header=BB104_3 Depth=1
	s_and_b64 vcc, exec, s[0:1]
	v_mov_b32_e32 v18, 0
	s_cbranch_vccnz .LBB104_30
; %bb.28:                               ;   in Loop: Header=BB104_3 Depth=1
	v_mov_b32_e32 v18, 0
	s_mov_b64 s[0:1], s[20:21]
	s_mov_b32 s40, s58
.LBB104_29:                             ;   Parent Loop BB104_3 Depth=1
                                        ; =>  This Inner Loop Header: Depth=2
	s_load_dword s41, s[0:1], 0x0
	s_load_dword s42, s[0:1], 0x64
	s_waitcnt vmcnt(1)
	v_mov_b32_e32 v9, v7
	s_add_i32 s40, s40, -1
	s_waitcnt lgkmcnt(0)
	v_cvt_f32_u32_e32 v7, s41
	s_sub_i32 s43, 0, s41
	s_add_u32 s0, s0, -4
	s_addc_u32 s1, s1, -1
	v_rcp_iflag_f32_e32 v7, v7
	s_cmp_gt_u32 s40, 2
	v_mul_f32_e32 v7, 0x4f7ffffe, v7
	v_cvt_u32_f32_e32 v7, v7
	s_waitcnt vmcnt(0)
	v_mul_lo_u32 v11, s43, v7
	v_mul_hi_u32 v11, v7, v11
	v_add_u32_e32 v7, v7, v11
	v_mul_hi_u32 v7, v9, v7
	v_mul_lo_u32 v11, v7, s41
	v_sub_u32_e32 v11, v9, v11
	v_add_u32_e32 v13, 1, v7
	v_cmp_le_u32_e32 vcc, s41, v11
	v_cndmask_b32_e32 v7, v7, v13, vcc
	v_subrev_u32_e32 v13, s41, v11
	v_cndmask_b32_e32 v11, v11, v13, vcc
	v_add_u32_e32 v13, 1, v7
	v_cmp_le_u32_e32 vcc, s41, v11
	v_cndmask_b32_e32 v7, v7, v13, vcc
	v_mul_lo_u32 v11, v7, s41
	v_sub_u32_e32 v9, v9, v11
	v_mad_u64_u32 v[18:19], s[42:43], s42, v9, v[18:19]
	s_cbranch_scc1 .LBB104_29
.LBB104_30:                             ;   in Loop: Header=BB104_3 Depth=1
	v_mad_u64_u32 v[18:19], s[0:1], s55, v7, v[18:19]
	v_mov_b32_e32 v19, v3
.LBB104_31:                             ;   in Loop: Header=BB104_3 Depth=1
	s_or_b64 exec, exec, s[2:3]
	v_lshlrev_b64 v[20:21], 2, v[2:3]
	s_waitcnt lgkmcnt(0)
	v_mov_b32_e32 v2, s17
	v_add_co_u32_e32 v20, vcc, s16, v20
	v_mov_b32_e32 v13, v3
	v_addc_co_u32_e32 v21, vcc, v2, v21, vcc
	v_lshlrev_b64 v[12:13], 2, v[12:13]
	v_add_co_u32_e32 v12, vcc, s16, v12
	v_addc_co_u32_e32 v13, vcc, v2, v13, vcc
	v_lshlrev_b64 v[16:17], 2, v[16:17]
	v_add_co_u32_e32 v16, vcc, s16, v16
	;; [unrolled: 3-line block ×3, first 2 shown]
	v_addc_co_u32_e32 v19, vcc, v2, v19, vcc
	global_load_dword v2, v[20:21], off
	global_load_dword v7, v[12:13], off
	;; [unrolled: 1-line block ×4, first 2 shown]
	s_andn2_b64 vcc, exec, s[4:5]
	v_pk_mov_b32 v[12:13], s[10:11], s[10:11] op_sel:[0,1]
	v_pk_mov_b32 v[16:17], s[8:9], s[8:9] op_sel:[0,1]
	s_cbranch_vccnz .LBB104_33
; %bb.32:                               ;   in Loop: Header=BB104_3 Depth=1
	v_pk_mov_b32 v[12:13], s[10:11], s[10:11] op_sel:[0,1]
	flat_load_dwordx2 v[12:13], v[12:13]
	v_pk_mov_b32 v[16:17], s[8:9], s[8:9] op_sel:[0,1]
	flat_load_dwordx2 v[16:17], v[16:17]
	v_mov_b32_e32 v18, s7
	s_waitcnt vmcnt(0) lgkmcnt(0)
	v_add_co_u32_e32 v12, vcc, s6, v12
	v_addc_co_u32_e32 v13, vcc, v13, v18, vcc
.LBB104_33:                             ;   in Loop: Header=BB104_3 Depth=1
	v_alignbit_b32 v26, v13, v12, 2
	v_lshrrev_b32_e32 v27, 2, v13
	v_xor_b32_e32 v18, v4, v16
	v_and_b32_e32 v33, 3, v12
	v_mad_u64_u32 v[12:13], s[0:1], v26, s59, 0
	v_xor_b32_e32 v18, v18, v27
	v_xor_b32_e32 v13, v13, v17
	v_add_u32_e32 v38, 0xbb67ae85, v17
	v_mad_u64_u32 v[18:19], s[0:1], v18, s59, 0
	v_mad_u64_u32 v[20:21], s[0:1], v13, s56, 0
	v_xor_b32_e32 v19, v38, v19
	v_add_u32_e32 v37, 0x9e3779b9, v16
	v_xor_b32_e32 v13, v0, v21
	v_xor_b32_e32 v19, v19, v12
	v_xor_b32_e32 v13, v13, v37
	v_add_u32_e32 v39, 0x3c6ef372, v16
	v_mad_u64_u32 v[22:23], s[0:1], v19, s56, 0
	v_add_u32_e32 v40, 0x76cf5d0a, v17
	v_mad_u64_u32 v[12:13], s[0:1], v13, s59, 0
	v_xor_b32_e32 v19, v39, v23
	v_xor_b32_e32 v19, v19, v20
	v_xor_b32_e32 v13, v40, v13
	v_xor_b32_e32 v13, v13, v18
	v_add_u32_e32 v42, 0x32370b8f, v17
	v_mad_u64_u32 v[18:19], s[0:1], v19, s59, 0
	v_add_u32_e32 v41, 0xdaa66d2b, v16
	v_mad_u64_u32 v[20:21], s[0:1], v13, s56, 0
	v_xor_b32_e32 v19, v42, v19
	;; [unrolled: 8-line block ×5, first 2 shown]
	v_xor_b32_e32 v19, v19, v20
	v_xor_b32_e32 v13, v48, v13
	;; [unrolled: 1-line block ×3, first 2 shown]
	v_add_u32_e32 v50, 0x1fd5c5a3, v17
	v_mad_u64_u32 v[18:19], s[0:1], v19, s59, 0
	v_xor_b32_e32 v19, v50, v19
	v_xor_b32_e32 v12, v19, v12
	v_add_u32_e32 v49, 0x5384540f, v16
	v_mad_u64_u32 v[24:25], s[0:1], v13, s56, 0
	v_add_co_u32_e32 v35, vcc, s60, v16
	v_mad_u64_u32 v[20:21], s[0:1], v12, s56, 0
	v_xor_b32_e32 v13, v49, v25
	v_xor_b32_e32 v12, v35, v21
	;; [unrolled: 1-line block ×4, first 2 shown]
	v_mad_u64_u32 v[22:23], s[0:1], v13, s59, 0
	v_mad_u64_u32 v[12:13], s[0:1], v12, s59, 0
	v_add_u32_e32 v36, 0x96a522ad, v17
	v_xor_b32_e32 v13, v13, v22
	v_xor_b32_e32 v34, v36, v13
	v_add_co_u32_e32 v13, vcc, 1, v26
	v_cndmask_b32_e64 v22, 0, 1, vcc
	v_addc_co_u32_e32 v28, vcc, 0, v27, vcc
	v_cmp_eq_u32_e32 vcc, 0, v28
	v_cndmask_b32_e32 v22, 0, v22, vcc
	v_add_u32_e32 v26, v22, v5
	v_cmp_eq_u32_e32 vcc, 0, v26
	v_mad_u64_u32 v[24:25], s[0:1], v13, s59, 0
	v_mad_u64_u32 v[26:27], s[0:1], v26, s56, 0
	v_add_u32_e32 v21, 0x8ff34781, v16
	v_cndmask_b32_e32 v22, 0, v22, vcc
	v_xor_b32_e32 v13, v27, v16
	v_xor_b32_e32 v16, v25, v17
	;; [unrolled: 1-line block ×4, first 2 shown]
	v_mad_u64_u32 v[28:29], s[0:1], v22, s56, 0
	v_add_u32_e32 v19, 0xdb3d7428, v17
	v_mad_u64_u32 v[16:17], s[0:1], v13, s59, 0
	v_xor_b32_e32 v13, v37, v29
	v_xor_b32_e32 v13, v13, v26
	v_xor_b32_e32 v17, v38, v17
	v_xor_b32_e32 v17, v17, v24
	v_mad_u64_u32 v[24:25], s[0:1], v13, s59, 0
	v_mad_u64_u32 v[26:27], s[0:1], v17, s56, 0
	v_xor_b32_e32 v17, v40, v25
	v_xor_b32_e32 v13, v39, v27
	v_xor_b32_e32 v22, v17, v16
	v_xor_b32_e32 v13, v13, v28
	v_mad_u64_u32 v[28:29], s[0:1], v22, s56, 0
	;; [unrolled: 6-line block ×7, first 2 shown]
	v_xor_b32_e32 v13, v19, v27
	v_xor_b32_e32 v13, v13, v16
	v_mad_u64_u32 v[28:29], s[0:1], v17, s56, 0
	v_mad_u64_u32 v[16:17], s[0:1], v13, s56, 0
	v_xor_b32_e32 v13, v17, v28
	v_xor_b32_e32 v13, v21, v13
	v_cmp_lt_i32_e32 vcc, 1, v33
                                        ; implicit-def: $vgpr25
	s_and_saveexec_b64 s[0:1], vcc
	s_xor_b64 s[0:1], exec, s[0:1]
	s_cbranch_execz .LBB104_39
; %bb.34:                               ;   in Loop: Header=BB104_3 Depth=1
	v_cmp_lt_i32_e32 vcc, 2, v33
                                        ; implicit-def: $vgpr25
	s_and_saveexec_b64 s[2:3], vcc
	s_xor_b64 s[2:3], exec, s[2:3]
; %bb.35:                               ;   in Loop: Header=BB104_3 Depth=1
	v_xor_b32_e32 v17, v35, v29
	v_xor_b32_e32 v17, v17, v24
	v_mul_hi_u32 v17, v17, s59
	v_xor_b32_e32 v17, v17, v26
	v_xor_b32_e32 v25, v36, v17
                                        ; implicit-def: $vgpr34
; %bb.36:                               ;   in Loop: Header=BB104_3 Depth=1
	s_andn2_saveexec_b64 s[2:3], s[2:3]
; %bb.37:                               ;   in Loop: Header=BB104_3 Depth=1
	v_mov_b32_e32 v25, v16
	v_mov_b32_e32 v16, v13
	;; [unrolled: 1-line block ×4, first 2 shown]
; %bb.38:                               ;   in Loop: Header=BB104_3 Depth=1
	s_or_b64 exec, exec, s[2:3]
                                        ; implicit-def: $vgpr18_vgpr19
                                        ; implicit-def: $vgpr20_vgpr21
                                        ; implicit-def: $vgpr33
                                        ; implicit-def: $vgpr34
                                        ; implicit-def: $vgpr22_vgpr23
                                        ; implicit-def: $vgpr19
                                        ; implicit-def: $vgpr21
.LBB104_39:                             ;   in Loop: Header=BB104_3 Depth=1
	s_andn2_saveexec_b64 s[0:1], s[0:1]
	s_cbranch_execz .LBB104_43
; %bb.40:                               ;   in Loop: Header=BB104_3 Depth=1
	v_xor_b32_e32 v16, v19, v23
	v_xor_b32_e32 v16, v16, v18
	v_mad_u64_u32 v[18:19], s[2:3], v16, s56, 0
	v_xor_b32_e32 v16, v19, v20
	v_xor_b32_e32 v17, v21, v16
	v_cmp_eq_u32_e32 vcc, 1, v33
	v_mov_b32_e32 v25, v12
	v_mov_b32_e32 v16, v34
	;; [unrolled: 1-line block ×3, first 2 shown]
	s_and_saveexec_b64 s[2:3], vcc
; %bb.41:                               ;   in Loop: Header=BB104_3 Depth=1
	v_mov_b32_e32 v25, v13
	v_mov_b32_e32 v16, v12
	;; [unrolled: 1-line block ×4, first 2 shown]
; %bb.42:                               ;   in Loop: Header=BB104_3 Depth=1
	s_or_b64 exec, exec, s[2:3]
	v_mov_b32_e32 v12, v17
	v_mov_b32_e32 v13, v19
.LBB104_43:                             ;   in Loop: Header=BB104_3 Depth=1
	s_or_b64 exec, exec, s[0:1]
	v_min_i32_e32 v17, 4, v32
	v_cmp_lt_i32_e32 vcc, 2, v17
	s_mov_b64 s[2:3], 0
	s_mov_b64 s[50:51], 0
	;; [unrolled: 1-line block ×3, first 2 shown]
                                        ; implicit-def: $sgpr42_sgpr43
                                        ; implicit-def: $sgpr44_sgpr45
                                        ; implicit-def: $sgpr46_sgpr47
	s_and_saveexec_b64 s[0:1], vcc
	s_xor_b64 s[48:49], exec, s[0:1]
	s_cbranch_execz .LBB104_55
; %bb.44:                               ;   in Loop: Header=BB104_3 Depth=1
	v_cmp_lt_i32_e32 vcc, 3, v17
	s_mov_b64 s[0:1], -1
	s_mov_b64 s[52:53], 0
                                        ; implicit-def: $sgpr40_sgpr41
                                        ; implicit-def: $sgpr42_sgpr43
	s_and_saveexec_b64 s[44:45], vcc
	s_cbranch_execz .LBB104_50
; %bb.45:                               ;   in Loop: Header=BB104_3 Depth=1
	v_cmp_eq_u32_e32 vcc, 4, v17
	s_mov_b64 s[0:1], 0
	s_mov_b64 s[52:53], -1
                                        ; implicit-def: $sgpr40_sgpr41
                                        ; implicit-def: $sgpr42_sgpr43
	s_and_saveexec_b64 s[46:47], vcc
	s_cbranch_execz .LBB104_49
; %bb.46:                               ;   in Loop: Header=BB104_3 Depth=1
	s_waitcnt vmcnt(0)
	v_cmp_le_f32_e32 vcc, 0, v11
	v_cmp_ge_f32_e64 s[0:1], 1.0, v11
	s_and_b64 s[52:53], vcc, s[0:1]
	s_mov_b64 s[40:41], 0
	s_mov_b64 s[0:1], 0
	s_and_saveexec_b64 s[42:43], s[52:53]
	s_cbranch_execz .LBB104_48
; %bb.47:                               ;   in Loop: Header=BB104_3 Depth=1
	v_cvt_f32_u32_e32 v18, v25
	v_mov_b32_e32 v19, 0x2f800000
	v_lshlrev_b64 v[14:15], 1, v[14:15]
	v_add_co_u32_e32 v14, vcc, s12, v14
	v_fmac_f32_e32 v19, 0x2f800000, v18
	v_mov_b32_e32 v18, s13
	v_addc_co_u32_e32 v15, vcc, v18, v15, vcc
	v_cmp_le_f32_e32 vcc, v19, v11
	s_mov_b64 s[0:1], exec
	v_cndmask_b32_e64 v11, 0, 1.0, vcc
	global_store_short_d16_hi v[14:15], v11, off
.LBB104_48:                             ;   in Loop: Header=BB104_3 Depth=1
	s_or_b64 exec, exec, s[42:43]
	s_mov_b64 s[42:43], -1
	s_xor_b64 s[52:53], exec, -1
	s_and_b64 s[0:1], s[0:1], exec
.LBB104_49:                             ;   in Loop: Header=BB104_3 Depth=1
	s_or_b64 exec, exec, s[46:47]
	s_and_b64 s[52:53], s[52:53], exec
	s_orn2_b64 s[0:1], s[0:1], exec
.LBB104_50:                             ;   in Loop: Header=BB104_3 Depth=1
	s_or_b64 exec, exec, s[44:45]
	s_mov_b64 s[46:47], s[40:41]
	s_and_saveexec_b64 s[44:45], s[0:1]
	s_cbranch_execz .LBB104_54
; %bb.51:                               ;   in Loop: Header=BB104_3 Depth=1
	s_waitcnt vmcnt(1)
	v_cmp_le_f32_e32 vcc, 0, v9
	v_cmp_ge_f32_e64 s[0:1], 1.0, v9
	s_and_b64 s[46:47], vcc, s[0:1]
	s_mov_b64 s[0:1], 0
	s_and_saveexec_b64 s[50:51], s[46:47]
	s_xor_b64 s[46:47], exec, s[50:51]
	s_cbranch_execz .LBB104_53
; %bb.52:                               ;   in Loop: Header=BB104_3 Depth=1
	v_cvt_f32_u32_e32 v14, v16
	s_waitcnt vmcnt(0)
	v_mov_b32_e32 v11, v3
	v_mov_b32_e32 v15, 0x2f800000
	v_lshlrev_b64 v[10:11], 1, v[10:11]
	v_fmac_f32_e32 v15, 0x2f800000, v14
	v_mov_b32_e32 v14, s13
	v_add_co_u32_e32 v10, vcc, s12, v10
	v_addc_co_u32_e32 v11, vcc, v14, v11, vcc
	v_cmp_le_f32_e32 vcc, v15, v9
	v_cndmask_b32_e64 v9, 0, 1.0, vcc
	s_mov_b64 s[0:1], exec
	global_store_short_d16_hi v[10:11], v9, off
.LBB104_53:                             ;   in Loop: Header=BB104_3 Depth=1
	s_or_b64 exec, exec, s[46:47]
	s_andn2_b64 s[46:47], s[40:41], exec
	s_or_b64 s[40:41], s[40:41], exec
	s_andn2_b64 s[42:43], s[42:43], exec
	s_and_b64 s[50:51], s[0:1], exec
.LBB104_54:                             ;   in Loop: Header=BB104_3 Depth=1
	s_or_b64 exec, exec, s[44:45]
	s_and_b64 s[46:47], s[46:47], exec
	s_and_b64 s[44:45], s[40:41], exec
	;; [unrolled: 1-line block ×5, first 2 shown]
.LBB104_55:                             ;   in Loop: Header=BB104_3 Depth=1
	s_andn2_saveexec_b64 s[0:1], s[48:49]
; %bb.56:                               ;   in Loop: Header=BB104_3 Depth=1
	v_cmp_lt_i32_e32 vcc, 1, v17
	s_andn2_b64 s[48:49], s[50:51], exec
	s_and_b64 s[50:51], vcc, exec
	s_mov_b64 s[2:3], exec
	s_andn2_b64 s[46:47], s[46:47], exec
	s_andn2_b64 s[44:45], s[44:45], exec
	;; [unrolled: 1-line block ×3, first 2 shown]
	s_or_b64 s[50:51], s[48:49], s[50:51]
; %bb.57:                               ;   in Loop: Header=BB104_3 Depth=1
	s_or_b64 exec, exec, s[0:1]
	s_mov_b64 s[0:1], 0
	s_mov_b64 s[48:49], s[46:47]
	s_and_saveexec_b64 s[52:53], s[50:51]
	s_cbranch_execnz .LBB104_60
; %bb.58:                               ;   in Loop: Header=BB104_3 Depth=1
	s_or_b64 exec, exec, s[52:53]
	s_and_saveexec_b64 s[50:51], s[2:3]
	s_cbranch_execnz .LBB104_63
.LBB104_59:                             ;   in Loop: Header=BB104_3 Depth=1
	s_or_b64 exec, exec, s[50:51]
	s_and_saveexec_b64 s[2:3], s[0:1]
	s_cbranch_execnz .LBB104_64
	s_branch .LBB104_67
.LBB104_60:                             ;   in Loop: Header=BB104_3 Depth=1
	s_waitcnt vmcnt(2)
	v_cmp_le_f32_e32 vcc, 0, v7
	v_cmp_ge_f32_e64 s[0:1], 1.0, v7
	s_and_b64 s[48:49], vcc, s[0:1]
	s_mov_b64 s[0:1], 0
	s_and_saveexec_b64 s[50:51], s[48:49]
	s_xor_b64 s[48:49], exec, s[50:51]
	s_cbranch_execz .LBB104_62
; %bb.61:                               ;   in Loop: Header=BB104_3 Depth=1
	v_cvt_f32_u32_e32 v10, v13
	s_waitcnt vmcnt(1)
	v_mov_b32_e32 v9, v3
	s_waitcnt vmcnt(0)
	v_mov_b32_e32 v11, 0x2f800000
	v_lshlrev_b64 v[8:9], 1, v[8:9]
	v_fmac_f32_e32 v11, 0x2f800000, v10
	v_mov_b32_e32 v10, s13
	v_add_co_u32_e32 v8, vcc, s12, v8
	v_addc_co_u32_e32 v9, vcc, v10, v9, vcc
	v_cmp_le_f32_e32 vcc, v11, v7
	v_cndmask_b32_e64 v7, 0, 1.0, vcc
	s_mov_b64 s[0:1], exec
	global_store_short_d16_hi v[8:9], v7, off
.LBB104_62:                             ;   in Loop: Header=BB104_3 Depth=1
	s_or_b64 exec, exec, s[48:49]
	s_andn2_b64 s[48:49], s[46:47], exec
	s_or_b64 s[46:47], s[46:47], exec
	s_andn2_b64 s[44:45], s[44:45], exec
	s_andn2_b64 s[42:43], s[42:43], exec
	s_and_b64 s[0:1], s[0:1], exec
	s_andn2_b64 s[2:3], s[2:3], exec
	s_or_b64 exec, exec, s[52:53]
	s_and_saveexec_b64 s[50:51], s[2:3]
	s_cbranch_execz .LBB104_59
.LBB104_63:                             ;   in Loop: Header=BB104_3 Depth=1
	v_cmp_eq_u32_e32 vcc, 1, v17
	s_andn2_b64 s[0:1], s[0:1], exec
	s_and_b64 s[2:3], vcc, exec
	s_andn2_b64 s[48:49], s[48:49], exec
	s_andn2_b64 s[46:47], s[46:47], exec
	;; [unrolled: 1-line block ×4, first 2 shown]
	s_or_b64 s[40:41], s[40:41], exec
	s_or_b64 s[0:1], s[0:1], s[2:3]
	s_or_b64 exec, exec, s[50:51]
	s_and_saveexec_b64 s[2:3], s[0:1]
	s_cbranch_execz .LBB104_67
.LBB104_64:                             ;   in Loop: Header=BB104_3 Depth=1
	s_waitcnt vmcnt(3)
	v_cmp_le_f32_e32 vcc, 0, v2
	v_cmp_ge_f32_e64 s[0:1], 1.0, v2
	s_and_b64 s[52:53], vcc, s[0:1]
	s_mov_b64 s[0:1], 0
	s_and_saveexec_b64 s[50:51], s[52:53]
	s_cbranch_execz .LBB104_66
; %bb.65:                               ;   in Loop: Header=BB104_3 Depth=1
	v_cvt_f32_u32_e32 v8, v12
	s_waitcnt vmcnt(2)
	v_mov_b32_e32 v7, v3
	s_waitcnt vmcnt(1)
	v_mov_b32_e32 v9, 0x2f800000
	v_lshlrev_b64 v[6:7], 1, v[6:7]
	v_fmac_f32_e32 v9, 0x2f800000, v8
	v_mov_b32_e32 v8, s13
	v_add_co_u32_e32 v6, vcc, s12, v6
	v_addc_co_u32_e32 v7, vcc, v8, v7, vcc
	v_cmp_le_f32_e32 vcc, v9, v2
	s_mov_b64 s[0:1], exec
	v_cndmask_b32_e64 v2, 0, 1.0, vcc
	global_store_short_d16_hi v[6:7], v2, off
.LBB104_66:                             ;   in Loop: Header=BB104_3 Depth=1
	s_or_b64 exec, exec, s[50:51]
	s_andn2_b64 s[40:41], s[40:41], exec
	s_and_b64 s[0:1], s[0:1], exec
	s_or_b64 s[48:49], s[48:49], exec
	s_andn2_b64 s[46:47], s[46:47], exec
	s_andn2_b64 s[44:45], s[44:45], exec
	;; [unrolled: 1-line block ×3, first 2 shown]
	s_or_b64 s[40:41], s[40:41], s[0:1]
.LBB104_67:                             ;   in Loop: Header=BB104_3 Depth=1
	s_or_b64 exec, exec, s[2:3]
	s_andn2_b64 s[2:3], s[38:39], exec
	s_and_b64 s[38:39], s[48:49], exec
	s_or_b64 s[38:39], s[2:3], s[38:39]
	s_andn2_b64 s[2:3], s[36:37], exec
	s_and_b64 s[36:37], s[46:47], exec
	s_or_b64 s[36:37], s[2:3], s[36:37]
	;; [unrolled: 3-line block ×3, first 2 shown]
	s_andn2_b64 s[2:3], s[30:31], exec
	s_and_b64 s[30:31], s[42:43], exec
	s_mov_b64 s[0:1], -1
	s_or_b64 s[30:31], s[2:3], s[30:31]
	s_and_saveexec_b64 s[2:3], s[40:41]
	s_cbranch_execz .LBB104_2
; %bb.68:                               ;   in Loop: Header=BB104_3 Depth=1
	v_add_u32_e32 v30, s57, v30
	v_cmp_le_u32_e32 vcc, s33, v30
	s_andn2_b64 s[38:39], s[38:39], exec
	s_andn2_b64 s[36:37], s[36:37], exec
	;; [unrolled: 1-line block ×4, first 2 shown]
	s_orn2_b64 s[0:1], vcc, exec
	s_branch .LBB104_2
.LBB104_69:
	s_or_b64 exec, exec, s[22:23]
	s_xor_b64 s[6:7], s[28:29], -1
	s_xor_b64 s[8:9], s[26:27], -1
	;; [unrolled: 1-line block ×3, first 2 shown]
	s_mov_b64 s[2:3], 0
	s_and_saveexec_b64 s[4:5], s[0:1]
	s_xor_b64 s[0:1], exec, s[4:5]
	s_cbranch_execnz .LBB104_74
; %bb.70:
	s_andn2_saveexec_b64 s[0:1], s[0:1]
	s_cbranch_execnz .LBB104_82
.LBB104_71:
	s_or_b64 exec, exec, s[0:1]
	s_and_b64 exec, exec, s[2:3]
.LBB104_72:
	; divergent unreachable
.LBB104_73:
	s_endpgm
.LBB104_74:
	s_mov_b64 s[4:5], 0
	s_and_saveexec_b64 s[2:3], s[8:9]
	s_xor_b64 s[2:3], exec, s[2:3]
	s_cbranch_execz .LBB104_80
; %bb.75:
	s_and_saveexec_b64 s[8:9], s[6:7]
	s_xor_b64 s[6:7], exec, s[8:9]
	s_cbranch_execz .LBB104_78
; %bb.76:
	s_and_saveexec_b64 s[8:9], s[18:19]
	s_xor_b64 s[8:9], exec, s[8:9]
	s_cbranch_execnz .LBB104_85
.LBB104_77:
	s_or_b64 exec, exec, s[8:9]
	s_and_b64 s[4:5], s[4:5], exec
.LBB104_78:
	s_andn2_saveexec_b64 s[6:7], s[6:7]
	s_cbranch_execnz .LBB104_84
.LBB104_79:
	s_or_b64 exec, exec, s[6:7]
	s_and_b64 s[4:5], s[4:5], exec
.LBB104_80:
	s_andn2_saveexec_b64 s[2:3], s[2:3]
	s_cbranch_execnz .LBB104_83
.LBB104_81:
	s_or_b64 exec, exec, s[2:3]
	s_and_b64 s[2:3], s[4:5], exec
	s_andn2_saveexec_b64 s[0:1], s[0:1]
	s_cbranch_execz .LBB104_71
.LBB104_82:
	s_or_b64 s[2:3], s[2:3], exec
	s_trap 2
	s_or_b64 exec, exec, s[0:1]
	s_and_b64 exec, exec, s[2:3]
	s_cbranch_execnz .LBB104_72
	s_branch .LBB104_73
.LBB104_83:
	s_or_b64 s[4:5], s[4:5], exec
	s_trap 2
	s_branch .LBB104_81
.LBB104_84:
	s_trap 2
	s_or_b64 s[4:5], s[4:5], exec
	s_branch .LBB104_79
.LBB104_85:
	s_mov_b64 s[4:5], exec
	s_trap 2
	s_branch .LBB104_77
	.section	.rodata,"a",@progbits
	.p2align	6, 0x0
	.amdhsa_kernel _ZN2at4cuda12_GLOBAL__N_121kernelPointwiseApply2IZNS_6native9templates4cuda28bernoulli_tensor_cuda_kernelIN3c108BFloat16EfEEvRKNS_10TensorBaseESB_NS_15PhiloxCudaStateEEUliRS8_SD_SD_SD_RKfSF_SF_SF_E_S8_SE_jLi2ELin1ELi4ELi512ELi2EEEvNS0_6detail10TensorInfoIT0_T2_EENSI_IT1_SK_EESK_T_
		.amdhsa_group_segment_fixed_size 0
		.amdhsa_private_segment_fixed_size 0
		.amdhsa_kernarg_size 728
		.amdhsa_user_sgpr_count 6
		.amdhsa_user_sgpr_private_segment_buffer 1
		.amdhsa_user_sgpr_dispatch_ptr 0
		.amdhsa_user_sgpr_queue_ptr 0
		.amdhsa_user_sgpr_kernarg_segment_ptr 1
		.amdhsa_user_sgpr_dispatch_id 0
		.amdhsa_user_sgpr_flat_scratch_init 0
		.amdhsa_user_sgpr_kernarg_preload_length 0
		.amdhsa_user_sgpr_kernarg_preload_offset 0
		.amdhsa_user_sgpr_private_segment_size 0
		.amdhsa_uses_dynamic_stack 0
		.amdhsa_system_sgpr_private_segment_wavefront_offset 0
		.amdhsa_system_sgpr_workgroup_id_x 1
		.amdhsa_system_sgpr_workgroup_id_y 0
		.amdhsa_system_sgpr_workgroup_id_z 0
		.amdhsa_system_sgpr_workgroup_info 0
		.amdhsa_system_vgpr_workitem_id 0
		.amdhsa_next_free_vgpr 51
		.amdhsa_next_free_sgpr 61
		.amdhsa_accum_offset 52
		.amdhsa_reserve_vcc 1
		.amdhsa_reserve_flat_scratch 0
		.amdhsa_float_round_mode_32 0
		.amdhsa_float_round_mode_16_64 0
		.amdhsa_float_denorm_mode_32 3
		.amdhsa_float_denorm_mode_16_64 3
		.amdhsa_dx10_clamp 1
		.amdhsa_ieee_mode 1
		.amdhsa_fp16_overflow 0
		.amdhsa_tg_split 0
		.amdhsa_exception_fp_ieee_invalid_op 0
		.amdhsa_exception_fp_denorm_src 0
		.amdhsa_exception_fp_ieee_div_zero 0
		.amdhsa_exception_fp_ieee_overflow 0
		.amdhsa_exception_fp_ieee_underflow 0
		.amdhsa_exception_fp_ieee_inexact 0
		.amdhsa_exception_int_div_zero 0
	.end_amdhsa_kernel
	.section	.text._ZN2at4cuda12_GLOBAL__N_121kernelPointwiseApply2IZNS_6native9templates4cuda28bernoulli_tensor_cuda_kernelIN3c108BFloat16EfEEvRKNS_10TensorBaseESB_NS_15PhiloxCudaStateEEUliRS8_SD_SD_SD_RKfSF_SF_SF_E_S8_SE_jLi2ELin1ELi4ELi512ELi2EEEvNS0_6detail10TensorInfoIT0_T2_EENSI_IT1_SK_EESK_T_,"axG",@progbits,_ZN2at4cuda12_GLOBAL__N_121kernelPointwiseApply2IZNS_6native9templates4cuda28bernoulli_tensor_cuda_kernelIN3c108BFloat16EfEEvRKNS_10TensorBaseESB_NS_15PhiloxCudaStateEEUliRS8_SD_SD_SD_RKfSF_SF_SF_E_S8_SE_jLi2ELin1ELi4ELi512ELi2EEEvNS0_6detail10TensorInfoIT0_T2_EENSI_IT1_SK_EESK_T_,comdat
.Lfunc_end104:
	.size	_ZN2at4cuda12_GLOBAL__N_121kernelPointwiseApply2IZNS_6native9templates4cuda28bernoulli_tensor_cuda_kernelIN3c108BFloat16EfEEvRKNS_10TensorBaseESB_NS_15PhiloxCudaStateEEUliRS8_SD_SD_SD_RKfSF_SF_SF_E_S8_SE_jLi2ELin1ELi4ELi512ELi2EEEvNS0_6detail10TensorInfoIT0_T2_EENSI_IT1_SK_EESK_T_, .Lfunc_end104-_ZN2at4cuda12_GLOBAL__N_121kernelPointwiseApply2IZNS_6native9templates4cuda28bernoulli_tensor_cuda_kernelIN3c108BFloat16EfEEvRKNS_10TensorBaseESB_NS_15PhiloxCudaStateEEUliRS8_SD_SD_SD_RKfSF_SF_SF_E_S8_SE_jLi2ELin1ELi4ELi512ELi2EEEvNS0_6detail10TensorInfoIT0_T2_EENSI_IT1_SK_EESK_T_
                                        ; -- End function
	.section	.AMDGPU.csdata,"",@progbits
; Kernel info:
; codeLenInByte = 4052
; NumSgprs: 65
; NumVgprs: 51
; NumAgprs: 0
; TotalNumVgprs: 51
; ScratchSize: 0
; MemoryBound: 0
; FloatMode: 240
; IeeeMode: 1
; LDSByteSize: 0 bytes/workgroup (compile time only)
; SGPRBlocks: 8
; VGPRBlocks: 6
; NumSGPRsForWavesPerEU: 65
; NumVGPRsForWavesPerEU: 51
; AccumOffset: 52
; Occupancy: 8
; WaveLimiterHint : 1
; COMPUTE_PGM_RSRC2:SCRATCH_EN: 0
; COMPUTE_PGM_RSRC2:USER_SGPR: 6
; COMPUTE_PGM_RSRC2:TRAP_HANDLER: 0
; COMPUTE_PGM_RSRC2:TGID_X_EN: 1
; COMPUTE_PGM_RSRC2:TGID_Y_EN: 0
; COMPUTE_PGM_RSRC2:TGID_Z_EN: 0
; COMPUTE_PGM_RSRC2:TIDIG_COMP_CNT: 0
; COMPUTE_PGM_RSRC3_GFX90A:ACCUM_OFFSET: 12
; COMPUTE_PGM_RSRC3_GFX90A:TG_SPLIT: 0
	.section	.text._ZN2at4cuda12_GLOBAL__N_121kernelPointwiseApply2IZNS_6native9templates4cuda28bernoulli_tensor_cuda_kernelIN3c108BFloat16EfEEvRKNS_10TensorBaseESB_NS_15PhiloxCudaStateEEUliRS8_SD_SD_SD_RKfSF_SF_SF_E_S8_SE_jLin1ELi1ELi4ELi512ELi2EEEvNS0_6detail10TensorInfoIT0_T2_EENSI_IT1_SK_EESK_T_,"axG",@progbits,_ZN2at4cuda12_GLOBAL__N_121kernelPointwiseApply2IZNS_6native9templates4cuda28bernoulli_tensor_cuda_kernelIN3c108BFloat16EfEEvRKNS_10TensorBaseESB_NS_15PhiloxCudaStateEEUliRS8_SD_SD_SD_RKfSF_SF_SF_E_S8_SE_jLin1ELi1ELi4ELi512ELi2EEEvNS0_6detail10TensorInfoIT0_T2_EENSI_IT1_SK_EESK_T_,comdat
	.globl	_ZN2at4cuda12_GLOBAL__N_121kernelPointwiseApply2IZNS_6native9templates4cuda28bernoulli_tensor_cuda_kernelIN3c108BFloat16EfEEvRKNS_10TensorBaseESB_NS_15PhiloxCudaStateEEUliRS8_SD_SD_SD_RKfSF_SF_SF_E_S8_SE_jLin1ELi1ELi4ELi512ELi2EEEvNS0_6detail10TensorInfoIT0_T2_EENSI_IT1_SK_EESK_T_ ; -- Begin function _ZN2at4cuda12_GLOBAL__N_121kernelPointwiseApply2IZNS_6native9templates4cuda28bernoulli_tensor_cuda_kernelIN3c108BFloat16EfEEvRKNS_10TensorBaseESB_NS_15PhiloxCudaStateEEUliRS8_SD_SD_SD_RKfSF_SF_SF_E_S8_SE_jLin1ELi1ELi4ELi512ELi2EEEvNS0_6detail10TensorInfoIT0_T2_EENSI_IT1_SK_EESK_T_
	.p2align	8
	.type	_ZN2at4cuda12_GLOBAL__N_121kernelPointwiseApply2IZNS_6native9templates4cuda28bernoulli_tensor_cuda_kernelIN3c108BFloat16EfEEvRKNS_10TensorBaseESB_NS_15PhiloxCudaStateEEUliRS8_SD_SD_SD_RKfSF_SF_SF_E_S8_SE_jLin1ELi1ELi4ELi512ELi2EEEvNS0_6detail10TensorInfoIT0_T2_EENSI_IT1_SK_EESK_T_,@function
_ZN2at4cuda12_GLOBAL__N_121kernelPointwiseApply2IZNS_6native9templates4cuda28bernoulli_tensor_cuda_kernelIN3c108BFloat16EfEEvRKNS_10TensorBaseESB_NS_15PhiloxCudaStateEEUliRS8_SD_SD_SD_RKfSF_SF_SF_E_S8_SE_jLin1ELi1ELi4ELi512ELi2EEEvNS0_6detail10TensorInfoIT0_T2_EENSI_IT1_SK_EESK_T_: ; @_ZN2at4cuda12_GLOBAL__N_121kernelPointwiseApply2IZNS_6native9templates4cuda28bernoulli_tensor_cuda_kernelIN3c108BFloat16EfEEvRKNS_10TensorBaseESB_NS_15PhiloxCudaStateEEUliRS8_SD_SD_SD_RKfSF_SF_SF_E_S8_SE_jLin1ELi1ELi4ELi512ELi2EEEvNS0_6detail10TensorInfoIT0_T2_EENSI_IT1_SK_EESK_T_
; %bb.0:
	s_load_dword s2, s[4:5], 0x1e4
	s_load_dword s33, s[4:5], 0x1b0
	s_add_u32 s0, s4, 0x1d8
	s_addc_u32 s1, s5, 0
	s_waitcnt lgkmcnt(0)
	s_and_b32 s2, s2, 0xffff
	s_mul_i32 s6, s6, s2
	v_add_u32_e32 v5, s6, v0
	v_lshlrev_b32_e32 v30, 2, v5
	v_cmp_gt_u32_e32 vcc, s33, v30
	s_and_saveexec_b64 s[6:7], vcc
	s_cbranch_execz .LBB105_65
; %bb.1:
	s_load_dword s3, s[0:1], 0x0
	s_load_dword s54, s[4:5], 0x144
	s_load_dwordx4 s[12:15], s[4:5], 0x1b8
	s_load_dwordx2 s[10:11], s[4:5], 0xd8
	s_load_dword s6, s[4:5], 0xd0
	s_waitcnt lgkmcnt(0)
	s_mul_i32 s7, s3, s2
	s_load_dwordx2 s[16:17], s[4:5], 0x1c8
	s_load_dword s2, s[4:5], 0x1d0
	s_load_dword s55, s[4:5], 0x6c
	s_mov_b32 s56, 0xcd9e8d57
	s_load_dwordx2 s[20:21], s[4:5], 0x0
	s_cmp_gt_i32 s6, 1
	s_cselect_b64 s[0:1], -1, 0
	s_waitcnt lgkmcnt(0)
	s_bitcmp1_b32 s2, 0
	v_mad_u64_u32 v[0:1], s[2:3], v5, s56, 0
	s_cselect_b64 s[22:23], -1, 0
	s_add_i32 s2, s6, -1
	s_mov_b32 s3, 0
	s_lshl_b32 s57, s7, 2
	s_add_i32 s58, s6, 1
	s_lshl_b64 s[2:3], s[2:3], 2
	s_add_u32 s2, s2, s4
	s_addc_u32 s3, s3, s5
	v_mov_b32_e32 v4, v1
	s_add_u32 s24, s2, 8
	v_cndmask_b32_e64 v1, 0, 1, s[0:1]
	v_mov_b32_e32 v3, 0
	s_addc_u32 s25, s3, 0
	s_mov_b64 s[26:27], 0
	s_mov_b32 s59, 0xd2511f53
	v_cmp_ne_u32_e64 s[0:1], 1, v1
	s_mov_b32 s60, 0xf1bbcdc8
                                        ; implicit-def: $sgpr28_sgpr29
                                        ; implicit-def: $sgpr30_sgpr31
                                        ; implicit-def: $sgpr34_sgpr35
                                        ; implicit-def: $sgpr18_sgpr19
                                        ; implicit-def: $sgpr36_sgpr37
                                        ; implicit-def: $sgpr38_sgpr39
                                        ; implicit-def: $sgpr40_sgpr41
                                        ; implicit-def: $sgpr42_sgpr43
	s_branch .LBB105_3
.LBB105_2:                              ;   in Loop: Header=BB105_3 Depth=1
	s_or_b64 exec, exec, s[4:5]
	s_and_b64 s[2:3], exec, s[2:3]
	s_or_b64 s[26:27], s[2:3], s[26:27]
	s_andn2_b64 s[2:3], s[18:19], exec
	s_and_b64 s[4:5], s[42:43], exec
	s_or_b64 s[18:19], s[2:3], s[4:5]
	s_andn2_b64 s[2:3], s[34:35], exec
	s_and_b64 s[4:5], s[40:41], exec
	;; [unrolled: 3-line block ×4, first 2 shown]
	s_or_b64 s[28:29], s[2:3], s[4:5]
	s_andn2_b64 exec, exec, s[26:27]
	s_cbranch_execz .LBB105_61
.LBB105_3:                              ; =>This Loop Header: Depth=1
                                        ;     Child Loop BB105_6 Depth 2
                                        ;     Child Loop BB105_11 Depth 2
                                        ;     Child Loop BB105_16 Depth 2
                                        ;     Child Loop BB105_21 Depth 2
	v_sub_u32_e32 v1, s33, v30
	v_cmp_lt_i32_e64 s[2:3], 0, v1
	v_mov_b32_e32 v6, 0
	s_and_saveexec_b64 s[4:5], s[2:3]
	s_cbranch_execz .LBB105_8
; %bb.4:                                ;   in Loop: Header=BB105_3 Depth=1
	s_and_b64 vcc, exec, s[0:1]
	v_mov_b32_e32 v6, 0
	s_waitcnt vmcnt(3)
	v_mov_b32_e32 v2, v30
	s_cbranch_vccnz .LBB105_7
; %bb.5:                                ;   in Loop: Header=BB105_3 Depth=1
	v_mov_b32_e32 v6, 0
	s_mov_b64 s[6:7], s[24:25]
	s_mov_b32 s8, s58
	v_mov_b32_e32 v2, v30
.LBB105_6:                              ;   Parent Loop BB105_3 Depth=1
                                        ; =>  This Inner Loop Header: Depth=2
	s_load_dword s9, s[6:7], 0x0
	s_load_dword s44, s[6:7], 0x64
	s_waitcnt vmcnt(2)
	v_mov_b32_e32 v7, v2
	s_add_i32 s8, s8, -1
	s_waitcnt lgkmcnt(0)
	v_cvt_f32_u32_e32 v2, s9
	s_sub_i32 s45, 0, s9
	s_add_u32 s6, s6, -4
	s_addc_u32 s7, s7, -1
	v_rcp_iflag_f32_e32 v2, v2
	s_cmp_gt_u32 s8, 2
	v_mul_f32_e32 v2, 0x4f7ffffe, v2
	v_cvt_u32_f32_e32 v2, v2
	v_mul_lo_u32 v8, s45, v2
	v_mul_hi_u32 v8, v2, v8
	v_add_u32_e32 v2, v2, v8
	v_mul_hi_u32 v2, v7, v2
	v_mul_lo_u32 v8, v2, s9
	v_sub_u32_e32 v8, v7, v8
	v_add_u32_e32 v9, 1, v2
	v_cmp_le_u32_e32 vcc, s9, v8
	v_cndmask_b32_e32 v2, v2, v9, vcc
	v_subrev_u32_e32 v9, s9, v8
	v_cndmask_b32_e32 v8, v8, v9, vcc
	v_add_u32_e32 v9, 1, v2
	v_cmp_le_u32_e32 vcc, s9, v8
	v_cndmask_b32_e32 v2, v2, v9, vcc
	v_mul_lo_u32 v8, v2, s9
	v_sub_u32_e32 v7, v7, v8
	v_mad_u64_u32 v[6:7], s[44:45], s44, v7, v[6:7]
	s_cbranch_scc1 .LBB105_6
.LBB105_7:                              ;   in Loop: Header=BB105_3 Depth=1
	s_waitcnt vmcnt(2)
	v_mad_u64_u32 v[6:7], s[6:7], s55, v2, v[6:7]
.LBB105_8:                              ;   in Loop: Header=BB105_3 Depth=1
	s_or_b64 exec, exec, s[4:5]
	v_cmp_lt_i32_e64 s[4:5], 1, v1
	v_pk_mov_b32 v[8:9], 0, 0
	s_and_saveexec_b64 s[6:7], s[4:5]
	s_cbranch_execz .LBB105_13
; %bb.9:                                ;   in Loop: Header=BB105_3 Depth=1
	s_waitcnt vmcnt(3)
	v_or_b32_e32 v2, 1, v30
	s_and_b64 vcc, exec, s[0:1]
	v_mov_b32_e32 v8, 0
	s_cbranch_vccnz .LBB105_12
; %bb.10:                               ;   in Loop: Header=BB105_3 Depth=1
	v_mov_b32_e32 v8, 0
	s_mov_b64 s[8:9], s[24:25]
	s_mov_b32 s44, s58
.LBB105_11:                             ;   Parent Loop BB105_3 Depth=1
                                        ; =>  This Inner Loop Header: Depth=2
	s_load_dword s45, s[8:9], 0x0
	s_load_dword s46, s[8:9], 0x64
	s_waitcnt vmcnt(2)
	v_mov_b32_e32 v7, v2
	s_add_i32 s44, s44, -1
	s_waitcnt lgkmcnt(0)
	v_cvt_f32_u32_e32 v2, s45
	s_sub_i32 s47, 0, s45
	s_add_u32 s8, s8, -4
	s_addc_u32 s9, s9, -1
	v_rcp_iflag_f32_e32 v2, v2
	s_cmp_gt_u32 s44, 2
	v_mul_f32_e32 v2, 0x4f7ffffe, v2
	v_cvt_u32_f32_e32 v2, v2
	v_mul_lo_u32 v9, s47, v2
	v_mul_hi_u32 v9, v2, v9
	v_add_u32_e32 v2, v2, v9
	v_mul_hi_u32 v2, v7, v2
	v_mul_lo_u32 v9, v2, s45
	v_sub_u32_e32 v9, v7, v9
	v_add_u32_e32 v10, 1, v2
	v_cmp_le_u32_e32 vcc, s45, v9
	v_cndmask_b32_e32 v2, v2, v10, vcc
	v_subrev_u32_e32 v10, s45, v9
	v_cndmask_b32_e32 v9, v9, v10, vcc
	v_add_u32_e32 v10, 1, v2
	v_cmp_le_u32_e32 vcc, s45, v9
	v_cndmask_b32_e32 v2, v2, v10, vcc
	v_mul_lo_u32 v9, v2, s45
	v_sub_u32_e32 v7, v7, v9
	v_mad_u64_u32 v[8:9], s[46:47], s46, v7, v[8:9]
	s_cbranch_scc1 .LBB105_11
.LBB105_12:                             ;   in Loop: Header=BB105_3 Depth=1
	v_mad_u64_u32 v[8:9], s[8:9], s55, v2, v[8:9]
	v_mov_b32_e32 v9, v3
.LBB105_13:                             ;   in Loop: Header=BB105_3 Depth=1
	s_or_b64 exec, exec, s[6:7]
	v_cmp_lt_i32_e64 s[6:7], 2, v1
	v_pk_mov_b32 v[10:11], 0, 0
	s_and_saveexec_b64 s[8:9], s[6:7]
	s_cbranch_execz .LBB105_18
; %bb.14:                               ;   in Loop: Header=BB105_3 Depth=1
	s_waitcnt vmcnt(3)
	v_or_b32_e32 v2, 2, v30
	s_and_b64 vcc, exec, s[0:1]
	v_mov_b32_e32 v10, 0
	s_cbranch_vccnz .LBB105_17
; %bb.15:                               ;   in Loop: Header=BB105_3 Depth=1
	v_mov_b32_e32 v10, 0
	s_mov_b64 s[44:45], s[24:25]
	s_mov_b32 s46, s58
.LBB105_16:                             ;   Parent Loop BB105_3 Depth=1
                                        ; =>  This Inner Loop Header: Depth=2
	s_load_dword s47, s[44:45], 0x0
	s_load_dword s48, s[44:45], 0x64
	s_waitcnt vmcnt(2)
	v_mov_b32_e32 v7, v2
	s_add_i32 s46, s46, -1
	s_waitcnt lgkmcnt(0)
	v_cvt_f32_u32_e32 v2, s47
	s_sub_i32 s49, 0, s47
	s_add_u32 s44, s44, -4
	s_addc_u32 s45, s45, -1
	v_rcp_iflag_f32_e32 v2, v2
	s_cmp_gt_u32 s46, 2
	v_mul_f32_e32 v2, 0x4f7ffffe, v2
	v_cvt_u32_f32_e32 v2, v2
	v_mul_lo_u32 v11, s49, v2
	v_mul_hi_u32 v11, v2, v11
	v_add_u32_e32 v2, v2, v11
	v_mul_hi_u32 v2, v7, v2
	v_mul_lo_u32 v11, v2, s47
	v_sub_u32_e32 v11, v7, v11
	v_add_u32_e32 v12, 1, v2
	v_cmp_le_u32_e32 vcc, s47, v11
	v_cndmask_b32_e32 v2, v2, v12, vcc
	v_subrev_u32_e32 v12, s47, v11
	v_cndmask_b32_e32 v11, v11, v12, vcc
	v_add_u32_e32 v12, 1, v2
	v_cmp_le_u32_e32 vcc, s47, v11
	v_cndmask_b32_e32 v2, v2, v12, vcc
	v_mul_lo_u32 v11, v2, s47
	v_sub_u32_e32 v7, v7, v11
	v_mad_u64_u32 v[10:11], s[48:49], s48, v7, v[10:11]
	s_cbranch_scc1 .LBB105_16
.LBB105_17:                             ;   in Loop: Header=BB105_3 Depth=1
	v_mad_u64_u32 v[10:11], s[44:45], s55, v2, v[10:11]
	v_mov_b32_e32 v11, v3
.LBB105_18:                             ;   in Loop: Header=BB105_3 Depth=1
	s_or_b64 exec, exec, s[8:9]
	v_cmp_lt_i32_e64 s[8:9], 3, v1
	v_pk_mov_b32 v[14:15], 0, 0
	s_and_saveexec_b64 s[44:45], s[8:9]
	s_cbranch_execz .LBB105_23
; %bb.19:                               ;   in Loop: Header=BB105_3 Depth=1
	s_waitcnt vmcnt(3)
	v_or_b32_e32 v2, 3, v30
	s_and_b64 vcc, exec, s[0:1]
	v_mov_b32_e32 v12, 0
	s_cbranch_vccnz .LBB105_22
; %bb.20:                               ;   in Loop: Header=BB105_3 Depth=1
	v_mov_b32_e32 v12, 0
	s_mov_b64 s[46:47], s[24:25]
	s_mov_b32 s48, s58
.LBB105_21:                             ;   Parent Loop BB105_3 Depth=1
                                        ; =>  This Inner Loop Header: Depth=2
	s_load_dword s49, s[46:47], 0x0
	s_load_dword s50, s[46:47], 0x64
	s_waitcnt vmcnt(2)
	v_mov_b32_e32 v7, v2
	s_add_i32 s48, s48, -1
	s_waitcnt lgkmcnt(0)
	v_cvt_f32_u32_e32 v2, s49
	s_sub_i32 s51, 0, s49
	s_add_u32 s46, s46, -4
	s_addc_u32 s47, s47, -1
	v_rcp_iflag_f32_e32 v2, v2
	s_cmp_gt_u32 s48, 2
	v_mul_f32_e32 v2, 0x4f7ffffe, v2
	v_cvt_u32_f32_e32 v2, v2
	v_mul_lo_u32 v13, s51, v2
	v_mul_hi_u32 v13, v2, v13
	v_add_u32_e32 v2, v2, v13
	v_mul_hi_u32 v2, v7, v2
	v_mul_lo_u32 v13, v2, s49
	v_sub_u32_e32 v13, v7, v13
	v_add_u32_e32 v14, 1, v2
	v_cmp_le_u32_e32 vcc, s49, v13
	v_cndmask_b32_e32 v2, v2, v14, vcc
	v_subrev_u32_e32 v14, s49, v13
	v_cndmask_b32_e32 v13, v13, v14, vcc
	v_add_u32_e32 v14, 1, v2
	v_cmp_le_u32_e32 vcc, s49, v13
	v_cndmask_b32_e32 v2, v2, v14, vcc
	v_mul_lo_u32 v13, v2, s49
	v_sub_u32_e32 v7, v7, v13
	v_mad_u64_u32 v[12:13], s[50:51], s50, v7, v[12:13]
	s_cbranch_scc1 .LBB105_21
.LBB105_22:                             ;   in Loop: Header=BB105_3 Depth=1
	v_mad_u64_u32 v[14:15], s[46:47], s55, v2, v[12:13]
	v_mov_b32_e32 v15, v3
.LBB105_23:                             ;   in Loop: Header=BB105_3 Depth=1
	s_or_b64 exec, exec, s[44:45]
	s_waitcnt vmcnt(3)
	v_mul_lo_u32 v2, v30, s54
	s_waitcnt vmcnt(2)
	v_add_u32_e32 v7, s54, v2
	v_cndmask_b32_e64 v2, 0, v2, s[2:3]
	v_lshlrev_b64 v[12:13], 2, v[2:3]
	v_mov_b32_e32 v22, s11
	v_add_co_u32_e32 v12, vcc, s10, v12
	v_cndmask_b32_e64 v2, 0, v7, s[4:5]
	v_add_u32_e32 v18, s54, v7
	v_addc_co_u32_e32 v13, vcc, v22, v13, vcc
	v_lshlrev_b64 v[16:17], 2, v[2:3]
	v_add_co_u32_e32 v16, vcc, s10, v16
	v_cndmask_b32_e64 v2, 0, v18, s[6:7]
	v_add_u32_e32 v20, s54, v18
	v_addc_co_u32_e32 v17, vcc, v22, v17, vcc
	v_lshlrev_b64 v[18:19], 2, v[2:3]
	v_add_co_u32_e32 v18, vcc, s10, v18
	v_cndmask_b32_e64 v2, 0, v20, s[8:9]
	v_addc_co_u32_e32 v19, vcc, v22, v19, vcc
	v_lshlrev_b64 v[20:21], 2, v[2:3]
	v_add_co_u32_e32 v20, vcc, s10, v20
	v_addc_co_u32_e32 v21, vcc, v22, v21, vcc
	global_load_dword v2, v[12:13], off
	global_load_dword v7, v[16:17], off
	;; [unrolled: 1-line block ×4, first 2 shown]
	s_andn2_b64 vcc, exec, s[22:23]
	v_pk_mov_b32 v[12:13], s[14:15], s[14:15] op_sel:[0,1]
	v_pk_mov_b32 v[16:17], s[12:13], s[12:13] op_sel:[0,1]
	s_cbranch_vccnz .LBB105_25
; %bb.24:                               ;   in Loop: Header=BB105_3 Depth=1
	v_pk_mov_b32 v[12:13], s[14:15], s[14:15] op_sel:[0,1]
	flat_load_dwordx2 v[12:13], v[12:13]
	v_pk_mov_b32 v[16:17], s[12:13], s[12:13] op_sel:[0,1]
	flat_load_dwordx2 v[16:17], v[16:17]
	v_mov_b32_e32 v18, s17
	s_waitcnt vmcnt(0) lgkmcnt(0)
	v_add_co_u32_e32 v12, vcc, s16, v12
	v_addc_co_u32_e32 v13, vcc, v13, v18, vcc
.LBB105_25:                             ;   in Loop: Header=BB105_3 Depth=1
	v_alignbit_b32 v26, v13, v12, 2
	v_lshrrev_b32_e32 v27, 2, v13
	v_xor_b32_e32 v18, v4, v16
	v_and_b32_e32 v33, 3, v12
	v_mad_u64_u32 v[12:13], s[2:3], v26, s59, 0
	v_xor_b32_e32 v18, v18, v27
	v_xor_b32_e32 v13, v13, v17
	v_add_u32_e32 v38, 0xbb67ae85, v17
	v_mad_u64_u32 v[18:19], s[2:3], v18, s59, 0
	v_mad_u64_u32 v[20:21], s[2:3], v13, s56, 0
	v_xor_b32_e32 v19, v38, v19
	v_add_u32_e32 v37, 0x9e3779b9, v16
	v_xor_b32_e32 v13, v0, v21
	v_xor_b32_e32 v19, v19, v12
	v_xor_b32_e32 v13, v13, v37
	v_add_u32_e32 v39, 0x3c6ef372, v16
	v_mad_u64_u32 v[22:23], s[2:3], v19, s56, 0
	v_add_u32_e32 v40, 0x76cf5d0a, v17
	v_mad_u64_u32 v[12:13], s[2:3], v13, s59, 0
	v_xor_b32_e32 v19, v39, v23
	v_xor_b32_e32 v19, v19, v20
	v_xor_b32_e32 v13, v40, v13
	v_xor_b32_e32 v13, v13, v18
	v_add_u32_e32 v42, 0x32370b8f, v17
	v_mad_u64_u32 v[18:19], s[2:3], v19, s59, 0
	v_add_u32_e32 v41, 0xdaa66d2b, v16
	v_mad_u64_u32 v[20:21], s[2:3], v13, s56, 0
	v_xor_b32_e32 v19, v42, v19
	;; [unrolled: 8-line block ×5, first 2 shown]
	v_xor_b32_e32 v19, v19, v20
	v_xor_b32_e32 v13, v48, v13
	;; [unrolled: 1-line block ×3, first 2 shown]
	v_add_u32_e32 v50, 0x1fd5c5a3, v17
	v_mad_u64_u32 v[18:19], s[2:3], v19, s59, 0
	v_xor_b32_e32 v19, v50, v19
	v_xor_b32_e32 v12, v19, v12
	v_add_u32_e32 v49, 0x5384540f, v16
	v_mad_u64_u32 v[24:25], s[2:3], v13, s56, 0
	v_add_co_u32_e32 v35, vcc, s60, v16
	v_mad_u64_u32 v[20:21], s[2:3], v12, s56, 0
	v_xor_b32_e32 v13, v49, v25
	v_xor_b32_e32 v12, v35, v21
	;; [unrolled: 1-line block ×4, first 2 shown]
	v_mad_u64_u32 v[22:23], s[2:3], v13, s59, 0
	v_mad_u64_u32 v[12:13], s[2:3], v12, s59, 0
	v_add_u32_e32 v36, 0x96a522ad, v17
	v_xor_b32_e32 v13, v13, v22
	v_xor_b32_e32 v34, v36, v13
	v_add_co_u32_e32 v13, vcc, 1, v26
	v_cndmask_b32_e64 v22, 0, 1, vcc
	v_addc_co_u32_e32 v28, vcc, 0, v27, vcc
	v_cmp_eq_u32_e32 vcc, 0, v28
	v_cndmask_b32_e32 v22, 0, v22, vcc
	v_add_u32_e32 v26, v22, v5
	v_cmp_eq_u32_e32 vcc, 0, v26
	v_mad_u64_u32 v[24:25], s[2:3], v13, s59, 0
	v_mad_u64_u32 v[26:27], s[2:3], v26, s56, 0
	v_add_u32_e32 v21, 0x8ff34781, v16
	v_cndmask_b32_e32 v22, 0, v22, vcc
	v_xor_b32_e32 v13, v27, v16
	v_xor_b32_e32 v16, v25, v17
	;; [unrolled: 1-line block ×4, first 2 shown]
	v_mad_u64_u32 v[28:29], s[2:3], v22, s56, 0
	v_add_u32_e32 v19, 0xdb3d7428, v17
	v_mad_u64_u32 v[16:17], s[2:3], v13, s59, 0
	v_xor_b32_e32 v13, v37, v29
	v_xor_b32_e32 v13, v13, v26
	v_xor_b32_e32 v17, v38, v17
	v_xor_b32_e32 v17, v17, v24
	v_mad_u64_u32 v[24:25], s[2:3], v13, s59, 0
	v_mad_u64_u32 v[26:27], s[2:3], v17, s56, 0
	v_xor_b32_e32 v17, v40, v25
	v_xor_b32_e32 v13, v39, v27
	v_xor_b32_e32 v22, v17, v16
	v_xor_b32_e32 v13, v13, v28
	v_mad_u64_u32 v[28:29], s[2:3], v22, s56, 0
	;; [unrolled: 6-line block ×7, first 2 shown]
	v_xor_b32_e32 v13, v19, v27
	v_xor_b32_e32 v13, v13, v16
	v_mad_u64_u32 v[28:29], s[2:3], v17, s56, 0
	v_mad_u64_u32 v[16:17], s[2:3], v13, s56, 0
	v_xor_b32_e32 v13, v17, v28
	v_xor_b32_e32 v13, v21, v13
	v_cmp_lt_i32_e32 vcc, 1, v33
                                        ; implicit-def: $vgpr17
	s_and_saveexec_b64 s[2:3], vcc
	s_xor_b64 s[2:3], exec, s[2:3]
	s_cbranch_execz .LBB105_31
; %bb.26:                               ;   in Loop: Header=BB105_3 Depth=1
	v_cmp_lt_i32_e32 vcc, 2, v33
                                        ; implicit-def: $vgpr17
	s_and_saveexec_b64 s[4:5], vcc
	s_xor_b64 s[4:5], exec, s[4:5]
; %bb.27:                               ;   in Loop: Header=BB105_3 Depth=1
	v_xor_b32_e32 v17, v35, v29
	v_xor_b32_e32 v17, v17, v24
	v_mul_hi_u32 v17, v17, s59
	v_xor_b32_e32 v17, v17, v26
	v_xor_b32_e32 v17, v36, v17
                                        ; implicit-def: $vgpr34
; %bb.28:                               ;   in Loop: Header=BB105_3 Depth=1
	s_andn2_saveexec_b64 s[4:5], s[4:5]
; %bb.29:                               ;   in Loop: Header=BB105_3 Depth=1
	v_mov_b32_e32 v17, v16
	v_mov_b32_e32 v16, v13
	;; [unrolled: 1-line block ×4, first 2 shown]
; %bb.30:                               ;   in Loop: Header=BB105_3 Depth=1
	s_or_b64 exec, exec, s[4:5]
                                        ; implicit-def: $vgpr18_vgpr19
                                        ; implicit-def: $vgpr20_vgpr21
                                        ; implicit-def: $vgpr33
                                        ; implicit-def: $vgpr34
                                        ; implicit-def: $vgpr22_vgpr23
                                        ; implicit-def: $vgpr19
                                        ; implicit-def: $vgpr21
.LBB105_31:                             ;   in Loop: Header=BB105_3 Depth=1
	s_andn2_saveexec_b64 s[2:3], s[2:3]
	s_cbranch_execz .LBB105_35
; %bb.32:                               ;   in Loop: Header=BB105_3 Depth=1
	v_xor_b32_e32 v16, v19, v23
	v_xor_b32_e32 v16, v16, v18
	v_mad_u64_u32 v[18:19], s[4:5], v16, s56, 0
	v_xor_b32_e32 v16, v19, v20
	v_xor_b32_e32 v19, v21, v16
	v_cmp_eq_u32_e32 vcc, 1, v33
	v_mov_b32_e32 v17, v12
	v_mov_b32_e32 v16, v34
	v_mov_b32_e32 v20, v18
	s_and_saveexec_b64 s[4:5], vcc
; %bb.33:                               ;   in Loop: Header=BB105_3 Depth=1
	v_mov_b32_e32 v17, v13
	v_mov_b32_e32 v16, v12
	;; [unrolled: 1-line block ×4, first 2 shown]
; %bb.34:                               ;   in Loop: Header=BB105_3 Depth=1
	s_or_b64 exec, exec, s[4:5]
	v_mov_b32_e32 v12, v19
	v_mov_b32_e32 v13, v20
.LBB105_35:                             ;   in Loop: Header=BB105_3 Depth=1
	s_or_b64 exec, exec, s[2:3]
	v_min_i32_e32 v1, 4, v1
	v_cmp_lt_i32_e32 vcc, 2, v1
	s_mov_b64 s[4:5], 0
	s_mov_b64 s[50:51], 0
	;; [unrolled: 1-line block ×3, first 2 shown]
                                        ; implicit-def: $sgpr8_sgpr9
                                        ; implicit-def: $sgpr44_sgpr45
                                        ; implicit-def: $sgpr46_sgpr47
	s_and_saveexec_b64 s[2:3], vcc
	s_xor_b64 s[48:49], exec, s[2:3]
	s_cbranch_execz .LBB105_47
; %bb.36:                               ;   in Loop: Header=BB105_3 Depth=1
	v_cmp_lt_i32_e32 vcc, 3, v1
	s_mov_b64 s[2:3], -1
	s_mov_b64 s[52:53], 0
                                        ; implicit-def: $sgpr6_sgpr7
                                        ; implicit-def: $sgpr8_sgpr9
	s_and_saveexec_b64 s[44:45], vcc
	s_cbranch_execz .LBB105_42
; %bb.37:                               ;   in Loop: Header=BB105_3 Depth=1
	v_cmp_eq_u32_e32 vcc, 4, v1
	s_mov_b64 s[2:3], 0
	s_mov_b64 s[52:53], -1
                                        ; implicit-def: $sgpr6_sgpr7
                                        ; implicit-def: $sgpr8_sgpr9
	s_and_saveexec_b64 s[46:47], vcc
	s_cbranch_execz .LBB105_41
; %bb.38:                               ;   in Loop: Header=BB105_3 Depth=1
	s_waitcnt vmcnt(0)
	v_cmp_le_f32_e32 vcc, 0, v32
	v_cmp_ge_f32_e64 s[2:3], 1.0, v32
	s_and_b64 s[52:53], vcc, s[2:3]
	s_mov_b64 s[6:7], 0
	s_mov_b64 s[2:3], 0
	s_and_saveexec_b64 s[8:9], s[52:53]
	s_cbranch_execz .LBB105_40
; %bb.39:                               ;   in Loop: Header=BB105_3 Depth=1
	v_cvt_f32_u32_e32 v17, v17
	v_mov_b32_e32 v18, 0x2f800000
	v_lshlrev_b64 v[14:15], 1, v[14:15]
	v_add_co_u32_e32 v14, vcc, s20, v14
	v_fmac_f32_e32 v18, 0x2f800000, v17
	v_mov_b32_e32 v17, s21
	v_addc_co_u32_e32 v15, vcc, v17, v15, vcc
	v_cmp_le_f32_e32 vcc, v18, v32
	s_mov_b64 s[2:3], exec
	v_cndmask_b32_e64 v17, 0, 1.0, vcc
	global_store_short_d16_hi v[14:15], v17, off
.LBB105_40:                             ;   in Loop: Header=BB105_3 Depth=1
	s_or_b64 exec, exec, s[8:9]
	s_mov_b64 s[8:9], -1
	s_xor_b64 s[52:53], exec, -1
	s_and_b64 s[2:3], s[2:3], exec
.LBB105_41:                             ;   in Loop: Header=BB105_3 Depth=1
	s_or_b64 exec, exec, s[46:47]
	s_and_b64 s[52:53], s[52:53], exec
	s_orn2_b64 s[2:3], s[2:3], exec
.LBB105_42:                             ;   in Loop: Header=BB105_3 Depth=1
	s_or_b64 exec, exec, s[44:45]
	s_mov_b64 s[46:47], s[6:7]
	s_and_saveexec_b64 s[44:45], s[2:3]
	s_cbranch_execz .LBB105_46
; %bb.43:                               ;   in Loop: Header=BB105_3 Depth=1
	s_waitcnt vmcnt(1)
	v_cmp_le_f32_e32 vcc, 0, v31
	v_cmp_ge_f32_e64 s[2:3], 1.0, v31
	s_and_b64 s[46:47], vcc, s[2:3]
	s_mov_b64 s[2:3], 0
	s_and_saveexec_b64 s[50:51], s[46:47]
	s_xor_b64 s[46:47], exec, s[50:51]
	s_cbranch_execz .LBB105_45
; %bb.44:                               ;   in Loop: Header=BB105_3 Depth=1
	v_cvt_f32_u32_e32 v14, v16
	v_mov_b32_e32 v15, 0x2f800000
	v_lshlrev_b64 v[10:11], 1, v[10:11]
	v_add_co_u32_e32 v10, vcc, s20, v10
	v_fmac_f32_e32 v15, 0x2f800000, v14
	v_mov_b32_e32 v14, s21
	v_addc_co_u32_e32 v11, vcc, v14, v11, vcc
	v_cmp_le_f32_e32 vcc, v15, v31
	v_cndmask_b32_e64 v14, 0, 1.0, vcc
	s_mov_b64 s[2:3], exec
	global_store_short_d16_hi v[10:11], v14, off
.LBB105_45:                             ;   in Loop: Header=BB105_3 Depth=1
	s_or_b64 exec, exec, s[46:47]
	s_andn2_b64 s[46:47], s[6:7], exec
	s_or_b64 s[6:7], s[6:7], exec
	s_andn2_b64 s[8:9], s[8:9], exec
	s_and_b64 s[50:51], s[2:3], exec
.LBB105_46:                             ;   in Loop: Header=BB105_3 Depth=1
	s_or_b64 exec, exec, s[44:45]
	s_and_b64 s[46:47], s[46:47], exec
	s_and_b64 s[44:45], s[6:7], exec
	;; [unrolled: 1-line block ×5, first 2 shown]
.LBB105_47:                             ;   in Loop: Header=BB105_3 Depth=1
	s_andn2_saveexec_b64 s[2:3], s[48:49]
; %bb.48:                               ;   in Loop: Header=BB105_3 Depth=1
	v_cmp_lt_i32_e32 vcc, 1, v1
	s_andn2_b64 s[48:49], s[50:51], exec
	s_and_b64 s[50:51], vcc, exec
	s_mov_b64 s[4:5], exec
	s_andn2_b64 s[46:47], s[46:47], exec
	s_andn2_b64 s[44:45], s[44:45], exec
	;; [unrolled: 1-line block ×3, first 2 shown]
	s_or_b64 s[50:51], s[48:49], s[50:51]
; %bb.49:                               ;   in Loop: Header=BB105_3 Depth=1
	s_or_b64 exec, exec, s[2:3]
	s_mov_b64 s[2:3], 0
	s_mov_b64 s[48:49], s[46:47]
	s_and_saveexec_b64 s[52:53], s[50:51]
	s_cbranch_execnz .LBB105_52
; %bb.50:                               ;   in Loop: Header=BB105_3 Depth=1
	s_or_b64 exec, exec, s[52:53]
	s_and_saveexec_b64 s[50:51], s[4:5]
	s_cbranch_execnz .LBB105_55
.LBB105_51:                             ;   in Loop: Header=BB105_3 Depth=1
	s_or_b64 exec, exec, s[50:51]
	s_and_saveexec_b64 s[4:5], s[2:3]
	s_cbranch_execnz .LBB105_56
	s_branch .LBB105_59
.LBB105_52:                             ;   in Loop: Header=BB105_3 Depth=1
	s_waitcnt vmcnt(2)
	v_cmp_le_f32_e32 vcc, 0, v7
	v_cmp_ge_f32_e64 s[2:3], 1.0, v7
	s_and_b64 s[48:49], vcc, s[2:3]
	s_mov_b64 s[2:3], 0
	s_and_saveexec_b64 s[50:51], s[48:49]
	s_xor_b64 s[48:49], exec, s[50:51]
	s_cbranch_execz .LBB105_54
; %bb.53:                               ;   in Loop: Header=BB105_3 Depth=1
	v_cvt_f32_u32_e32 v10, v13
	v_mov_b32_e32 v11, 0x2f800000
	v_lshlrev_b64 v[8:9], 1, v[8:9]
	v_add_co_u32_e32 v8, vcc, s20, v8
	v_fmac_f32_e32 v11, 0x2f800000, v10
	v_mov_b32_e32 v10, s21
	v_addc_co_u32_e32 v9, vcc, v10, v9, vcc
	v_cmp_le_f32_e32 vcc, v11, v7
	v_cndmask_b32_e64 v7, 0, 1.0, vcc
	s_mov_b64 s[2:3], exec
	global_store_short_d16_hi v[8:9], v7, off
.LBB105_54:                             ;   in Loop: Header=BB105_3 Depth=1
	s_or_b64 exec, exec, s[48:49]
	s_andn2_b64 s[48:49], s[46:47], exec
	s_or_b64 s[46:47], s[46:47], exec
	s_andn2_b64 s[44:45], s[44:45], exec
	s_andn2_b64 s[8:9], s[8:9], exec
	s_and_b64 s[2:3], s[2:3], exec
	s_andn2_b64 s[4:5], s[4:5], exec
	s_or_b64 exec, exec, s[52:53]
	s_and_saveexec_b64 s[50:51], s[4:5]
	s_cbranch_execz .LBB105_51
.LBB105_55:                             ;   in Loop: Header=BB105_3 Depth=1
	v_cmp_eq_u32_e32 vcc, 1, v1
	s_andn2_b64 s[2:3], s[2:3], exec
	s_and_b64 s[4:5], vcc, exec
	s_andn2_b64 s[48:49], s[48:49], exec
	s_andn2_b64 s[46:47], s[46:47], exec
	;; [unrolled: 1-line block ×4, first 2 shown]
	s_or_b64 s[6:7], s[6:7], exec
	s_or_b64 s[2:3], s[2:3], s[4:5]
	s_or_b64 exec, exec, s[50:51]
	s_and_saveexec_b64 s[4:5], s[2:3]
	s_cbranch_execz .LBB105_59
.LBB105_56:                             ;   in Loop: Header=BB105_3 Depth=1
	s_waitcnt vmcnt(3)
	v_cmp_le_f32_e32 vcc, 0, v2
	v_cmp_ge_f32_e64 s[2:3], 1.0, v2
	s_and_b64 s[52:53], vcc, s[2:3]
	s_mov_b64 s[2:3], 0
	s_and_saveexec_b64 s[50:51], s[52:53]
	s_cbranch_execz .LBB105_58
; %bb.57:                               ;   in Loop: Header=BB105_3 Depth=1
	v_cvt_f32_u32_e32 v1, v12
	s_waitcnt vmcnt(2)
	v_mov_b32_e32 v7, v3
	v_mov_b32_e32 v8, 0x2f800000
	v_lshlrev_b64 v[6:7], 1, v[6:7]
	v_fmac_f32_e32 v8, 0x2f800000, v1
	v_mov_b32_e32 v1, s21
	v_add_co_u32_e32 v6, vcc, s20, v6
	v_addc_co_u32_e32 v7, vcc, v1, v7, vcc
	v_cmp_le_f32_e32 vcc, v8, v2
	s_mov_b64 s[2:3], exec
	v_cndmask_b32_e64 v1, 0, 1.0, vcc
	global_store_short_d16_hi v[6:7], v1, off
.LBB105_58:                             ;   in Loop: Header=BB105_3 Depth=1
	s_or_b64 exec, exec, s[50:51]
	s_andn2_b64 s[6:7], s[6:7], exec
	s_and_b64 s[2:3], s[2:3], exec
	s_or_b64 s[48:49], s[48:49], exec
	s_andn2_b64 s[46:47], s[46:47], exec
	s_andn2_b64 s[44:45], s[44:45], exec
	;; [unrolled: 1-line block ×3, first 2 shown]
	s_or_b64 s[6:7], s[6:7], s[2:3]
.LBB105_59:                             ;   in Loop: Header=BB105_3 Depth=1
	s_or_b64 exec, exec, s[4:5]
	s_andn2_b64 s[4:5], s[42:43], exec
	s_and_b64 s[42:43], s[48:49], exec
	s_or_b64 s[42:43], s[4:5], s[42:43]
	s_andn2_b64 s[4:5], s[40:41], exec
	s_and_b64 s[40:41], s[46:47], exec
	s_or_b64 s[40:41], s[4:5], s[40:41]
	;; [unrolled: 3-line block ×3, first 2 shown]
	s_andn2_b64 s[4:5], s[36:37], exec
	s_and_b64 s[8:9], s[8:9], exec
	s_mov_b64 s[2:3], -1
	s_or_b64 s[36:37], s[4:5], s[8:9]
	s_and_saveexec_b64 s[4:5], s[6:7]
	s_cbranch_execz .LBB105_2
; %bb.60:                               ;   in Loop: Header=BB105_3 Depth=1
	v_add_u32_e32 v30, s57, v30
	v_cmp_le_u32_e32 vcc, s33, v30
	s_andn2_b64 s[42:43], s[42:43], exec
	s_andn2_b64 s[40:41], s[40:41], exec
	;; [unrolled: 1-line block ×4, first 2 shown]
	s_orn2_b64 s[2:3], vcc, exec
	s_branch .LBB105_2
.LBB105_61:
	s_or_b64 exec, exec, s[26:27]
	s_xor_b64 s[6:7], s[34:35], -1
	s_xor_b64 s[8:9], s[30:31], -1
	;; [unrolled: 1-line block ×3, first 2 shown]
	s_mov_b64 s[2:3], 0
	s_and_saveexec_b64 s[4:5], s[0:1]
	s_xor_b64 s[0:1], exec, s[4:5]
	s_cbranch_execnz .LBB105_66
; %bb.62:
	s_andn2_saveexec_b64 s[0:1], s[0:1]
	s_cbranch_execnz .LBB105_74
.LBB105_63:
	s_or_b64 exec, exec, s[0:1]
	s_and_b64 exec, exec, s[2:3]
.LBB105_64:
	; divergent unreachable
.LBB105_65:
	s_endpgm
.LBB105_66:
	s_mov_b64 s[4:5], 0
	s_and_saveexec_b64 s[2:3], s[8:9]
	s_xor_b64 s[2:3], exec, s[2:3]
	s_cbranch_execz .LBB105_72
; %bb.67:
	s_and_saveexec_b64 s[8:9], s[6:7]
	s_xor_b64 s[6:7], exec, s[8:9]
	s_cbranch_execz .LBB105_70
; %bb.68:
	s_and_saveexec_b64 s[8:9], s[18:19]
	s_xor_b64 s[8:9], exec, s[8:9]
	s_cbranch_execnz .LBB105_77
.LBB105_69:
	s_or_b64 exec, exec, s[8:9]
	s_and_b64 s[4:5], s[4:5], exec
.LBB105_70:
	s_andn2_saveexec_b64 s[6:7], s[6:7]
	s_cbranch_execnz .LBB105_76
.LBB105_71:
	s_or_b64 exec, exec, s[6:7]
	s_and_b64 s[4:5], s[4:5], exec
.LBB105_72:
	s_andn2_saveexec_b64 s[2:3], s[2:3]
	s_cbranch_execnz .LBB105_75
.LBB105_73:
	s_or_b64 exec, exec, s[2:3]
	s_and_b64 s[2:3], s[4:5], exec
	s_andn2_saveexec_b64 s[0:1], s[0:1]
	s_cbranch_execz .LBB105_63
.LBB105_74:
	s_or_b64 s[2:3], s[2:3], exec
	s_trap 2
	s_or_b64 exec, exec, s[0:1]
	s_and_b64 exec, exec, s[2:3]
	s_cbranch_execnz .LBB105_64
	s_branch .LBB105_65
.LBB105_75:
	s_or_b64 s[4:5], s[4:5], exec
	s_trap 2
	s_branch .LBB105_73
.LBB105_76:
	s_trap 2
	s_or_b64 s[4:5], s[4:5], exec
	s_branch .LBB105_71
.LBB105_77:
	s_mov_b64 s[4:5], exec
	s_trap 2
	s_branch .LBB105_69
	.section	.rodata,"a",@progbits
	.p2align	6, 0x0
	.amdhsa_kernel _ZN2at4cuda12_GLOBAL__N_121kernelPointwiseApply2IZNS_6native9templates4cuda28bernoulli_tensor_cuda_kernelIN3c108BFloat16EfEEvRKNS_10TensorBaseESB_NS_15PhiloxCudaStateEEUliRS8_SD_SD_SD_RKfSF_SF_SF_E_S8_SE_jLin1ELi1ELi4ELi512ELi2EEEvNS0_6detail10TensorInfoIT0_T2_EENSI_IT1_SK_EESK_T_
		.amdhsa_group_segment_fixed_size 0
		.amdhsa_private_segment_fixed_size 0
		.amdhsa_kernarg_size 728
		.amdhsa_user_sgpr_count 6
		.amdhsa_user_sgpr_private_segment_buffer 1
		.amdhsa_user_sgpr_dispatch_ptr 0
		.amdhsa_user_sgpr_queue_ptr 0
		.amdhsa_user_sgpr_kernarg_segment_ptr 1
		.amdhsa_user_sgpr_dispatch_id 0
		.amdhsa_user_sgpr_flat_scratch_init 0
		.amdhsa_user_sgpr_kernarg_preload_length 0
		.amdhsa_user_sgpr_kernarg_preload_offset 0
		.amdhsa_user_sgpr_private_segment_size 0
		.amdhsa_uses_dynamic_stack 0
		.amdhsa_system_sgpr_private_segment_wavefront_offset 0
		.amdhsa_system_sgpr_workgroup_id_x 1
		.amdhsa_system_sgpr_workgroup_id_y 0
		.amdhsa_system_sgpr_workgroup_id_z 0
		.amdhsa_system_sgpr_workgroup_info 0
		.amdhsa_system_vgpr_workitem_id 0
		.amdhsa_next_free_vgpr 51
		.amdhsa_next_free_sgpr 61
		.amdhsa_accum_offset 52
		.amdhsa_reserve_vcc 1
		.amdhsa_reserve_flat_scratch 0
		.amdhsa_float_round_mode_32 0
		.amdhsa_float_round_mode_16_64 0
		.amdhsa_float_denorm_mode_32 3
		.amdhsa_float_denorm_mode_16_64 3
		.amdhsa_dx10_clamp 1
		.amdhsa_ieee_mode 1
		.amdhsa_fp16_overflow 0
		.amdhsa_tg_split 0
		.amdhsa_exception_fp_ieee_invalid_op 0
		.amdhsa_exception_fp_denorm_src 0
		.amdhsa_exception_fp_ieee_div_zero 0
		.amdhsa_exception_fp_ieee_overflow 0
		.amdhsa_exception_fp_ieee_underflow 0
		.amdhsa_exception_fp_ieee_inexact 0
		.amdhsa_exception_int_div_zero 0
	.end_amdhsa_kernel
	.section	.text._ZN2at4cuda12_GLOBAL__N_121kernelPointwiseApply2IZNS_6native9templates4cuda28bernoulli_tensor_cuda_kernelIN3c108BFloat16EfEEvRKNS_10TensorBaseESB_NS_15PhiloxCudaStateEEUliRS8_SD_SD_SD_RKfSF_SF_SF_E_S8_SE_jLin1ELi1ELi4ELi512ELi2EEEvNS0_6detail10TensorInfoIT0_T2_EENSI_IT1_SK_EESK_T_,"axG",@progbits,_ZN2at4cuda12_GLOBAL__N_121kernelPointwiseApply2IZNS_6native9templates4cuda28bernoulli_tensor_cuda_kernelIN3c108BFloat16EfEEvRKNS_10TensorBaseESB_NS_15PhiloxCudaStateEEUliRS8_SD_SD_SD_RKfSF_SF_SF_E_S8_SE_jLin1ELi1ELi4ELi512ELi2EEEvNS0_6detail10TensorInfoIT0_T2_EENSI_IT1_SK_EESK_T_,comdat
.Lfunc_end105:
	.size	_ZN2at4cuda12_GLOBAL__N_121kernelPointwiseApply2IZNS_6native9templates4cuda28bernoulli_tensor_cuda_kernelIN3c108BFloat16EfEEvRKNS_10TensorBaseESB_NS_15PhiloxCudaStateEEUliRS8_SD_SD_SD_RKfSF_SF_SF_E_S8_SE_jLin1ELi1ELi4ELi512ELi2EEEvNS0_6detail10TensorInfoIT0_T2_EENSI_IT1_SK_EESK_T_, .Lfunc_end105-_ZN2at4cuda12_GLOBAL__N_121kernelPointwiseApply2IZNS_6native9templates4cuda28bernoulli_tensor_cuda_kernelIN3c108BFloat16EfEEvRKNS_10TensorBaseESB_NS_15PhiloxCudaStateEEUliRS8_SD_SD_SD_RKfSF_SF_SF_E_S8_SE_jLin1ELi1ELi4ELi512ELi2EEEvNS0_6detail10TensorInfoIT0_T2_EENSI_IT1_SK_EESK_T_
                                        ; -- End function
	.section	.AMDGPU.csdata,"",@progbits
; Kernel info:
; codeLenInByte = 3508
; NumSgprs: 65
; NumVgprs: 51
; NumAgprs: 0
; TotalNumVgprs: 51
; ScratchSize: 0
; MemoryBound: 0
; FloatMode: 240
; IeeeMode: 1
; LDSByteSize: 0 bytes/workgroup (compile time only)
; SGPRBlocks: 8
; VGPRBlocks: 6
; NumSGPRsForWavesPerEU: 65
; NumVGPRsForWavesPerEU: 51
; AccumOffset: 52
; Occupancy: 8
; WaveLimiterHint : 1
; COMPUTE_PGM_RSRC2:SCRATCH_EN: 0
; COMPUTE_PGM_RSRC2:USER_SGPR: 6
; COMPUTE_PGM_RSRC2:TRAP_HANDLER: 0
; COMPUTE_PGM_RSRC2:TGID_X_EN: 1
; COMPUTE_PGM_RSRC2:TGID_Y_EN: 0
; COMPUTE_PGM_RSRC2:TGID_Z_EN: 0
; COMPUTE_PGM_RSRC2:TIDIG_COMP_CNT: 0
; COMPUTE_PGM_RSRC3_GFX90A:ACCUM_OFFSET: 12
; COMPUTE_PGM_RSRC3_GFX90A:TG_SPLIT: 0
	.section	.text._ZN2at4cuda12_GLOBAL__N_121kernelPointwiseApply2IZNS_6native9templates4cuda28bernoulli_tensor_cuda_kernelIN3c108BFloat16EfEEvRKNS_10TensorBaseESB_NS_15PhiloxCudaStateEEUliRS8_SD_SD_SD_RKfSF_SF_SF_E_S8_SE_jLin1ELi2ELi4ELi512ELi2EEEvNS0_6detail10TensorInfoIT0_T2_EENSI_IT1_SK_EESK_T_,"axG",@progbits,_ZN2at4cuda12_GLOBAL__N_121kernelPointwiseApply2IZNS_6native9templates4cuda28bernoulli_tensor_cuda_kernelIN3c108BFloat16EfEEvRKNS_10TensorBaseESB_NS_15PhiloxCudaStateEEUliRS8_SD_SD_SD_RKfSF_SF_SF_E_S8_SE_jLin1ELi2ELi4ELi512ELi2EEEvNS0_6detail10TensorInfoIT0_T2_EENSI_IT1_SK_EESK_T_,comdat
	.globl	_ZN2at4cuda12_GLOBAL__N_121kernelPointwiseApply2IZNS_6native9templates4cuda28bernoulli_tensor_cuda_kernelIN3c108BFloat16EfEEvRKNS_10TensorBaseESB_NS_15PhiloxCudaStateEEUliRS8_SD_SD_SD_RKfSF_SF_SF_E_S8_SE_jLin1ELi2ELi4ELi512ELi2EEEvNS0_6detail10TensorInfoIT0_T2_EENSI_IT1_SK_EESK_T_ ; -- Begin function _ZN2at4cuda12_GLOBAL__N_121kernelPointwiseApply2IZNS_6native9templates4cuda28bernoulli_tensor_cuda_kernelIN3c108BFloat16EfEEvRKNS_10TensorBaseESB_NS_15PhiloxCudaStateEEUliRS8_SD_SD_SD_RKfSF_SF_SF_E_S8_SE_jLin1ELi2ELi4ELi512ELi2EEEvNS0_6detail10TensorInfoIT0_T2_EENSI_IT1_SK_EESK_T_
	.p2align	8
	.type	_ZN2at4cuda12_GLOBAL__N_121kernelPointwiseApply2IZNS_6native9templates4cuda28bernoulli_tensor_cuda_kernelIN3c108BFloat16EfEEvRKNS_10TensorBaseESB_NS_15PhiloxCudaStateEEUliRS8_SD_SD_SD_RKfSF_SF_SF_E_S8_SE_jLin1ELi2ELi4ELi512ELi2EEEvNS0_6detail10TensorInfoIT0_T2_EENSI_IT1_SK_EESK_T_,@function
_ZN2at4cuda12_GLOBAL__N_121kernelPointwiseApply2IZNS_6native9templates4cuda28bernoulli_tensor_cuda_kernelIN3c108BFloat16EfEEvRKNS_10TensorBaseESB_NS_15PhiloxCudaStateEEUliRS8_SD_SD_SD_RKfSF_SF_SF_E_S8_SE_jLin1ELi2ELi4ELi512ELi2EEEvNS0_6detail10TensorInfoIT0_T2_EENSI_IT1_SK_EESK_T_: ; @_ZN2at4cuda12_GLOBAL__N_121kernelPointwiseApply2IZNS_6native9templates4cuda28bernoulli_tensor_cuda_kernelIN3c108BFloat16EfEEvRKNS_10TensorBaseESB_NS_15PhiloxCudaStateEEUliRS8_SD_SD_SD_RKfSF_SF_SF_E_S8_SE_jLin1ELi2ELi4ELi512ELi2EEEvNS0_6detail10TensorInfoIT0_T2_EENSI_IT1_SK_EESK_T_
; %bb.0:
	s_load_dword s2, s[4:5], 0x1e4
	s_load_dword s33, s[4:5], 0x1b0
	s_add_u32 s0, s4, 0x1d8
	s_addc_u32 s1, s5, 0
	s_waitcnt lgkmcnt(0)
	s_and_b32 s2, s2, 0xffff
	s_mul_i32 s6, s6, s2
	v_add_u32_e32 v5, s6, v0
	v_lshlrev_b32_e32 v30, 2, v5
	v_cmp_gt_u32_e32 vcc, s33, v30
	s_and_saveexec_b64 s[6:7], vcc
	s_cbranch_execz .LBB106_73
; %bb.1:
	s_load_dword s56, s[4:5], 0xe4
	s_load_dwordx2 s[6:7], s[4:5], 0x144
	s_load_dword s3, s[0:1], 0x0
	s_load_dwordx2 s[12:13], s[4:5], 0xd8
	;; [unrolled: 2-line block ×3, first 2 shown]
	s_load_dwordx4 s[8:11], s[4:5], 0x1b8
	s_waitcnt lgkmcnt(0)
	v_cvt_f32_u32_e32 v0, s56
	s_mul_i32 s21, s3, s2
	s_load_dword s2, s[4:5], 0x1d0
	s_load_dword s57, s[4:5], 0x6c
	s_cmp_gt_i32 s20, 1
	v_rcp_iflag_f32_e32 v2, v0
	s_mov_b32 s58, 0xcd9e8d57
	s_cselect_b64 s[0:1], -1, 0
	s_waitcnt lgkmcnt(0)
	s_bitcmp1_b32 s2, 0
	v_mul_f32_e32 v2, 0x4f7ffffe, v2
	v_cvt_u32_f32_e32 v2, v2
	v_mad_u64_u32 v[0:1], s[2:3], v5, s58, 0
	s_cselect_b64 s[18:19], -1, 0
	s_sub_i32 s2, 0, s56
	s_mov_b32 s3, 0
	v_mov_b32_e32 v4, v1
	v_mul_lo_u32 v1, s2, v2
	s_add_i32 s2, s20, -1
	s_load_dwordx2 s[16:17], s[4:5], 0x0
	s_lshl_b32 s59, s21, 2
	s_add_i32 s60, s20, 1
	s_lshl_b64 s[2:3], s[2:3], 2
	s_add_u32 s2, s2, s4
	v_mul_hi_u32 v1, v2, v1
	s_addc_u32 s3, s3, s5
	v_add_u32_e32 v1, v2, v1
	s_add_u32 s20, s2, 8
	v_cndmask_b32_e64 v2, 0, 1, s[0:1]
	v_mov_b32_e32 v3, 0
	s_addc_u32 s21, s3, 0
	s_mov_b64 s[22:23], 0
	s_mov_b32 s61, 0xd2511f53
	v_cmp_ne_u32_e64 s[0:1], 1, v2
	s_mov_b32 s62, 0xf1bbcdc8
                                        ; implicit-def: $sgpr24_sgpr25
                                        ; implicit-def: $sgpr26_sgpr27
                                        ; implicit-def: $sgpr28_sgpr29
                                        ; implicit-def: $sgpr4_sgpr5
                                        ; implicit-def: $sgpr30_sgpr31
                                        ; implicit-def: $sgpr34_sgpr35
                                        ; implicit-def: $sgpr36_sgpr37
                                        ; implicit-def: $sgpr38_sgpr39
	s_branch .LBB106_3
.LBB106_2:                              ;   in Loop: Header=BB106_3 Depth=1
	s_or_b64 exec, exec, s[40:41]
	s_and_b64 s[2:3], exec, s[2:3]
	s_or_b64 s[22:23], s[2:3], s[22:23]
	s_andn2_b64 s[2:3], s[4:5], exec
	s_and_b64 s[4:5], s[38:39], exec
	s_or_b64 s[4:5], s[2:3], s[4:5]
	s_andn2_b64 s[2:3], s[28:29], exec
	s_and_b64 s[28:29], s[36:37], exec
	;; [unrolled: 3-line block ×4, first 2 shown]
	s_or_b64 s[24:25], s[2:3], s[24:25]
	s_andn2_b64 exec, exec, s[22:23]
	s_cbranch_execz .LBB106_69
.LBB106_3:                              ; =>This Loop Header: Depth=1
                                        ;     Child Loop BB106_6 Depth 2
                                        ;     Child Loop BB106_13 Depth 2
	;; [unrolled: 1-line block ×4, first 2 shown]
	v_sub_u32_e32 v31, s33, v30
	v_cmp_lt_i32_e64 s[2:3], 0, v31
	v_mov_b32_e32 v6, 0
	s_and_saveexec_b64 s[40:41], s[2:3]
	s_cbranch_execz .LBB106_8
; %bb.4:                                ;   in Loop: Header=BB106_3 Depth=1
	s_and_b64 vcc, exec, s[0:1]
	v_mov_b32_e32 v6, 0
	s_waitcnt vmcnt(3)
	v_mov_b32_e32 v2, v30
	s_cbranch_vccnz .LBB106_7
; %bb.5:                                ;   in Loop: Header=BB106_3 Depth=1
	v_mov_b32_e32 v6, 0
	s_mov_b64 s[42:43], s[20:21]
	s_mov_b32 s44, s60
	v_mov_b32_e32 v2, v30
.LBB106_6:                              ;   Parent Loop BB106_3 Depth=1
                                        ; =>  This Inner Loop Header: Depth=2
	s_load_dword s45, s[42:43], 0x0
	s_load_dword s46, s[42:43], 0x64
	s_waitcnt vmcnt(2)
	v_mov_b32_e32 v7, v2
	s_add_i32 s44, s44, -1
	s_waitcnt lgkmcnt(0)
	v_cvt_f32_u32_e32 v2, s45
	s_sub_i32 s47, 0, s45
	s_add_u32 s42, s42, -4
	s_addc_u32 s43, s43, -1
	v_rcp_iflag_f32_e32 v2, v2
	s_cmp_gt_u32 s44, 2
	v_mul_f32_e32 v2, 0x4f7ffffe, v2
	v_cvt_u32_f32_e32 v2, v2
	v_mul_lo_u32 v8, s47, v2
	v_mul_hi_u32 v8, v2, v8
	v_add_u32_e32 v2, v2, v8
	v_mul_hi_u32 v2, v7, v2
	v_mul_lo_u32 v8, v2, s45
	v_sub_u32_e32 v8, v7, v8
	s_waitcnt vmcnt(1)
	v_add_u32_e32 v9, 1, v2
	v_cmp_le_u32_e32 vcc, s45, v8
	v_cndmask_b32_e32 v2, v2, v9, vcc
	v_subrev_u32_e32 v9, s45, v8
	v_cndmask_b32_e32 v8, v8, v9, vcc
	v_add_u32_e32 v9, 1, v2
	v_cmp_le_u32_e32 vcc, s45, v8
	v_cndmask_b32_e32 v2, v2, v9, vcc
	v_mul_lo_u32 v8, v2, s45
	v_sub_u32_e32 v7, v7, v8
	v_mad_u64_u32 v[6:7], s[46:47], s46, v7, v[6:7]
	s_cbranch_scc1 .LBB106_6
.LBB106_7:                              ;   in Loop: Header=BB106_3 Depth=1
	s_waitcnt vmcnt(2)
	v_mad_u64_u32 v[6:7], s[42:43], s57, v2, v[6:7]
.LBB106_8:                              ;   in Loop: Header=BB106_3 Depth=1
	s_or_b64 exec, exec, s[40:41]
	v_mov_b32_e32 v8, 0
	s_waitcnt vmcnt(3)
	v_mov_b32_e32 v2, 0
	s_and_saveexec_b64 s[40:41], s[2:3]
	s_cbranch_execz .LBB106_10
; %bb.9:                                ;   in Loop: Header=BB106_3 Depth=1
	v_mul_hi_u32 v2, v30, v1
	s_waitcnt vmcnt(2)
	v_mul_lo_u32 v7, v2, s56
	v_sub_u32_e32 v7, v30, v7
	s_waitcnt vmcnt(1)
	v_add_u32_e32 v9, 1, v2
	v_cmp_le_u32_e32 vcc, s56, v7
	v_cndmask_b32_e32 v2, v2, v9, vcc
	v_subrev_u32_e32 v9, s56, v7
	v_cndmask_b32_e32 v7, v7, v9, vcc
	v_add_u32_e32 v9, 1, v2
	v_cmp_le_u32_e32 vcc, s56, v7
	v_cndmask_b32_e32 v7, v2, v9, vcc
	v_mul_lo_u32 v2, v7, s56
	v_sub_u32_e32 v2, v30, v2
	v_mul_lo_u32 v2, v2, s7
	v_mad_u64_u32 v[10:11], s[2:3], v7, s6, v[2:3]
	v_mov_b32_e32 v2, v10
.LBB106_10:                             ;   in Loop: Header=BB106_3 Depth=1
	s_or_b64 exec, exec, s[40:41]
	s_waitcnt vmcnt(2)
	v_or_b32_e32 v7, 1, v30
	v_cmp_lt_i32_e64 s[2:3], 1, v31
	s_and_saveexec_b64 s[40:41], s[2:3]
	s_cbranch_execz .LBB106_15
; %bb.11:                               ;   in Loop: Header=BB106_3 Depth=1
	s_and_b64 vcc, exec, s[0:1]
	v_mov_b32_e32 v8, 0
	v_mov_b32_e32 v10, v7
	s_cbranch_vccnz .LBB106_14
; %bb.12:                               ;   in Loop: Header=BB106_3 Depth=1
	v_mov_b32_e32 v8, 0
	s_mov_b64 s[42:43], s[20:21]
	s_mov_b32 s44, s60
	v_mov_b32_e32 v10, v7
.LBB106_13:                             ;   Parent Loop BB106_3 Depth=1
                                        ; =>  This Inner Loop Header: Depth=2
	s_load_dword s45, s[42:43], 0x0
	s_load_dword s46, s[42:43], 0x64
	s_waitcnt vmcnt(1)
	v_mov_b32_e32 v9, v10
	s_add_i32 s44, s44, -1
	s_waitcnt lgkmcnt(0)
	v_cvt_f32_u32_e32 v10, s45
	s_sub_i32 s47, 0, s45
	s_add_u32 s42, s42, -4
	s_addc_u32 s43, s43, -1
	v_rcp_iflag_f32_e32 v10, v10
	s_cmp_gt_u32 s44, 2
	v_mul_f32_e32 v10, 0x4f7ffffe, v10
	v_cvt_u32_f32_e32 v10, v10
	v_mul_lo_u32 v11, s47, v10
	v_mul_hi_u32 v11, v10, v11
	v_add_u32_e32 v10, v10, v11
	v_mul_hi_u32 v10, v9, v10
	v_mul_lo_u32 v11, v10, s45
	v_sub_u32_e32 v11, v9, v11
	v_add_u32_e32 v12, 1, v10
	v_cmp_le_u32_e32 vcc, s45, v11
	v_cndmask_b32_e32 v10, v10, v12, vcc
	v_subrev_u32_e32 v12, s45, v11
	v_cndmask_b32_e32 v11, v11, v12, vcc
	v_add_u32_e32 v12, 1, v10
	v_cmp_le_u32_e32 vcc, s45, v11
	v_cndmask_b32_e32 v10, v10, v12, vcc
	v_mul_lo_u32 v11, v10, s45
	v_sub_u32_e32 v9, v9, v11
	v_mad_u64_u32 v[8:9], s[46:47], s46, v9, v[8:9]
	s_cbranch_scc1 .LBB106_13
.LBB106_14:                             ;   in Loop: Header=BB106_3 Depth=1
	s_waitcnt vmcnt(1)
	v_mad_u64_u32 v[8:9], s[42:43], s57, v10, v[8:9]
.LBB106_15:                             ;   in Loop: Header=BB106_3 Depth=1
	s_or_b64 exec, exec, s[40:41]
	v_mov_b32_e32 v12, 0
	s_and_saveexec_b64 s[40:41], s[2:3]
	s_cbranch_execz .LBB106_17
; %bb.16:                               ;   in Loop: Header=BB106_3 Depth=1
	s_waitcnt vmcnt(1)
	v_mul_hi_u32 v9, v7, v1
	v_mul_lo_u32 v10, v9, s56
	v_sub_u32_e32 v10, v7, v10
	v_add_u32_e32 v11, 1, v9
	v_cmp_le_u32_e32 vcc, s56, v10
	v_cndmask_b32_e32 v9, v9, v11, vcc
	v_subrev_u32_e32 v11, s56, v10
	v_cndmask_b32_e32 v10, v10, v11, vcc
	v_add_u32_e32 v11, 1, v9
	v_cmp_le_u32_e32 vcc, s56, v10
	v_cndmask_b32_e32 v9, v9, v11, vcc
	v_mul_lo_u32 v10, v9, s56
	v_sub_u32_e32 v7, v7, v10
	v_mul_lo_u32 v10, v7, s7
	v_mad_u64_u32 v[12:13], s[2:3], v9, s6, v[10:11]
.LBB106_17:                             ;   in Loop: Header=BB106_3 Depth=1
	s_or_b64 exec, exec, s[40:41]
	v_or_b32_e32 v7, 2, v30
	v_cmp_lt_i32_e64 s[2:3], 2, v31
	v_pk_mov_b32 v[10:11], 0, 0
	s_and_saveexec_b64 s[40:41], s[2:3]
	s_cbranch_execz .LBB106_22
; %bb.18:                               ;   in Loop: Header=BB106_3 Depth=1
	s_and_b64 vcc, exec, s[0:1]
	v_mov_b32_e32 v10, 0
	s_waitcnt vmcnt(1)
	v_mov_b32_e32 v9, v7
	s_cbranch_vccnz .LBB106_21
; %bb.19:                               ;   in Loop: Header=BB106_3 Depth=1
	v_mov_b32_e32 v10, 0
	s_mov_b64 s[42:43], s[20:21]
	s_mov_b32 s44, s60
	v_mov_b32_e32 v9, v7
.LBB106_20:                             ;   Parent Loop BB106_3 Depth=1
                                        ; =>  This Inner Loop Header: Depth=2
	s_load_dword s45, s[42:43], 0x0
	s_load_dword s46, s[42:43], 0x64
	v_mov_b32_e32 v11, v9
	s_add_i32 s44, s44, -1
	s_waitcnt lgkmcnt(0)
	v_cvt_f32_u32_e32 v9, s45
	s_sub_i32 s47, 0, s45
	s_add_u32 s42, s42, -4
	s_addc_u32 s43, s43, -1
	v_rcp_iflag_f32_e32 v9, v9
	s_cmp_gt_u32 s44, 2
	v_mul_f32_e32 v9, 0x4f7ffffe, v9
	v_cvt_u32_f32_e32 v9, v9
	v_mul_lo_u32 v13, s47, v9
	v_mul_hi_u32 v13, v9, v13
	v_add_u32_e32 v9, v9, v13
	v_mul_hi_u32 v9, v11, v9
	v_mul_lo_u32 v13, v9, s45
	v_sub_u32_e32 v13, v11, v13
	v_add_u32_e32 v14, 1, v9
	v_cmp_le_u32_e32 vcc, s45, v13
	v_cndmask_b32_e32 v9, v9, v14, vcc
	v_subrev_u32_e32 v14, s45, v13
	v_cndmask_b32_e32 v13, v13, v14, vcc
	v_add_u32_e32 v14, 1, v9
	v_cmp_le_u32_e32 vcc, s45, v13
	v_cndmask_b32_e32 v9, v9, v14, vcc
	v_mul_lo_u32 v13, v9, s45
	v_sub_u32_e32 v11, v11, v13
	v_mad_u64_u32 v[10:11], s[46:47], s46, v11, v[10:11]
	s_cbranch_scc1 .LBB106_20
.LBB106_21:                             ;   in Loop: Header=BB106_3 Depth=1
	v_mad_u64_u32 v[10:11], s[42:43], s57, v9, v[10:11]
	v_mov_b32_e32 v11, v3
.LBB106_22:                             ;   in Loop: Header=BB106_3 Depth=1
	s_or_b64 exec, exec, s[40:41]
	v_pk_mov_b32 v[14:15], 0, 0
	v_pk_mov_b32 v[16:17], v[14:15], v[14:15] op_sel:[0,1]
	s_and_saveexec_b64 s[40:41], s[2:3]
	s_cbranch_execz .LBB106_24
; %bb.23:                               ;   in Loop: Header=BB106_3 Depth=1
	s_waitcnt vmcnt(1)
	v_mul_hi_u32 v9, v7, v1
	v_mul_lo_u32 v13, v9, s56
	v_sub_u32_e32 v13, v7, v13
	v_add_u32_e32 v16, 1, v9
	v_cmp_le_u32_e32 vcc, s56, v13
	v_cndmask_b32_e32 v9, v9, v16, vcc
	v_subrev_u32_e32 v16, s56, v13
	v_cndmask_b32_e32 v13, v13, v16, vcc
	v_add_u32_e32 v16, 1, v9
	v_cmp_le_u32_e32 vcc, s56, v13
	v_cndmask_b32_e32 v9, v9, v16, vcc
	v_mul_lo_u32 v13, v9, s56
	v_sub_u32_e32 v7, v7, v13
	v_mul_lo_u32 v16, v7, s7
	v_mad_u64_u32 v[16:17], s[2:3], v9, s6, v[16:17]
	v_mov_b32_e32 v17, v3
.LBB106_24:                             ;   in Loop: Header=BB106_3 Depth=1
	s_or_b64 exec, exec, s[40:41]
	v_or_b32_e32 v7, 3, v30
	v_cmp_lt_i32_e64 s[2:3], 3, v31
	s_and_saveexec_b64 s[40:41], s[2:3]
	s_cbranch_execz .LBB106_29
; %bb.25:                               ;   in Loop: Header=BB106_3 Depth=1
	s_and_b64 vcc, exec, s[0:1]
	v_mov_b32_e32 v14, 0
	s_waitcnt vmcnt(1)
	v_mov_b32_e32 v9, v7
	s_cbranch_vccnz .LBB106_28
; %bb.26:                               ;   in Loop: Header=BB106_3 Depth=1
	v_mov_b32_e32 v14, 0
	s_mov_b64 s[42:43], s[20:21]
	s_mov_b32 s44, s60
	v_mov_b32_e32 v9, v7
.LBB106_27:                             ;   Parent Loop BB106_3 Depth=1
                                        ; =>  This Inner Loop Header: Depth=2
	s_load_dword s45, s[42:43], 0x0
	s_load_dword s46, s[42:43], 0x64
	v_mov_b32_e32 v13, v9
	s_add_i32 s44, s44, -1
	s_waitcnt lgkmcnt(0)
	v_cvt_f32_u32_e32 v9, s45
	s_sub_i32 s47, 0, s45
	s_add_u32 s42, s42, -4
	s_addc_u32 s43, s43, -1
	v_rcp_iflag_f32_e32 v9, v9
	s_cmp_gt_u32 s44, 2
	v_mul_f32_e32 v9, 0x4f7ffffe, v9
	v_cvt_u32_f32_e32 v9, v9
	v_mul_lo_u32 v15, s47, v9
	v_mul_hi_u32 v15, v9, v15
	v_add_u32_e32 v9, v9, v15
	v_mul_hi_u32 v9, v13, v9
	v_mul_lo_u32 v15, v9, s45
	v_sub_u32_e32 v15, v13, v15
	v_add_u32_e32 v18, 1, v9
	v_cmp_le_u32_e32 vcc, s45, v15
	v_cndmask_b32_e32 v9, v9, v18, vcc
	v_subrev_u32_e32 v18, s45, v15
	v_cndmask_b32_e32 v15, v15, v18, vcc
	v_add_u32_e32 v18, 1, v9
	v_cmp_le_u32_e32 vcc, s45, v15
	v_cndmask_b32_e32 v9, v9, v18, vcc
	v_mul_lo_u32 v15, v9, s45
	v_sub_u32_e32 v13, v13, v15
	v_mad_u64_u32 v[14:15], s[46:47], s46, v13, v[14:15]
	s_cbranch_scc1 .LBB106_27
.LBB106_28:                             ;   in Loop: Header=BB106_3 Depth=1
	v_mad_u64_u32 v[14:15], s[42:43], s57, v9, v[14:15]
	v_mov_b32_e32 v15, v3
.LBB106_29:                             ;   in Loop: Header=BB106_3 Depth=1
	s_or_b64 exec, exec, s[40:41]
	v_pk_mov_b32 v[18:19], 0, 0
	s_and_saveexec_b64 s[40:41], s[2:3]
	s_cbranch_execz .LBB106_31
; %bb.30:                               ;   in Loop: Header=BB106_3 Depth=1
	s_waitcnt vmcnt(1)
	v_mul_hi_u32 v9, v7, v1
	v_mul_lo_u32 v13, v9, s56
	v_sub_u32_e32 v13, v7, v13
	v_add_u32_e32 v18, 1, v9
	v_cmp_le_u32_e32 vcc, s56, v13
	v_cndmask_b32_e32 v9, v9, v18, vcc
	v_subrev_u32_e32 v18, s56, v13
	v_cndmask_b32_e32 v13, v13, v18, vcc
	v_add_u32_e32 v18, 1, v9
	v_cmp_le_u32_e32 vcc, s56, v13
	v_cndmask_b32_e32 v9, v9, v18, vcc
	v_mul_lo_u32 v13, v9, s56
	v_sub_u32_e32 v7, v7, v13
	v_mul_lo_u32 v18, v7, s7
	v_mad_u64_u32 v[18:19], s[2:3], v9, s6, v[18:19]
	v_mov_b32_e32 v19, v3
.LBB106_31:                             ;   in Loop: Header=BB106_3 Depth=1
	s_or_b64 exec, exec, s[40:41]
	v_lshlrev_b64 v[20:21], 2, v[2:3]
	v_mov_b32_e32 v2, s13
	v_add_co_u32_e32 v20, vcc, s12, v20
	v_mov_b32_e32 v13, v3
	v_addc_co_u32_e32 v21, vcc, v2, v21, vcc
	v_lshlrev_b64 v[12:13], 2, v[12:13]
	v_add_co_u32_e32 v12, vcc, s12, v12
	v_addc_co_u32_e32 v13, vcc, v2, v13, vcc
	v_lshlrev_b64 v[16:17], 2, v[16:17]
	v_add_co_u32_e32 v16, vcc, s12, v16
	v_addc_co_u32_e32 v17, vcc, v2, v17, vcc
	v_lshlrev_b64 v[18:19], 2, v[18:19]
	v_add_co_u32_e32 v18, vcc, s12, v18
	v_addc_co_u32_e32 v19, vcc, v2, v19, vcc
	global_load_dword v2, v[20:21], off
	global_load_dword v7, v[12:13], off
	;; [unrolled: 1-line block ×4, first 2 shown]
	s_andn2_b64 vcc, exec, s[18:19]
	v_pk_mov_b32 v[12:13], s[10:11], s[10:11] op_sel:[0,1]
	v_pk_mov_b32 v[16:17], s[8:9], s[8:9] op_sel:[0,1]
	s_cbranch_vccnz .LBB106_33
; %bb.32:                               ;   in Loop: Header=BB106_3 Depth=1
	v_pk_mov_b32 v[12:13], s[10:11], s[10:11] op_sel:[0,1]
	flat_load_dwordx2 v[12:13], v[12:13]
	v_pk_mov_b32 v[16:17], s[8:9], s[8:9] op_sel:[0,1]
	flat_load_dwordx2 v[16:17], v[16:17]
	v_mov_b32_e32 v18, s15
	s_waitcnt vmcnt(0) lgkmcnt(0)
	v_add_co_u32_e32 v12, vcc, s14, v12
	v_addc_co_u32_e32 v13, vcc, v13, v18, vcc
.LBB106_33:                             ;   in Loop: Header=BB106_3 Depth=1
	v_alignbit_b32 v26, v13, v12, 2
	v_lshrrev_b32_e32 v27, 2, v13
	v_xor_b32_e32 v18, v4, v16
	v_and_b32_e32 v33, 3, v12
	v_mad_u64_u32 v[12:13], s[2:3], v26, s61, 0
	v_xor_b32_e32 v18, v18, v27
	v_xor_b32_e32 v13, v13, v17
	v_add_u32_e32 v38, 0xbb67ae85, v17
	v_mad_u64_u32 v[18:19], s[2:3], v18, s61, 0
	v_mad_u64_u32 v[20:21], s[2:3], v13, s58, 0
	v_xor_b32_e32 v19, v38, v19
	v_add_u32_e32 v37, 0x9e3779b9, v16
	v_xor_b32_e32 v13, v0, v21
	v_xor_b32_e32 v19, v19, v12
	v_xor_b32_e32 v13, v13, v37
	v_add_u32_e32 v39, 0x3c6ef372, v16
	v_mad_u64_u32 v[22:23], s[2:3], v19, s58, 0
	v_add_u32_e32 v40, 0x76cf5d0a, v17
	v_mad_u64_u32 v[12:13], s[2:3], v13, s61, 0
	v_xor_b32_e32 v19, v39, v23
	v_xor_b32_e32 v19, v19, v20
	v_xor_b32_e32 v13, v40, v13
	v_xor_b32_e32 v13, v13, v18
	v_add_u32_e32 v42, 0x32370b8f, v17
	v_mad_u64_u32 v[18:19], s[2:3], v19, s61, 0
	v_add_u32_e32 v41, 0xdaa66d2b, v16
	v_mad_u64_u32 v[20:21], s[2:3], v13, s58, 0
	v_xor_b32_e32 v19, v42, v19
	;; [unrolled: 8-line block ×5, first 2 shown]
	v_xor_b32_e32 v19, v19, v20
	v_xor_b32_e32 v13, v48, v13
	;; [unrolled: 1-line block ×3, first 2 shown]
	v_add_u32_e32 v50, 0x1fd5c5a3, v17
	v_mad_u64_u32 v[18:19], s[2:3], v19, s61, 0
	v_xor_b32_e32 v19, v50, v19
	v_xor_b32_e32 v12, v19, v12
	v_add_u32_e32 v49, 0x5384540f, v16
	v_mad_u64_u32 v[24:25], s[2:3], v13, s58, 0
	v_add_co_u32_e32 v35, vcc, s62, v16
	v_mad_u64_u32 v[20:21], s[2:3], v12, s58, 0
	v_xor_b32_e32 v13, v49, v25
	v_xor_b32_e32 v12, v35, v21
	;; [unrolled: 1-line block ×4, first 2 shown]
	v_mad_u64_u32 v[22:23], s[2:3], v13, s61, 0
	v_mad_u64_u32 v[12:13], s[2:3], v12, s61, 0
	v_add_u32_e32 v36, 0x96a522ad, v17
	v_xor_b32_e32 v13, v13, v22
	v_xor_b32_e32 v34, v36, v13
	v_add_co_u32_e32 v13, vcc, 1, v26
	v_cndmask_b32_e64 v22, 0, 1, vcc
	v_addc_co_u32_e32 v28, vcc, 0, v27, vcc
	v_cmp_eq_u32_e32 vcc, 0, v28
	v_cndmask_b32_e32 v22, 0, v22, vcc
	v_add_u32_e32 v26, v22, v5
	v_cmp_eq_u32_e32 vcc, 0, v26
	v_mad_u64_u32 v[24:25], s[2:3], v13, s61, 0
	v_mad_u64_u32 v[26:27], s[2:3], v26, s58, 0
	v_add_u32_e32 v21, 0x8ff34781, v16
	v_cndmask_b32_e32 v22, 0, v22, vcc
	v_xor_b32_e32 v13, v27, v16
	v_xor_b32_e32 v16, v25, v17
	;; [unrolled: 1-line block ×4, first 2 shown]
	v_mad_u64_u32 v[28:29], s[2:3], v22, s58, 0
	v_add_u32_e32 v19, 0xdb3d7428, v17
	v_mad_u64_u32 v[16:17], s[2:3], v13, s61, 0
	v_xor_b32_e32 v13, v37, v29
	v_xor_b32_e32 v13, v13, v26
	v_xor_b32_e32 v17, v38, v17
	v_xor_b32_e32 v17, v17, v24
	v_mad_u64_u32 v[24:25], s[2:3], v13, s61, 0
	v_mad_u64_u32 v[26:27], s[2:3], v17, s58, 0
	v_xor_b32_e32 v17, v40, v25
	v_xor_b32_e32 v13, v39, v27
	v_xor_b32_e32 v22, v17, v16
	v_xor_b32_e32 v13, v13, v28
	v_mad_u64_u32 v[28:29], s[2:3], v22, s58, 0
	;; [unrolled: 6-line block ×7, first 2 shown]
	v_xor_b32_e32 v13, v19, v27
	v_xor_b32_e32 v13, v13, v16
	v_mad_u64_u32 v[28:29], s[2:3], v17, s58, 0
	v_mad_u64_u32 v[16:17], s[2:3], v13, s58, 0
	v_xor_b32_e32 v13, v17, v28
	v_xor_b32_e32 v13, v21, v13
	v_cmp_lt_i32_e32 vcc, 1, v33
                                        ; implicit-def: $vgpr25
	s_and_saveexec_b64 s[2:3], vcc
	s_xor_b64 s[2:3], exec, s[2:3]
	s_cbranch_execz .LBB106_39
; %bb.34:                               ;   in Loop: Header=BB106_3 Depth=1
	v_cmp_lt_i32_e32 vcc, 2, v33
                                        ; implicit-def: $vgpr25
	s_and_saveexec_b64 s[40:41], vcc
	s_xor_b64 s[40:41], exec, s[40:41]
; %bb.35:                               ;   in Loop: Header=BB106_3 Depth=1
	v_xor_b32_e32 v17, v35, v29
	v_xor_b32_e32 v17, v17, v24
	v_mul_hi_u32 v17, v17, s61
	v_xor_b32_e32 v17, v17, v26
	v_xor_b32_e32 v25, v36, v17
                                        ; implicit-def: $vgpr34
; %bb.36:                               ;   in Loop: Header=BB106_3 Depth=1
	s_andn2_saveexec_b64 s[40:41], s[40:41]
; %bb.37:                               ;   in Loop: Header=BB106_3 Depth=1
	v_mov_b32_e32 v25, v16
	v_mov_b32_e32 v16, v13
	;; [unrolled: 1-line block ×4, first 2 shown]
; %bb.38:                               ;   in Loop: Header=BB106_3 Depth=1
	s_or_b64 exec, exec, s[40:41]
                                        ; implicit-def: $vgpr18_vgpr19
                                        ; implicit-def: $vgpr20_vgpr21
                                        ; implicit-def: $vgpr33
                                        ; implicit-def: $vgpr34
                                        ; implicit-def: $vgpr22_vgpr23
                                        ; implicit-def: $vgpr19
                                        ; implicit-def: $vgpr21
.LBB106_39:                             ;   in Loop: Header=BB106_3 Depth=1
	s_andn2_saveexec_b64 s[2:3], s[2:3]
	s_cbranch_execz .LBB106_43
; %bb.40:                               ;   in Loop: Header=BB106_3 Depth=1
	v_xor_b32_e32 v16, v19, v23
	v_xor_b32_e32 v16, v16, v18
	v_mad_u64_u32 v[18:19], s[40:41], v16, s58, 0
	v_xor_b32_e32 v16, v19, v20
	v_xor_b32_e32 v17, v21, v16
	v_cmp_eq_u32_e32 vcc, 1, v33
	v_mov_b32_e32 v25, v12
	v_mov_b32_e32 v16, v34
	;; [unrolled: 1-line block ×3, first 2 shown]
	s_and_saveexec_b64 s[40:41], vcc
; %bb.41:                               ;   in Loop: Header=BB106_3 Depth=1
	v_mov_b32_e32 v25, v13
	v_mov_b32_e32 v16, v12
	;; [unrolled: 1-line block ×4, first 2 shown]
; %bb.42:                               ;   in Loop: Header=BB106_3 Depth=1
	s_or_b64 exec, exec, s[40:41]
	v_mov_b32_e32 v12, v17
	v_mov_b32_e32 v13, v19
.LBB106_43:                             ;   in Loop: Header=BB106_3 Depth=1
	s_or_b64 exec, exec, s[2:3]
	v_min_i32_e32 v17, 4, v31
	v_cmp_lt_i32_e32 vcc, 2, v17
	s_mov_b64 s[40:41], 0
	s_mov_b64 s[52:53], 0
	;; [unrolled: 1-line block ×3, first 2 shown]
                                        ; implicit-def: $sgpr44_sgpr45
                                        ; implicit-def: $sgpr46_sgpr47
                                        ; implicit-def: $sgpr48_sgpr49
	s_and_saveexec_b64 s[2:3], vcc
	s_xor_b64 s[50:51], exec, s[2:3]
	s_cbranch_execz .LBB106_55
; %bb.44:                               ;   in Loop: Header=BB106_3 Depth=1
	v_cmp_lt_i32_e32 vcc, 3, v17
	s_mov_b64 s[2:3], -1
	s_mov_b64 s[54:55], 0
                                        ; implicit-def: $sgpr42_sgpr43
                                        ; implicit-def: $sgpr44_sgpr45
	s_and_saveexec_b64 s[46:47], vcc
	s_cbranch_execz .LBB106_50
; %bb.45:                               ;   in Loop: Header=BB106_3 Depth=1
	v_cmp_eq_u32_e32 vcc, 4, v17
	s_mov_b64 s[2:3], 0
	s_mov_b64 s[54:55], -1
                                        ; implicit-def: $sgpr42_sgpr43
                                        ; implicit-def: $sgpr44_sgpr45
	s_and_saveexec_b64 s[48:49], vcc
	s_cbranch_execz .LBB106_49
; %bb.46:                               ;   in Loop: Header=BB106_3 Depth=1
	s_waitcnt vmcnt(0)
	v_cmp_le_f32_e32 vcc, 0, v32
	v_cmp_ge_f32_e64 s[2:3], 1.0, v32
	s_and_b64 s[54:55], vcc, s[2:3]
	s_mov_b64 s[42:43], 0
	s_mov_b64 s[2:3], 0
	s_and_saveexec_b64 s[44:45], s[54:55]
	s_cbranch_execz .LBB106_48
; %bb.47:                               ;   in Loop: Header=BB106_3 Depth=1
	v_cvt_f32_u32_e32 v18, v25
	v_mov_b32_e32 v19, 0x2f800000
	v_lshlrev_b64 v[14:15], 1, v[14:15]
	s_waitcnt lgkmcnt(0)
	v_add_co_u32_e32 v14, vcc, s16, v14
	v_fmac_f32_e32 v19, 0x2f800000, v18
	v_mov_b32_e32 v18, s17
	v_addc_co_u32_e32 v15, vcc, v18, v15, vcc
	v_cmp_le_f32_e32 vcc, v19, v32
	s_mov_b64 s[2:3], exec
	v_cndmask_b32_e64 v18, 0, 1.0, vcc
	global_store_short_d16_hi v[14:15], v18, off
.LBB106_48:                             ;   in Loop: Header=BB106_3 Depth=1
	s_or_b64 exec, exec, s[44:45]
	s_mov_b64 s[44:45], -1
	s_xor_b64 s[54:55], exec, -1
	s_and_b64 s[2:3], s[2:3], exec
.LBB106_49:                             ;   in Loop: Header=BB106_3 Depth=1
	s_or_b64 exec, exec, s[48:49]
	s_and_b64 s[54:55], s[54:55], exec
	s_orn2_b64 s[2:3], s[2:3], exec
.LBB106_50:                             ;   in Loop: Header=BB106_3 Depth=1
	s_or_b64 exec, exec, s[46:47]
	s_mov_b64 s[48:49], s[42:43]
	s_and_saveexec_b64 s[46:47], s[2:3]
	s_cbranch_execz .LBB106_54
; %bb.51:                               ;   in Loop: Header=BB106_3 Depth=1
	s_waitcnt vmcnt(1)
	v_cmp_le_f32_e32 vcc, 0, v9
	v_cmp_ge_f32_e64 s[2:3], 1.0, v9
	s_and_b64 s[48:49], vcc, s[2:3]
	s_mov_b64 s[2:3], 0
	s_and_saveexec_b64 s[52:53], s[48:49]
	s_xor_b64 s[48:49], exec, s[52:53]
	s_cbranch_execz .LBB106_53
; %bb.52:                               ;   in Loop: Header=BB106_3 Depth=1
	v_cvt_f32_u32_e32 v14, v16
	v_mov_b32_e32 v15, 0x2f800000
	v_lshlrev_b64 v[10:11], 1, v[10:11]
	s_waitcnt lgkmcnt(0)
	v_add_co_u32_e32 v10, vcc, s16, v10
	v_fmac_f32_e32 v15, 0x2f800000, v14
	v_mov_b32_e32 v14, s17
	v_addc_co_u32_e32 v11, vcc, v14, v11, vcc
	v_cmp_le_f32_e32 vcc, v15, v9
	v_cndmask_b32_e64 v9, 0, 1.0, vcc
	s_mov_b64 s[2:3], exec
	global_store_short_d16_hi v[10:11], v9, off
.LBB106_53:                             ;   in Loop: Header=BB106_3 Depth=1
	s_or_b64 exec, exec, s[48:49]
	s_andn2_b64 s[48:49], s[42:43], exec
	s_or_b64 s[42:43], s[42:43], exec
	s_andn2_b64 s[44:45], s[44:45], exec
	s_and_b64 s[52:53], s[2:3], exec
.LBB106_54:                             ;   in Loop: Header=BB106_3 Depth=1
	s_or_b64 exec, exec, s[46:47]
	s_and_b64 s[48:49], s[48:49], exec
	s_and_b64 s[46:47], s[42:43], exec
	;; [unrolled: 1-line block ×5, first 2 shown]
.LBB106_55:                             ;   in Loop: Header=BB106_3 Depth=1
	s_andn2_saveexec_b64 s[2:3], s[50:51]
; %bb.56:                               ;   in Loop: Header=BB106_3 Depth=1
	v_cmp_lt_i32_e32 vcc, 1, v17
	s_andn2_b64 s[50:51], s[52:53], exec
	s_and_b64 s[52:53], vcc, exec
	s_mov_b64 s[40:41], exec
	s_andn2_b64 s[48:49], s[48:49], exec
	s_andn2_b64 s[46:47], s[46:47], exec
	;; [unrolled: 1-line block ×3, first 2 shown]
	s_or_b64 s[52:53], s[50:51], s[52:53]
; %bb.57:                               ;   in Loop: Header=BB106_3 Depth=1
	s_or_b64 exec, exec, s[2:3]
	s_mov_b64 s[2:3], 0
	s_mov_b64 s[50:51], s[48:49]
	s_and_saveexec_b64 s[54:55], s[52:53]
	s_cbranch_execnz .LBB106_60
; %bb.58:                               ;   in Loop: Header=BB106_3 Depth=1
	s_or_b64 exec, exec, s[54:55]
	s_and_saveexec_b64 s[52:53], s[40:41]
	s_cbranch_execnz .LBB106_63
.LBB106_59:                             ;   in Loop: Header=BB106_3 Depth=1
	s_or_b64 exec, exec, s[52:53]
	s_and_saveexec_b64 s[40:41], s[2:3]
	s_cbranch_execnz .LBB106_64
	s_branch .LBB106_67
.LBB106_60:                             ;   in Loop: Header=BB106_3 Depth=1
	s_waitcnt vmcnt(2)
	v_cmp_le_f32_e32 vcc, 0, v7
	v_cmp_ge_f32_e64 s[2:3], 1.0, v7
	s_and_b64 s[50:51], vcc, s[2:3]
	s_mov_b64 s[2:3], 0
	s_and_saveexec_b64 s[52:53], s[50:51]
	s_xor_b64 s[50:51], exec, s[52:53]
	s_cbranch_execz .LBB106_62
; %bb.61:                               ;   in Loop: Header=BB106_3 Depth=1
	v_cvt_f32_u32_e32 v10, v13
	s_waitcnt vmcnt(1)
	v_mov_b32_e32 v9, v3
	v_mov_b32_e32 v11, 0x2f800000
	v_lshlrev_b64 v[8:9], 1, v[8:9]
	v_fmac_f32_e32 v11, 0x2f800000, v10
	s_waitcnt lgkmcnt(0)
	v_mov_b32_e32 v10, s17
	v_add_co_u32_e32 v8, vcc, s16, v8
	v_addc_co_u32_e32 v9, vcc, v10, v9, vcc
	v_cmp_le_f32_e32 vcc, v11, v7
	v_cndmask_b32_e64 v7, 0, 1.0, vcc
	s_mov_b64 s[2:3], exec
	global_store_short_d16_hi v[8:9], v7, off
.LBB106_62:                             ;   in Loop: Header=BB106_3 Depth=1
	s_or_b64 exec, exec, s[50:51]
	s_andn2_b64 s[50:51], s[48:49], exec
	s_or_b64 s[48:49], s[48:49], exec
	s_andn2_b64 s[46:47], s[46:47], exec
	s_andn2_b64 s[44:45], s[44:45], exec
	s_and_b64 s[2:3], s[2:3], exec
	s_andn2_b64 s[40:41], s[40:41], exec
	s_or_b64 exec, exec, s[54:55]
	s_and_saveexec_b64 s[52:53], s[40:41]
	s_cbranch_execz .LBB106_59
.LBB106_63:                             ;   in Loop: Header=BB106_3 Depth=1
	v_cmp_eq_u32_e32 vcc, 1, v17
	s_andn2_b64 s[2:3], s[2:3], exec
	s_and_b64 s[40:41], vcc, exec
	s_andn2_b64 s[50:51], s[50:51], exec
	s_andn2_b64 s[48:49], s[48:49], exec
	;; [unrolled: 1-line block ×4, first 2 shown]
	s_or_b64 s[42:43], s[42:43], exec
	s_or_b64 s[2:3], s[2:3], s[40:41]
	s_or_b64 exec, exec, s[52:53]
	s_and_saveexec_b64 s[40:41], s[2:3]
	s_cbranch_execz .LBB106_67
.LBB106_64:                             ;   in Loop: Header=BB106_3 Depth=1
	s_waitcnt vmcnt(3)
	v_cmp_le_f32_e32 vcc, 0, v2
	v_cmp_ge_f32_e64 s[2:3], 1.0, v2
	s_and_b64 s[54:55], vcc, s[2:3]
	s_mov_b64 s[2:3], 0
	s_and_saveexec_b64 s[52:53], s[54:55]
	s_cbranch_execz .LBB106_66
; %bb.65:                               ;   in Loop: Header=BB106_3 Depth=1
	v_cvt_f32_u32_e32 v8, v12
	s_waitcnt vmcnt(2)
	v_mov_b32_e32 v7, v3
	s_waitcnt vmcnt(1)
	v_mov_b32_e32 v9, 0x2f800000
	v_lshlrev_b64 v[6:7], 1, v[6:7]
	v_fmac_f32_e32 v9, 0x2f800000, v8
	s_waitcnt lgkmcnt(0)
	v_mov_b32_e32 v8, s17
	v_add_co_u32_e32 v6, vcc, s16, v6
	v_addc_co_u32_e32 v7, vcc, v8, v7, vcc
	v_cmp_le_f32_e32 vcc, v9, v2
	s_mov_b64 s[2:3], exec
	v_cndmask_b32_e64 v2, 0, 1.0, vcc
	global_store_short_d16_hi v[6:7], v2, off
.LBB106_66:                             ;   in Loop: Header=BB106_3 Depth=1
	s_or_b64 exec, exec, s[52:53]
	s_andn2_b64 s[42:43], s[42:43], exec
	s_and_b64 s[2:3], s[2:3], exec
	s_or_b64 s[50:51], s[50:51], exec
	s_andn2_b64 s[48:49], s[48:49], exec
	s_andn2_b64 s[46:47], s[46:47], exec
	;; [unrolled: 1-line block ×3, first 2 shown]
	s_or_b64 s[42:43], s[42:43], s[2:3]
.LBB106_67:                             ;   in Loop: Header=BB106_3 Depth=1
	s_or_b64 exec, exec, s[40:41]
	s_andn2_b64 s[38:39], s[38:39], exec
	s_and_b64 s[40:41], s[50:51], exec
	s_or_b64 s[38:39], s[38:39], s[40:41]
	s_andn2_b64 s[36:37], s[36:37], exec
	s_and_b64 s[40:41], s[48:49], exec
	s_or_b64 s[36:37], s[36:37], s[40:41]
	;; [unrolled: 3-line block ×3, first 2 shown]
	s_andn2_b64 s[30:31], s[30:31], exec
	s_and_b64 s[40:41], s[44:45], exec
	s_mov_b64 s[2:3], -1
	s_or_b64 s[30:31], s[30:31], s[40:41]
	s_and_saveexec_b64 s[40:41], s[42:43]
	s_cbranch_execz .LBB106_2
; %bb.68:                               ;   in Loop: Header=BB106_3 Depth=1
	v_add_u32_e32 v30, s59, v30
	v_cmp_le_u32_e32 vcc, s33, v30
	s_andn2_b64 s[38:39], s[38:39], exec
	s_andn2_b64 s[36:37], s[36:37], exec
	;; [unrolled: 1-line block ×4, first 2 shown]
	s_orn2_b64 s[2:3], vcc, exec
	s_branch .LBB106_2
.LBB106_69:
	s_or_b64 exec, exec, s[22:23]
	s_xor_b64 s[8:9], s[28:29], -1
	s_xor_b64 s[10:11], s[26:27], -1
	;; [unrolled: 1-line block ×3, first 2 shown]
	s_mov_b64 s[2:3], 0
	s_and_saveexec_b64 s[6:7], s[0:1]
	s_xor_b64 s[0:1], exec, s[6:7]
	s_cbranch_execnz .LBB106_74
; %bb.70:
	s_andn2_saveexec_b64 s[0:1], s[0:1]
	s_cbranch_execnz .LBB106_82
.LBB106_71:
	s_or_b64 exec, exec, s[0:1]
	s_and_b64 exec, exec, s[2:3]
.LBB106_72:
	; divergent unreachable
.LBB106_73:
	s_endpgm
.LBB106_74:
	s_mov_b64 s[6:7], 0
	s_and_saveexec_b64 s[2:3], s[10:11]
	s_xor_b64 s[2:3], exec, s[2:3]
	s_cbranch_execz .LBB106_80
; %bb.75:
	s_and_saveexec_b64 s[10:11], s[8:9]
	s_xor_b64 s[8:9], exec, s[10:11]
	s_cbranch_execz .LBB106_78
; %bb.76:
	s_and_saveexec_b64 s[10:11], s[4:5]
	s_xor_b64 s[4:5], exec, s[10:11]
	s_cbranch_execnz .LBB106_85
.LBB106_77:
	s_or_b64 exec, exec, s[4:5]
	s_and_b64 s[6:7], s[6:7], exec
.LBB106_78:
	s_andn2_saveexec_b64 s[4:5], s[8:9]
	s_cbranch_execnz .LBB106_84
.LBB106_79:
	s_or_b64 exec, exec, s[4:5]
	s_and_b64 s[6:7], s[6:7], exec
.LBB106_80:
	s_andn2_saveexec_b64 s[2:3], s[2:3]
	s_cbranch_execnz .LBB106_83
.LBB106_81:
	s_or_b64 exec, exec, s[2:3]
	s_and_b64 s[2:3], s[6:7], exec
	s_andn2_saveexec_b64 s[0:1], s[0:1]
	s_cbranch_execz .LBB106_71
.LBB106_82:
	s_or_b64 s[2:3], s[2:3], exec
	s_trap 2
	s_or_b64 exec, exec, s[0:1]
	s_and_b64 exec, exec, s[2:3]
	s_cbranch_execnz .LBB106_72
	s_branch .LBB106_73
.LBB106_83:
	s_or_b64 s[6:7], s[6:7], exec
	s_trap 2
	s_branch .LBB106_81
.LBB106_84:
	s_trap 2
	s_or_b64 s[6:7], s[6:7], exec
	s_branch .LBB106_79
.LBB106_85:
	s_mov_b64 s[6:7], exec
	s_trap 2
	s_branch .LBB106_77
	.section	.rodata,"a",@progbits
	.p2align	6, 0x0
	.amdhsa_kernel _ZN2at4cuda12_GLOBAL__N_121kernelPointwiseApply2IZNS_6native9templates4cuda28bernoulli_tensor_cuda_kernelIN3c108BFloat16EfEEvRKNS_10TensorBaseESB_NS_15PhiloxCudaStateEEUliRS8_SD_SD_SD_RKfSF_SF_SF_E_S8_SE_jLin1ELi2ELi4ELi512ELi2EEEvNS0_6detail10TensorInfoIT0_T2_EENSI_IT1_SK_EESK_T_
		.amdhsa_group_segment_fixed_size 0
		.amdhsa_private_segment_fixed_size 0
		.amdhsa_kernarg_size 728
		.amdhsa_user_sgpr_count 6
		.amdhsa_user_sgpr_private_segment_buffer 1
		.amdhsa_user_sgpr_dispatch_ptr 0
		.amdhsa_user_sgpr_queue_ptr 0
		.amdhsa_user_sgpr_kernarg_segment_ptr 1
		.amdhsa_user_sgpr_dispatch_id 0
		.amdhsa_user_sgpr_flat_scratch_init 0
		.amdhsa_user_sgpr_kernarg_preload_length 0
		.amdhsa_user_sgpr_kernarg_preload_offset 0
		.amdhsa_user_sgpr_private_segment_size 0
		.amdhsa_uses_dynamic_stack 0
		.amdhsa_system_sgpr_private_segment_wavefront_offset 0
		.amdhsa_system_sgpr_workgroup_id_x 1
		.amdhsa_system_sgpr_workgroup_id_y 0
		.amdhsa_system_sgpr_workgroup_id_z 0
		.amdhsa_system_sgpr_workgroup_info 0
		.amdhsa_system_vgpr_workitem_id 0
		.amdhsa_next_free_vgpr 51
		.amdhsa_next_free_sgpr 63
		.amdhsa_accum_offset 52
		.amdhsa_reserve_vcc 1
		.amdhsa_reserve_flat_scratch 0
		.amdhsa_float_round_mode_32 0
		.amdhsa_float_round_mode_16_64 0
		.amdhsa_float_denorm_mode_32 3
		.amdhsa_float_denorm_mode_16_64 3
		.amdhsa_dx10_clamp 1
		.amdhsa_ieee_mode 1
		.amdhsa_fp16_overflow 0
		.amdhsa_tg_split 0
		.amdhsa_exception_fp_ieee_invalid_op 0
		.amdhsa_exception_fp_denorm_src 0
		.amdhsa_exception_fp_ieee_div_zero 0
		.amdhsa_exception_fp_ieee_overflow 0
		.amdhsa_exception_fp_ieee_underflow 0
		.amdhsa_exception_fp_ieee_inexact 0
		.amdhsa_exception_int_div_zero 0
	.end_amdhsa_kernel
	.section	.text._ZN2at4cuda12_GLOBAL__N_121kernelPointwiseApply2IZNS_6native9templates4cuda28bernoulli_tensor_cuda_kernelIN3c108BFloat16EfEEvRKNS_10TensorBaseESB_NS_15PhiloxCudaStateEEUliRS8_SD_SD_SD_RKfSF_SF_SF_E_S8_SE_jLin1ELi2ELi4ELi512ELi2EEEvNS0_6detail10TensorInfoIT0_T2_EENSI_IT1_SK_EESK_T_,"axG",@progbits,_ZN2at4cuda12_GLOBAL__N_121kernelPointwiseApply2IZNS_6native9templates4cuda28bernoulli_tensor_cuda_kernelIN3c108BFloat16EfEEvRKNS_10TensorBaseESB_NS_15PhiloxCudaStateEEUliRS8_SD_SD_SD_RKfSF_SF_SF_E_S8_SE_jLin1ELi2ELi4ELi512ELi2EEEvNS0_6detail10TensorInfoIT0_T2_EENSI_IT1_SK_EESK_T_,comdat
.Lfunc_end106:
	.size	_ZN2at4cuda12_GLOBAL__N_121kernelPointwiseApply2IZNS_6native9templates4cuda28bernoulli_tensor_cuda_kernelIN3c108BFloat16EfEEvRKNS_10TensorBaseESB_NS_15PhiloxCudaStateEEUliRS8_SD_SD_SD_RKfSF_SF_SF_E_S8_SE_jLin1ELi2ELi4ELi512ELi2EEEvNS0_6detail10TensorInfoIT0_T2_EENSI_IT1_SK_EESK_T_, .Lfunc_end106-_ZN2at4cuda12_GLOBAL__N_121kernelPointwiseApply2IZNS_6native9templates4cuda28bernoulli_tensor_cuda_kernelIN3c108BFloat16EfEEvRKNS_10TensorBaseESB_NS_15PhiloxCudaStateEEUliRS8_SD_SD_SD_RKfSF_SF_SF_E_S8_SE_jLin1ELi2ELi4ELi512ELi2EEEvNS0_6detail10TensorInfoIT0_T2_EENSI_IT1_SK_EESK_T_
                                        ; -- End function
	.section	.AMDGPU.csdata,"",@progbits
; Kernel info:
; codeLenInByte = 3976
; NumSgprs: 67
; NumVgprs: 51
; NumAgprs: 0
; TotalNumVgprs: 51
; ScratchSize: 0
; MemoryBound: 0
; FloatMode: 240
; IeeeMode: 1
; LDSByteSize: 0 bytes/workgroup (compile time only)
; SGPRBlocks: 8
; VGPRBlocks: 6
; NumSGPRsForWavesPerEU: 67
; NumVGPRsForWavesPerEU: 51
; AccumOffset: 52
; Occupancy: 8
; WaveLimiterHint : 1
; COMPUTE_PGM_RSRC2:SCRATCH_EN: 0
; COMPUTE_PGM_RSRC2:USER_SGPR: 6
; COMPUTE_PGM_RSRC2:TRAP_HANDLER: 0
; COMPUTE_PGM_RSRC2:TGID_X_EN: 1
; COMPUTE_PGM_RSRC2:TGID_Y_EN: 0
; COMPUTE_PGM_RSRC2:TGID_Z_EN: 0
; COMPUTE_PGM_RSRC2:TIDIG_COMP_CNT: 0
; COMPUTE_PGM_RSRC3_GFX90A:ACCUM_OFFSET: 12
; COMPUTE_PGM_RSRC3_GFX90A:TG_SPLIT: 0
	.section	.text._ZN2at4cuda12_GLOBAL__N_121kernelPointwiseApply2IZNS_6native9templates4cuda28bernoulli_tensor_cuda_kernelIN3c108BFloat16EfEEvRKNS_10TensorBaseESB_NS_15PhiloxCudaStateEEUliRS8_SD_SD_SD_RKfSF_SF_SF_E_S8_SE_jLin1ELin1ELi4ELi512ELi2EEEvNS0_6detail10TensorInfoIT0_T2_EENSI_IT1_SK_EESK_T_,"axG",@progbits,_ZN2at4cuda12_GLOBAL__N_121kernelPointwiseApply2IZNS_6native9templates4cuda28bernoulli_tensor_cuda_kernelIN3c108BFloat16EfEEvRKNS_10TensorBaseESB_NS_15PhiloxCudaStateEEUliRS8_SD_SD_SD_RKfSF_SF_SF_E_S8_SE_jLin1ELin1ELi4ELi512ELi2EEEvNS0_6detail10TensorInfoIT0_T2_EENSI_IT1_SK_EESK_T_,comdat
	.globl	_ZN2at4cuda12_GLOBAL__N_121kernelPointwiseApply2IZNS_6native9templates4cuda28bernoulli_tensor_cuda_kernelIN3c108BFloat16EfEEvRKNS_10TensorBaseESB_NS_15PhiloxCudaStateEEUliRS8_SD_SD_SD_RKfSF_SF_SF_E_S8_SE_jLin1ELin1ELi4ELi512ELi2EEEvNS0_6detail10TensorInfoIT0_T2_EENSI_IT1_SK_EESK_T_ ; -- Begin function _ZN2at4cuda12_GLOBAL__N_121kernelPointwiseApply2IZNS_6native9templates4cuda28bernoulli_tensor_cuda_kernelIN3c108BFloat16EfEEvRKNS_10TensorBaseESB_NS_15PhiloxCudaStateEEUliRS8_SD_SD_SD_RKfSF_SF_SF_E_S8_SE_jLin1ELin1ELi4ELi512ELi2EEEvNS0_6detail10TensorInfoIT0_T2_EENSI_IT1_SK_EESK_T_
	.p2align	8
	.type	_ZN2at4cuda12_GLOBAL__N_121kernelPointwiseApply2IZNS_6native9templates4cuda28bernoulli_tensor_cuda_kernelIN3c108BFloat16EfEEvRKNS_10TensorBaseESB_NS_15PhiloxCudaStateEEUliRS8_SD_SD_SD_RKfSF_SF_SF_E_S8_SE_jLin1ELin1ELi4ELi512ELi2EEEvNS0_6detail10TensorInfoIT0_T2_EENSI_IT1_SK_EESK_T_,@function
_ZN2at4cuda12_GLOBAL__N_121kernelPointwiseApply2IZNS_6native9templates4cuda28bernoulli_tensor_cuda_kernelIN3c108BFloat16EfEEvRKNS_10TensorBaseESB_NS_15PhiloxCudaStateEEUliRS8_SD_SD_SD_RKfSF_SF_SF_E_S8_SE_jLin1ELin1ELi4ELi512ELi2EEEvNS0_6detail10TensorInfoIT0_T2_EENSI_IT1_SK_EESK_T_: ; @_ZN2at4cuda12_GLOBAL__N_121kernelPointwiseApply2IZNS_6native9templates4cuda28bernoulli_tensor_cuda_kernelIN3c108BFloat16EfEEvRKNS_10TensorBaseESB_NS_15PhiloxCudaStateEEUliRS8_SD_SD_SD_RKfSF_SF_SF_E_S8_SE_jLin1ELin1ELi4ELi512ELi2EEEvNS0_6detail10TensorInfoIT0_T2_EENSI_IT1_SK_EESK_T_
; %bb.0:
	s_load_dword s2, s[4:5], 0x1e4
	s_load_dword s33, s[4:5], 0x1b0
	s_add_u32 s0, s4, 0x1d8
	s_addc_u32 s1, s5, 0
	s_waitcnt lgkmcnt(0)
	s_and_b32 s2, s2, 0xffff
	s_mul_i32 s6, s6, s2
	v_add_u32_e32 v5, s6, v0
	v_lshlrev_b32_e32 v30, 2, v5
	v_cmp_gt_u32_e32 vcc, s33, v30
	s_and_saveexec_b64 s[6:7], vcc
	s_cbranch_execz .LBB107_85
; %bb.1:
	s_load_dword s0, s[0:1], 0x0
	s_nop 0
	s_load_dword s16, s[4:5], 0x1d0
	s_load_dword s20, s[4:5], 0xd0
	s_add_u32 s22, s4, 0xd8
	s_load_dwordx2 s[6:7], s[4:5], 0x1c8
	s_load_dwordx4 s[8:11], s[4:5], 0x1b8
	s_load_dword s24, s[4:5], 0x1a8
	s_load_dwordx2 s[12:13], s[4:5], 0xd8
	s_load_dword s56, s[4:5], 0x6c
	s_addc_u32 s23, s5, 0
	s_waitcnt lgkmcnt(0)
	s_mul_i32 s21, s0, s2
	s_cmp_gt_i32 s20, 1
	s_cselect_b64 s[0:1], -1, 0
	s_cmp_gt_i32 s24, 1
	s_mov_b32 s58, 0xcd9e8d57
	s_cselect_b64 s[2:3], -1, 0
	s_bitcmp1_b32 s16, 0
	v_mad_u64_u32 v[0:1], s[18:19], v5, s58, 0
	s_cselect_b64 s[16:17], -1, 0
	s_add_i32 s18, s20, -1
	s_mov_b32 s19, 0
	s_lshl_b32 s59, s21, 2
	s_add_i32 s60, s20, 1
	s_lshl_b64 s[20:21], s[18:19], 2
	s_load_dword s57, s[4:5], 0x144
	s_load_dwordx2 s[14:15], s[4:5], 0x0
	s_add_u32 s4, s20, s4
	s_addc_u32 s5, s21, s5
	s_add_u32 s20, s4, 8
	s_addc_u32 s21, s5, 0
	s_add_i32 s18, s24, -1
	s_add_i32 s61, s24, 1
	s_lshl_b64 s[4:5], s[18:19], 2
	s_add_u32 s4, s4, s22
	s_addc_u32 s5, s5, s23
	s_add_u32 s22, s4, 8
	v_cndmask_b32_e64 v2, 0, 1, s[0:1]
	v_mov_b32_e32 v3, 0
	v_mov_b32_e32 v4, v1
	s_addc_u32 s23, s5, 0
	s_mov_b64 s[24:25], 0
	v_cndmask_b32_e64 v1, 0, 1, s[2:3]
	s_mov_b32 s62, 0xd2511f53
	v_cmp_ne_u32_e64 s[0:1], 1, v2
	s_mov_b32 s63, 0xf1bbcdc8
                                        ; implicit-def: $sgpr26_sgpr27
                                        ; implicit-def: $sgpr28_sgpr29
                                        ; implicit-def: $sgpr30_sgpr31
                                        ; implicit-def: $sgpr18_sgpr19
                                        ; implicit-def: $sgpr34_sgpr35
                                        ; implicit-def: $sgpr36_sgpr37
                                        ; implicit-def: $sgpr38_sgpr39
                                        ; implicit-def: $sgpr40_sgpr41
	s_branch .LBB107_3
.LBB107_2:                              ;   in Loop: Header=BB107_3 Depth=1
	s_or_b64 exec, exec, s[4:5]
	s_and_b64 s[2:3], exec, s[2:3]
	s_or_b64 s[24:25], s[2:3], s[24:25]
	s_andn2_b64 s[2:3], s[18:19], exec
	s_and_b64 s[4:5], s[40:41], exec
	s_or_b64 s[18:19], s[2:3], s[4:5]
	s_andn2_b64 s[2:3], s[30:31], exec
	s_and_b64 s[4:5], s[38:39], exec
	;; [unrolled: 3-line block ×4, first 2 shown]
	s_or_b64 s[26:27], s[2:3], s[4:5]
	s_andn2_b64 exec, exec, s[24:25]
	s_cbranch_execz .LBB107_81
.LBB107_3:                              ; =>This Loop Header: Depth=1
                                        ;     Child Loop BB107_6 Depth 2
                                        ;     Child Loop BB107_11 Depth 2
	;; [unrolled: 1-line block ×8, first 2 shown]
	v_sub_u32_e32 v31, s33, v30
	v_cmp_lt_i32_e64 s[4:5], 0, v31
	v_mov_b32_e32 v6, 0
	s_and_saveexec_b64 s[2:3], s[4:5]
	s_cbranch_execz .LBB107_8
; %bb.4:                                ;   in Loop: Header=BB107_3 Depth=1
	s_and_b64 vcc, exec, s[0:1]
	v_mov_b32_e32 v6, 0
	s_waitcnt vmcnt(3)
	v_mov_b32_e32 v2, v30
	s_cbranch_vccnz .LBB107_7
; %bb.5:                                ;   in Loop: Header=BB107_3 Depth=1
	v_mov_b32_e32 v6, 0
	s_mov_b64 s[42:43], s[20:21]
	s_mov_b32 s44, s60
	v_mov_b32_e32 v2, v30
.LBB107_6:                              ;   Parent Loop BB107_3 Depth=1
                                        ; =>  This Inner Loop Header: Depth=2
	s_load_dword s45, s[42:43], 0x0
	s_load_dword s46, s[42:43], 0x64
	s_waitcnt vmcnt(2)
	v_mov_b32_e32 v7, v2
	s_add_i32 s44, s44, -1
	s_waitcnt lgkmcnt(0)
	v_cvt_f32_u32_e32 v2, s45
	s_sub_i32 s47, 0, s45
	s_add_u32 s42, s42, -4
	s_addc_u32 s43, s43, -1
	v_rcp_iflag_f32_e32 v2, v2
	s_cmp_gt_u32 s44, 2
	v_mul_f32_e32 v2, 0x4f7ffffe, v2
	v_cvt_u32_f32_e32 v2, v2
	v_mul_lo_u32 v8, s47, v2
	v_mul_hi_u32 v8, v2, v8
	v_add_u32_e32 v2, v2, v8
	v_mul_hi_u32 v2, v7, v2
	v_mul_lo_u32 v8, v2, s45
	v_sub_u32_e32 v8, v7, v8
	s_waitcnt vmcnt(1)
	v_add_u32_e32 v9, 1, v2
	v_cmp_le_u32_e32 vcc, s45, v8
	v_cndmask_b32_e32 v2, v2, v9, vcc
	v_subrev_u32_e32 v9, s45, v8
	v_cndmask_b32_e32 v8, v8, v9, vcc
	v_add_u32_e32 v9, 1, v2
	v_cmp_le_u32_e32 vcc, s45, v8
	v_cndmask_b32_e32 v2, v2, v9, vcc
	v_mul_lo_u32 v8, v2, s45
	v_sub_u32_e32 v7, v7, v8
	v_mad_u64_u32 v[6:7], s[46:47], s46, v7, v[6:7]
	s_cbranch_scc1 .LBB107_6
.LBB107_7:                              ;   in Loop: Header=BB107_3 Depth=1
	s_waitcnt vmcnt(2)
	v_mad_u64_u32 v[6:7], s[42:43], s56, v2, v[6:7]
.LBB107_8:                              ;   in Loop: Header=BB107_3 Depth=1
	s_or_b64 exec, exec, s[2:3]
	s_waitcnt vmcnt(3)
	v_mov_b32_e32 v2, 0
	v_cmp_ne_u32_e64 s[2:3], 1, v1
	s_and_saveexec_b64 s[42:43], s[4:5]
	s_cbranch_execz .LBB107_13
; %bb.9:                                ;   in Loop: Header=BB107_3 Depth=1
	s_and_b64 vcc, exec, s[2:3]
	v_mov_b32_e32 v8, 0
	v_mov_b32_e32 v2, v30
	s_cbranch_vccnz .LBB107_12
; %bb.10:                               ;   in Loop: Header=BB107_3 Depth=1
	v_mov_b32_e32 v8, 0
	s_mov_b64 s[4:5], s[22:23]
	s_mov_b32 s44, s61
	v_mov_b32_e32 v2, v30
.LBB107_11:                             ;   Parent Loop BB107_3 Depth=1
                                        ; =>  This Inner Loop Header: Depth=2
	s_load_dword s45, s[4:5], 0x0
	s_load_dword s46, s[4:5], 0x64
	s_waitcnt vmcnt(2)
	v_mov_b32_e32 v7, v2
	s_add_i32 s44, s44, -1
	s_waitcnt lgkmcnt(0)
	v_cvt_f32_u32_e32 v2, s45
	s_sub_i32 s47, 0, s45
	s_add_u32 s4, s4, -4
	s_addc_u32 s5, s5, -1
	v_rcp_iflag_f32_e32 v2, v2
	s_cmp_gt_u32 s44, 2
	v_mul_f32_e32 v2, 0x4f7ffffe, v2
	v_cvt_u32_f32_e32 v2, v2
	s_waitcnt vmcnt(1)
	v_mul_lo_u32 v9, s47, v2
	v_mul_hi_u32 v9, v2, v9
	v_add_u32_e32 v2, v2, v9
	v_mul_hi_u32 v2, v7, v2
	v_mul_lo_u32 v9, v2, s45
	v_sub_u32_e32 v9, v7, v9
	v_add_u32_e32 v10, 1, v2
	v_cmp_le_u32_e32 vcc, s45, v9
	v_cndmask_b32_e32 v2, v2, v10, vcc
	v_subrev_u32_e32 v10, s45, v9
	v_cndmask_b32_e32 v9, v9, v10, vcc
	v_add_u32_e32 v10, 1, v2
	v_cmp_le_u32_e32 vcc, s45, v9
	v_cndmask_b32_e32 v2, v2, v10, vcc
	v_mul_lo_u32 v9, v2, s45
	v_sub_u32_e32 v7, v7, v9
	v_mad_u64_u32 v[8:9], s[46:47], s46, v7, v[8:9]
	s_cbranch_scc1 .LBB107_11
.LBB107_12:                             ;   in Loop: Header=BB107_3 Depth=1
	s_waitcnt vmcnt(1) lgkmcnt(0)
	v_mad_u64_u32 v[8:9], s[4:5], s57, v2, v[8:9]
	v_mov_b32_e32 v2, v8
.LBB107_13:                             ;   in Loop: Header=BB107_3 Depth=1
	s_or_b64 exec, exec, s[42:43]
	s_waitcnt vmcnt(2)
	v_or_b32_e32 v7, 1, v30
	v_cmp_lt_i32_e64 s[4:5], 1, v31
	v_mov_b32_e32 v8, 0
	s_and_saveexec_b64 s[42:43], s[4:5]
	s_cbranch_execz .LBB107_18
; %bb.14:                               ;   in Loop: Header=BB107_3 Depth=1
	s_and_b64 vcc, exec, s[0:1]
	v_mov_b32_e32 v8, 0
	v_mov_b32_e32 v10, v7
	s_cbranch_vccnz .LBB107_17
; %bb.15:                               ;   in Loop: Header=BB107_3 Depth=1
	v_mov_b32_e32 v8, 0
	s_mov_b64 s[44:45], s[20:21]
	s_mov_b32 s46, s60
	v_mov_b32_e32 v10, v7
.LBB107_16:                             ;   Parent Loop BB107_3 Depth=1
                                        ; =>  This Inner Loop Header: Depth=2
	s_load_dword s47, s[44:45], 0x0
	s_load_dword s48, s[44:45], 0x64
	s_waitcnt vmcnt(1)
	v_mov_b32_e32 v9, v10
	s_add_i32 s46, s46, -1
	s_waitcnt lgkmcnt(0)
	v_cvt_f32_u32_e32 v10, s47
	s_sub_i32 s49, 0, s47
	s_add_u32 s44, s44, -4
	s_addc_u32 s45, s45, -1
	v_rcp_iflag_f32_e32 v10, v10
	s_cmp_gt_u32 s46, 2
	v_mul_f32_e32 v10, 0x4f7ffffe, v10
	v_cvt_u32_f32_e32 v10, v10
	s_waitcnt vmcnt(0)
	v_mul_lo_u32 v11, s49, v10
	v_mul_hi_u32 v11, v10, v11
	v_add_u32_e32 v10, v10, v11
	v_mul_hi_u32 v10, v9, v10
	v_mul_lo_u32 v11, v10, s47
	v_sub_u32_e32 v11, v9, v11
	v_add_u32_e32 v12, 1, v10
	v_cmp_le_u32_e32 vcc, s47, v11
	v_cndmask_b32_e32 v10, v10, v12, vcc
	v_subrev_u32_e32 v12, s47, v11
	v_cndmask_b32_e32 v11, v11, v12, vcc
	v_add_u32_e32 v12, 1, v10
	v_cmp_le_u32_e32 vcc, s47, v11
	v_cndmask_b32_e32 v10, v10, v12, vcc
	v_mul_lo_u32 v11, v10, s47
	v_sub_u32_e32 v9, v9, v11
	v_mad_u64_u32 v[8:9], s[48:49], s48, v9, v[8:9]
	s_cbranch_scc1 .LBB107_16
.LBB107_17:                             ;   in Loop: Header=BB107_3 Depth=1
	s_waitcnt vmcnt(1)
	v_mad_u64_u32 v[8:9], s[44:45], s56, v10, v[8:9]
.LBB107_18:                             ;   in Loop: Header=BB107_3 Depth=1
	s_or_b64 exec, exec, s[42:43]
	v_mov_b32_e32 v12, 0
	s_and_saveexec_b64 s[42:43], s[4:5]
	s_cbranch_execz .LBB107_23
; %bb.19:                               ;   in Loop: Header=BB107_3 Depth=1
	s_and_b64 vcc, exec, s[2:3]
	v_mov_b32_e32 v10, 0
	s_cbranch_vccnz .LBB107_22
; %bb.20:                               ;   in Loop: Header=BB107_3 Depth=1
	v_mov_b32_e32 v10, 0
	s_mov_b64 s[4:5], s[22:23]
	s_mov_b32 s44, s61
.LBB107_21:                             ;   Parent Loop BB107_3 Depth=1
                                        ; =>  This Inner Loop Header: Depth=2
	s_load_dword s45, s[4:5], 0x0
	s_load_dword s46, s[4:5], 0x64
	s_waitcnt vmcnt(1)
	v_mov_b32_e32 v9, v7
	s_add_i32 s44, s44, -1
	s_waitcnt lgkmcnt(0)
	v_cvt_f32_u32_e32 v7, s45
	s_sub_i32 s47, 0, s45
	s_add_u32 s4, s4, -4
	s_addc_u32 s5, s5, -1
	v_rcp_iflag_f32_e32 v7, v7
	s_cmp_gt_u32 s44, 2
	v_mul_f32_e32 v7, 0x4f7ffffe, v7
	v_cvt_u32_f32_e32 v7, v7
	s_waitcnt vmcnt(0)
	v_mul_lo_u32 v11, s47, v7
	v_mul_hi_u32 v11, v7, v11
	v_add_u32_e32 v7, v7, v11
	v_mul_hi_u32 v7, v9, v7
	v_mul_lo_u32 v11, v7, s45
	v_sub_u32_e32 v11, v9, v11
	v_add_u32_e32 v12, 1, v7
	v_cmp_le_u32_e32 vcc, s45, v11
	v_cndmask_b32_e32 v7, v7, v12, vcc
	v_subrev_u32_e32 v12, s45, v11
	v_cndmask_b32_e32 v11, v11, v12, vcc
	v_add_u32_e32 v12, 1, v7
	v_cmp_le_u32_e32 vcc, s45, v11
	v_cndmask_b32_e32 v7, v7, v12, vcc
	v_mul_lo_u32 v11, v7, s45
	v_sub_u32_e32 v9, v9, v11
	v_mad_u64_u32 v[10:11], s[46:47], s46, v9, v[10:11]
	s_cbranch_scc1 .LBB107_21
.LBB107_22:                             ;   in Loop: Header=BB107_3 Depth=1
	s_waitcnt vmcnt(0) lgkmcnt(0)
	v_mad_u64_u32 v[12:13], s[4:5], s57, v7, v[10:11]
.LBB107_23:                             ;   in Loop: Header=BB107_3 Depth=1
	s_or_b64 exec, exec, s[42:43]
	v_or_b32_e32 v7, 2, v30
	v_cmp_lt_i32_e64 s[4:5], 2, v31
	v_mov_b32_e32 v10, 0
	s_and_saveexec_b64 s[42:43], s[4:5]
	s_cbranch_execz .LBB107_28
; %bb.24:                               ;   in Loop: Header=BB107_3 Depth=1
	s_and_b64 vcc, exec, s[0:1]
	v_mov_b32_e32 v10, 0
	s_waitcnt vmcnt(1)
	v_mov_b32_e32 v9, v7
	s_cbranch_vccnz .LBB107_27
; %bb.25:                               ;   in Loop: Header=BB107_3 Depth=1
	v_mov_b32_e32 v10, 0
	s_mov_b64 s[44:45], s[20:21]
	s_mov_b32 s46, s60
	v_mov_b32_e32 v9, v7
.LBB107_26:                             ;   Parent Loop BB107_3 Depth=1
                                        ; =>  This Inner Loop Header: Depth=2
	s_load_dword s47, s[44:45], 0x0
	s_load_dword s48, s[44:45], 0x64
	s_waitcnt vmcnt(0)
	v_mov_b32_e32 v11, v9
	s_add_i32 s46, s46, -1
	s_waitcnt lgkmcnt(0)
	v_cvt_f32_u32_e32 v9, s47
	s_sub_i32 s49, 0, s47
	s_add_u32 s44, s44, -4
	s_addc_u32 s45, s45, -1
	v_rcp_iflag_f32_e32 v9, v9
	s_cmp_gt_u32 s46, 2
	v_mul_f32_e32 v9, 0x4f7ffffe, v9
	v_cvt_u32_f32_e32 v9, v9
	v_mul_lo_u32 v13, s49, v9
	v_mul_hi_u32 v13, v9, v13
	v_add_u32_e32 v9, v9, v13
	v_mul_hi_u32 v9, v11, v9
	v_mul_lo_u32 v13, v9, s47
	v_sub_u32_e32 v13, v11, v13
	v_add_u32_e32 v14, 1, v9
	v_cmp_le_u32_e32 vcc, s47, v13
	v_cndmask_b32_e32 v9, v9, v14, vcc
	v_subrev_u32_e32 v14, s47, v13
	v_cndmask_b32_e32 v13, v13, v14, vcc
	v_add_u32_e32 v14, 1, v9
	v_cmp_le_u32_e32 vcc, s47, v13
	v_cndmask_b32_e32 v9, v9, v14, vcc
	v_mul_lo_u32 v13, v9, s47
	v_sub_u32_e32 v11, v11, v13
	v_mad_u64_u32 v[10:11], s[48:49], s48, v11, v[10:11]
	s_cbranch_scc1 .LBB107_26
.LBB107_27:                             ;   in Loop: Header=BB107_3 Depth=1
	s_waitcnt vmcnt(0)
	v_mad_u64_u32 v[10:11], s[44:45], s56, v9, v[10:11]
.LBB107_28:                             ;   in Loop: Header=BB107_3 Depth=1
	s_or_b64 exec, exec, s[42:43]
	v_pk_mov_b32 v[16:17], 0, 0
	s_and_saveexec_b64 s[42:43], s[4:5]
	s_cbranch_execz .LBB107_33
; %bb.29:                               ;   in Loop: Header=BB107_3 Depth=1
	s_and_b64 vcc, exec, s[2:3]
	v_mov_b32_e32 v14, 0
	s_cbranch_vccnz .LBB107_32
; %bb.30:                               ;   in Loop: Header=BB107_3 Depth=1
	v_mov_b32_e32 v14, 0
	s_mov_b64 s[4:5], s[22:23]
	s_mov_b32 s44, s61
.LBB107_31:                             ;   Parent Loop BB107_3 Depth=1
                                        ; =>  This Inner Loop Header: Depth=2
	s_load_dword s45, s[4:5], 0x0
	s_load_dword s46, s[4:5], 0x64
	s_waitcnt vmcnt(1)
	v_mov_b32_e32 v9, v7
	s_add_i32 s44, s44, -1
	s_waitcnt lgkmcnt(0)
	v_cvt_f32_u32_e32 v7, s45
	s_sub_i32 s47, 0, s45
	s_add_u32 s4, s4, -4
	s_addc_u32 s5, s5, -1
	v_rcp_iflag_f32_e32 v7, v7
	s_cmp_gt_u32 s44, 2
	v_mul_f32_e32 v7, 0x4f7ffffe, v7
	v_cvt_u32_f32_e32 v7, v7
	s_waitcnt vmcnt(0)
	v_mul_lo_u32 v11, s47, v7
	v_mul_hi_u32 v11, v7, v11
	v_add_u32_e32 v7, v7, v11
	v_mul_hi_u32 v7, v9, v7
	v_mul_lo_u32 v11, v7, s45
	v_sub_u32_e32 v11, v9, v11
	v_add_u32_e32 v13, 1, v7
	v_cmp_le_u32_e32 vcc, s45, v11
	v_cndmask_b32_e32 v7, v7, v13, vcc
	v_subrev_u32_e32 v13, s45, v11
	v_cndmask_b32_e32 v11, v11, v13, vcc
	v_add_u32_e32 v13, 1, v7
	v_cmp_le_u32_e32 vcc, s45, v11
	v_cndmask_b32_e32 v7, v7, v13, vcc
	v_mul_lo_u32 v11, v7, s45
	v_sub_u32_e32 v9, v9, v11
	v_mad_u64_u32 v[14:15], s[46:47], s46, v9, v[14:15]
	s_cbranch_scc1 .LBB107_31
.LBB107_32:                             ;   in Loop: Header=BB107_3 Depth=1
	s_waitcnt lgkmcnt(0)
	v_mad_u64_u32 v[16:17], s[4:5], s57, v7, v[14:15]
	v_mov_b32_e32 v17, v3
.LBB107_33:                             ;   in Loop: Header=BB107_3 Depth=1
	s_or_b64 exec, exec, s[42:43]
	v_or_b32_e32 v7, 3, v30
	v_cmp_lt_i32_e64 s[4:5], 3, v31
	v_pk_mov_b32 v[14:15], 0, 0
	s_and_saveexec_b64 s[42:43], s[4:5]
	s_cbranch_execz .LBB107_38
; %bb.34:                               ;   in Loop: Header=BB107_3 Depth=1
	s_and_b64 vcc, exec, s[0:1]
	v_mov_b32_e32 v14, 0
	s_waitcnt vmcnt(1)
	v_mov_b32_e32 v9, v7
	s_cbranch_vccnz .LBB107_37
; %bb.35:                               ;   in Loop: Header=BB107_3 Depth=1
	v_mov_b32_e32 v14, 0
	s_mov_b64 s[44:45], s[20:21]
	s_mov_b32 s46, s60
	v_mov_b32_e32 v9, v7
.LBB107_36:                             ;   Parent Loop BB107_3 Depth=1
                                        ; =>  This Inner Loop Header: Depth=2
	s_load_dword s47, s[44:45], 0x0
	s_load_dword s48, s[44:45], 0x64
	s_waitcnt vmcnt(0)
	v_mov_b32_e32 v11, v9
	s_add_i32 s46, s46, -1
	s_waitcnt lgkmcnt(0)
	v_cvt_f32_u32_e32 v9, s47
	s_sub_i32 s49, 0, s47
	s_add_u32 s44, s44, -4
	s_addc_u32 s45, s45, -1
	v_rcp_iflag_f32_e32 v9, v9
	s_cmp_gt_u32 s46, 2
	v_mul_f32_e32 v9, 0x4f7ffffe, v9
	v_cvt_u32_f32_e32 v9, v9
	v_mul_lo_u32 v13, s49, v9
	v_mul_hi_u32 v13, v9, v13
	v_add_u32_e32 v9, v9, v13
	v_mul_hi_u32 v9, v11, v9
	v_mul_lo_u32 v13, v9, s47
	v_sub_u32_e32 v13, v11, v13
	v_add_u32_e32 v15, 1, v9
	v_cmp_le_u32_e32 vcc, s47, v13
	v_cndmask_b32_e32 v9, v9, v15, vcc
	v_subrev_u32_e32 v15, s47, v13
	v_cndmask_b32_e32 v13, v13, v15, vcc
	v_add_u32_e32 v15, 1, v9
	v_cmp_le_u32_e32 vcc, s47, v13
	v_cndmask_b32_e32 v9, v9, v15, vcc
	v_mul_lo_u32 v13, v9, s47
	v_sub_u32_e32 v11, v11, v13
	v_mad_u64_u32 v[14:15], s[48:49], s48, v11, v[14:15]
	s_cbranch_scc1 .LBB107_36
.LBB107_37:                             ;   in Loop: Header=BB107_3 Depth=1
	v_mad_u64_u32 v[14:15], s[44:45], s56, v9, v[14:15]
	v_mov_b32_e32 v15, v3
.LBB107_38:                             ;   in Loop: Header=BB107_3 Depth=1
	s_or_b64 exec, exec, s[42:43]
	v_pk_mov_b32 v[18:19], 0, 0
	s_and_saveexec_b64 s[42:43], s[4:5]
	s_cbranch_execz .LBB107_43
; %bb.39:                               ;   in Loop: Header=BB107_3 Depth=1
	s_and_b64 vcc, exec, s[2:3]
	v_mov_b32_e32 v18, 0
	s_cbranch_vccnz .LBB107_42
; %bb.40:                               ;   in Loop: Header=BB107_3 Depth=1
	v_mov_b32_e32 v18, 0
	s_mov_b64 s[2:3], s[22:23]
	s_mov_b32 s4, s61
.LBB107_41:                             ;   Parent Loop BB107_3 Depth=1
                                        ; =>  This Inner Loop Header: Depth=2
	s_load_dword s5, s[2:3], 0x0
	s_load_dword s44, s[2:3], 0x64
	s_waitcnt vmcnt(1)
	v_mov_b32_e32 v9, v7
	s_add_i32 s4, s4, -1
	s_waitcnt lgkmcnt(0)
	v_cvt_f32_u32_e32 v7, s5
	s_sub_i32 s45, 0, s5
	s_add_u32 s2, s2, -4
	s_addc_u32 s3, s3, -1
	v_rcp_iflag_f32_e32 v7, v7
	s_cmp_gt_u32 s4, 2
	v_mul_f32_e32 v7, 0x4f7ffffe, v7
	v_cvt_u32_f32_e32 v7, v7
	s_waitcnt vmcnt(0)
	v_mul_lo_u32 v11, s45, v7
	v_mul_hi_u32 v11, v7, v11
	v_add_u32_e32 v7, v7, v11
	v_mul_hi_u32 v7, v9, v7
	v_mul_lo_u32 v11, v7, s5
	v_sub_u32_e32 v11, v9, v11
	v_add_u32_e32 v13, 1, v7
	v_cmp_le_u32_e32 vcc, s5, v11
	v_cndmask_b32_e32 v7, v7, v13, vcc
	v_subrev_u32_e32 v13, s5, v11
	v_cndmask_b32_e32 v11, v11, v13, vcc
	v_add_u32_e32 v13, 1, v7
	v_cmp_le_u32_e32 vcc, s5, v11
	v_cndmask_b32_e32 v7, v7, v13, vcc
	v_mul_lo_u32 v11, v7, s5
	v_sub_u32_e32 v9, v9, v11
	v_mad_u64_u32 v[18:19], s[44:45], s44, v9, v[18:19]
	s_cbranch_scc1 .LBB107_41
.LBB107_42:                             ;   in Loop: Header=BB107_3 Depth=1
	s_waitcnt lgkmcnt(0)
	v_mad_u64_u32 v[18:19], s[2:3], s57, v7, v[18:19]
	v_mov_b32_e32 v19, v3
.LBB107_43:                             ;   in Loop: Header=BB107_3 Depth=1
	s_or_b64 exec, exec, s[42:43]
	v_lshlrev_b64 v[20:21], 2, v[2:3]
	v_mov_b32_e32 v2, s13
	v_add_co_u32_e32 v20, vcc, s12, v20
	v_mov_b32_e32 v13, v3
	v_addc_co_u32_e32 v21, vcc, v2, v21, vcc
	v_lshlrev_b64 v[12:13], 2, v[12:13]
	v_add_co_u32_e32 v12, vcc, s12, v12
	v_addc_co_u32_e32 v13, vcc, v2, v13, vcc
	v_lshlrev_b64 v[16:17], 2, v[16:17]
	v_add_co_u32_e32 v16, vcc, s12, v16
	v_addc_co_u32_e32 v17, vcc, v2, v17, vcc
	v_lshlrev_b64 v[18:19], 2, v[18:19]
	v_add_co_u32_e32 v18, vcc, s12, v18
	v_addc_co_u32_e32 v19, vcc, v2, v19, vcc
	global_load_dword v2, v[20:21], off
	global_load_dword v7, v[12:13], off
	;; [unrolled: 1-line block ×4, first 2 shown]
	s_andn2_b64 vcc, exec, s[16:17]
	v_pk_mov_b32 v[12:13], s[10:11], s[10:11] op_sel:[0,1]
	v_pk_mov_b32 v[16:17], s[8:9], s[8:9] op_sel:[0,1]
	s_cbranch_vccnz .LBB107_45
; %bb.44:                               ;   in Loop: Header=BB107_3 Depth=1
	v_pk_mov_b32 v[12:13], s[10:11], s[10:11] op_sel:[0,1]
	flat_load_dwordx2 v[12:13], v[12:13]
	v_pk_mov_b32 v[16:17], s[8:9], s[8:9] op_sel:[0,1]
	flat_load_dwordx2 v[16:17], v[16:17]
	v_mov_b32_e32 v18, s7
	s_waitcnt vmcnt(0) lgkmcnt(0)
	v_add_co_u32_e32 v12, vcc, s6, v12
	v_addc_co_u32_e32 v13, vcc, v13, v18, vcc
.LBB107_45:                             ;   in Loop: Header=BB107_3 Depth=1
	v_alignbit_b32 v26, v13, v12, 2
	v_lshrrev_b32_e32 v27, 2, v13
	v_xor_b32_e32 v18, v4, v16
	v_and_b32_e32 v32, 3, v12
	v_mad_u64_u32 v[12:13], s[2:3], v26, s62, 0
	v_xor_b32_e32 v18, v18, v27
	v_xor_b32_e32 v13, v13, v17
	v_add_u32_e32 v37, 0xbb67ae85, v17
	v_mad_u64_u32 v[18:19], s[2:3], v18, s62, 0
	v_mad_u64_u32 v[20:21], s[2:3], v13, s58, 0
	v_xor_b32_e32 v19, v37, v19
	v_add_u32_e32 v36, 0x9e3779b9, v16
	v_xor_b32_e32 v13, v0, v21
	v_xor_b32_e32 v19, v19, v12
	v_xor_b32_e32 v13, v13, v36
	v_add_u32_e32 v38, 0x3c6ef372, v16
	v_mad_u64_u32 v[22:23], s[2:3], v19, s58, 0
	v_add_u32_e32 v39, 0x76cf5d0a, v17
	v_mad_u64_u32 v[12:13], s[2:3], v13, s62, 0
	v_xor_b32_e32 v19, v38, v23
	v_xor_b32_e32 v19, v19, v20
	v_xor_b32_e32 v13, v39, v13
	v_xor_b32_e32 v13, v13, v18
	v_add_u32_e32 v41, 0x32370b8f, v17
	v_mad_u64_u32 v[18:19], s[2:3], v19, s62, 0
	v_add_u32_e32 v40, 0xdaa66d2b, v16
	v_mad_u64_u32 v[20:21], s[2:3], v13, s58, 0
	v_xor_b32_e32 v19, v41, v19
	v_xor_b32_e32 v13, v40, v21
	v_xor_b32_e32 v19, v19, v12
	v_xor_b32_e32 v13, v13, v22
	v_add_u32_e32 v42, 0x78dde6e4, v16
	v_mad_u64_u32 v[22:23], s[2:3], v19, s58, 0
	v_add_u32_e32 v43, 0xed9eba14, v17
	v_mad_u64_u32 v[12:13], s[2:3], v13, s62, 0
	v_xor_b32_e32 v19, v42, v23
	v_xor_b32_e32 v19, v19, v20
	v_xor_b32_e32 v13, v43, v13
	v_xor_b32_e32 v13, v13, v18
	v_add_u32_e32 v45, 0xa9066899, v17
	v_mad_u64_u32 v[18:19], s[2:3], v19, s62, 0
	v_add_u32_e32 v44, 0x1715609d, v16
	v_mad_u64_u32 v[20:21], s[2:3], v13, s58, 0
	v_xor_b32_e32 v19, v45, v19
	v_xor_b32_e32 v13, v44, v21
	v_xor_b32_e32 v19, v19, v12
	v_xor_b32_e32 v13, v13, v22
	v_add_u32_e32 v46, 0xb54cda56, v16
	v_mad_u64_u32 v[22:23], s[2:3], v19, s58, 0
	v_add_u32_e32 v47, 0x646e171e, v17
	v_mad_u64_u32 v[12:13], s[2:3], v13, s62, 0
	v_xor_b32_e32 v19, v46, v23
	v_xor_b32_e32 v19, v19, v20
	v_xor_b32_e32 v13, v47, v13
	;; [unrolled: 1-line block ×3, first 2 shown]
	v_add_u32_e32 v49, 0x1fd5c5a3, v17
	v_mad_u64_u32 v[18:19], s[2:3], v19, s62, 0
	v_xor_b32_e32 v19, v49, v19
	v_xor_b32_e32 v12, v19, v12
	v_add_u32_e32 v48, 0x5384540f, v16
	v_mad_u64_u32 v[24:25], s[2:3], v13, s58, 0
	v_add_co_u32_e32 v34, vcc, s63, v16
	v_mad_u64_u32 v[20:21], s[2:3], v12, s58, 0
	v_xor_b32_e32 v13, v48, v25
	v_xor_b32_e32 v12, v34, v21
	;; [unrolled: 1-line block ×4, first 2 shown]
	v_mad_u64_u32 v[22:23], s[2:3], v13, s62, 0
	v_mad_u64_u32 v[12:13], s[2:3], v12, s62, 0
	v_add_u32_e32 v35, 0x96a522ad, v17
	v_xor_b32_e32 v13, v13, v22
	v_xor_b32_e32 v33, v35, v13
	v_add_co_u32_e32 v13, vcc, 1, v26
	v_cndmask_b32_e64 v22, 0, 1, vcc
	v_addc_co_u32_e32 v28, vcc, 0, v27, vcc
	v_cmp_eq_u32_e32 vcc, 0, v28
	v_cndmask_b32_e32 v22, 0, v22, vcc
	v_add_u32_e32 v26, v22, v5
	v_cmp_eq_u32_e32 vcc, 0, v26
	v_mad_u64_u32 v[24:25], s[2:3], v13, s62, 0
	v_mad_u64_u32 v[26:27], s[2:3], v26, s58, 0
	v_add_u32_e32 v21, 0x8ff34781, v16
	v_cndmask_b32_e32 v22, 0, v22, vcc
	v_xor_b32_e32 v13, v27, v16
	v_xor_b32_e32 v16, v25, v17
	;; [unrolled: 1-line block ×4, first 2 shown]
	v_mad_u64_u32 v[28:29], s[2:3], v22, s58, 0
	v_add_u32_e32 v19, 0xdb3d7428, v17
	v_mad_u64_u32 v[16:17], s[2:3], v13, s62, 0
	v_xor_b32_e32 v13, v36, v29
	v_xor_b32_e32 v13, v13, v26
	v_xor_b32_e32 v17, v37, v17
	v_xor_b32_e32 v17, v17, v24
	v_mad_u64_u32 v[24:25], s[2:3], v13, s62, 0
	v_mad_u64_u32 v[26:27], s[2:3], v17, s58, 0
	v_xor_b32_e32 v17, v39, v25
	v_xor_b32_e32 v13, v38, v27
	v_xor_b32_e32 v22, v17, v16
	v_xor_b32_e32 v13, v13, v28
	v_mad_u64_u32 v[28:29], s[2:3], v22, s58, 0
	;; [unrolled: 6-line block ×7, first 2 shown]
	v_xor_b32_e32 v13, v19, v27
	v_xor_b32_e32 v13, v13, v16
	v_mad_u64_u32 v[28:29], s[2:3], v17, s58, 0
	v_mad_u64_u32 v[16:17], s[2:3], v13, s58, 0
	v_xor_b32_e32 v13, v17, v28
	v_xor_b32_e32 v13, v21, v13
	v_cmp_lt_i32_e32 vcc, 1, v32
                                        ; implicit-def: $vgpr25
	s_and_saveexec_b64 s[2:3], vcc
	s_xor_b64 s[2:3], exec, s[2:3]
	s_cbranch_execz .LBB107_51
; %bb.46:                               ;   in Loop: Header=BB107_3 Depth=1
	v_cmp_lt_i32_e32 vcc, 2, v32
                                        ; implicit-def: $vgpr25
	s_and_saveexec_b64 s[4:5], vcc
	s_xor_b64 s[4:5], exec, s[4:5]
; %bb.47:                               ;   in Loop: Header=BB107_3 Depth=1
	v_xor_b32_e32 v17, v34, v29
	v_xor_b32_e32 v17, v17, v24
	v_mul_hi_u32 v17, v17, s62
	v_xor_b32_e32 v17, v17, v26
	v_xor_b32_e32 v25, v35, v17
                                        ; implicit-def: $vgpr33
; %bb.48:                               ;   in Loop: Header=BB107_3 Depth=1
	s_andn2_saveexec_b64 s[4:5], s[4:5]
; %bb.49:                               ;   in Loop: Header=BB107_3 Depth=1
	v_mov_b32_e32 v25, v16
	v_mov_b32_e32 v16, v13
	;; [unrolled: 1-line block ×4, first 2 shown]
; %bb.50:                               ;   in Loop: Header=BB107_3 Depth=1
	s_or_b64 exec, exec, s[4:5]
                                        ; implicit-def: $vgpr18_vgpr19
                                        ; implicit-def: $vgpr20_vgpr21
                                        ; implicit-def: $vgpr32
                                        ; implicit-def: $vgpr33
                                        ; implicit-def: $vgpr22_vgpr23
                                        ; implicit-def: $vgpr19
                                        ; implicit-def: $vgpr21
.LBB107_51:                             ;   in Loop: Header=BB107_3 Depth=1
	s_andn2_saveexec_b64 s[2:3], s[2:3]
	s_cbranch_execz .LBB107_55
; %bb.52:                               ;   in Loop: Header=BB107_3 Depth=1
	v_xor_b32_e32 v16, v19, v23
	v_xor_b32_e32 v16, v16, v18
	v_mad_u64_u32 v[18:19], s[4:5], v16, s58, 0
	v_xor_b32_e32 v16, v19, v20
	v_xor_b32_e32 v17, v21, v16
	v_cmp_eq_u32_e32 vcc, 1, v32
	v_mov_b32_e32 v25, v12
	v_mov_b32_e32 v16, v33
	;; [unrolled: 1-line block ×3, first 2 shown]
	s_and_saveexec_b64 s[4:5], vcc
; %bb.53:                               ;   in Loop: Header=BB107_3 Depth=1
	v_mov_b32_e32 v25, v13
	v_mov_b32_e32 v16, v12
	;; [unrolled: 1-line block ×4, first 2 shown]
; %bb.54:                               ;   in Loop: Header=BB107_3 Depth=1
	s_or_b64 exec, exec, s[4:5]
	v_mov_b32_e32 v12, v17
	v_mov_b32_e32 v13, v19
.LBB107_55:                             ;   in Loop: Header=BB107_3 Depth=1
	s_or_b64 exec, exec, s[2:3]
	v_min_i32_e32 v17, 4, v31
	v_cmp_lt_i32_e32 vcc, 2, v17
	s_mov_b64 s[4:5], 0
	s_mov_b64 s[52:53], 0
	;; [unrolled: 1-line block ×3, first 2 shown]
                                        ; implicit-def: $sgpr44_sgpr45
                                        ; implicit-def: $sgpr46_sgpr47
                                        ; implicit-def: $sgpr48_sgpr49
	s_and_saveexec_b64 s[2:3], vcc
	s_xor_b64 s[50:51], exec, s[2:3]
	s_cbranch_execz .LBB107_67
; %bb.56:                               ;   in Loop: Header=BB107_3 Depth=1
	v_cmp_lt_i32_e32 vcc, 3, v17
	s_mov_b64 s[2:3], -1
	s_mov_b64 s[54:55], 0
                                        ; implicit-def: $sgpr42_sgpr43
                                        ; implicit-def: $sgpr44_sgpr45
	s_and_saveexec_b64 s[46:47], vcc
	s_cbranch_execz .LBB107_62
; %bb.57:                               ;   in Loop: Header=BB107_3 Depth=1
	v_cmp_eq_u32_e32 vcc, 4, v17
	s_mov_b64 s[2:3], 0
	s_mov_b64 s[54:55], -1
                                        ; implicit-def: $sgpr42_sgpr43
                                        ; implicit-def: $sgpr44_sgpr45
	s_and_saveexec_b64 s[48:49], vcc
	s_cbranch_execz .LBB107_61
; %bb.58:                               ;   in Loop: Header=BB107_3 Depth=1
	s_waitcnt vmcnt(0)
	v_cmp_le_f32_e32 vcc, 0, v11
	v_cmp_ge_f32_e64 s[2:3], 1.0, v11
	s_and_b64 s[54:55], vcc, s[2:3]
	s_mov_b64 s[42:43], 0
	s_mov_b64 s[2:3], 0
	s_and_saveexec_b64 s[44:45], s[54:55]
	s_cbranch_execz .LBB107_60
; %bb.59:                               ;   in Loop: Header=BB107_3 Depth=1
	v_cvt_f32_u32_e32 v18, v25
	v_mov_b32_e32 v19, 0x2f800000
	v_lshlrev_b64 v[14:15], 1, v[14:15]
	s_waitcnt lgkmcnt(0)
	v_add_co_u32_e32 v14, vcc, s14, v14
	v_fmac_f32_e32 v19, 0x2f800000, v18
	v_mov_b32_e32 v18, s15
	v_addc_co_u32_e32 v15, vcc, v18, v15, vcc
	v_cmp_le_f32_e32 vcc, v19, v11
	s_mov_b64 s[2:3], exec
	v_cndmask_b32_e64 v11, 0, 1.0, vcc
	global_store_short_d16_hi v[14:15], v11, off
.LBB107_60:                             ;   in Loop: Header=BB107_3 Depth=1
	s_or_b64 exec, exec, s[44:45]
	s_mov_b64 s[44:45], -1
	s_xor_b64 s[54:55], exec, -1
	s_and_b64 s[2:3], s[2:3], exec
.LBB107_61:                             ;   in Loop: Header=BB107_3 Depth=1
	s_or_b64 exec, exec, s[48:49]
	s_and_b64 s[54:55], s[54:55], exec
	s_orn2_b64 s[2:3], s[2:3], exec
.LBB107_62:                             ;   in Loop: Header=BB107_3 Depth=1
	s_or_b64 exec, exec, s[46:47]
	s_mov_b64 s[48:49], s[42:43]
	s_and_saveexec_b64 s[46:47], s[2:3]
	s_cbranch_execz .LBB107_66
; %bb.63:                               ;   in Loop: Header=BB107_3 Depth=1
	s_waitcnt vmcnt(1)
	v_cmp_le_f32_e32 vcc, 0, v9
	v_cmp_ge_f32_e64 s[2:3], 1.0, v9
	s_and_b64 s[48:49], vcc, s[2:3]
	s_mov_b64 s[2:3], 0
	s_and_saveexec_b64 s[52:53], s[48:49]
	s_xor_b64 s[48:49], exec, s[52:53]
	s_cbranch_execz .LBB107_65
; %bb.64:                               ;   in Loop: Header=BB107_3 Depth=1
	v_cvt_f32_u32_e32 v14, v16
	s_waitcnt vmcnt(0)
	v_mov_b32_e32 v11, v3
	v_mov_b32_e32 v15, 0x2f800000
	v_lshlrev_b64 v[10:11], 1, v[10:11]
	v_fmac_f32_e32 v15, 0x2f800000, v14
	s_waitcnt lgkmcnt(0)
	v_mov_b32_e32 v14, s15
	v_add_co_u32_e32 v10, vcc, s14, v10
	v_addc_co_u32_e32 v11, vcc, v14, v11, vcc
	v_cmp_le_f32_e32 vcc, v15, v9
	v_cndmask_b32_e64 v9, 0, 1.0, vcc
	s_mov_b64 s[2:3], exec
	global_store_short_d16_hi v[10:11], v9, off
.LBB107_65:                             ;   in Loop: Header=BB107_3 Depth=1
	s_or_b64 exec, exec, s[48:49]
	s_andn2_b64 s[48:49], s[42:43], exec
	s_or_b64 s[42:43], s[42:43], exec
	s_andn2_b64 s[44:45], s[44:45], exec
	s_and_b64 s[52:53], s[2:3], exec
.LBB107_66:                             ;   in Loop: Header=BB107_3 Depth=1
	s_or_b64 exec, exec, s[46:47]
	s_and_b64 s[48:49], s[48:49], exec
	s_and_b64 s[46:47], s[42:43], exec
	;; [unrolled: 1-line block ×5, first 2 shown]
.LBB107_67:                             ;   in Loop: Header=BB107_3 Depth=1
	s_andn2_saveexec_b64 s[2:3], s[50:51]
; %bb.68:                               ;   in Loop: Header=BB107_3 Depth=1
	v_cmp_lt_i32_e32 vcc, 1, v17
	s_andn2_b64 s[50:51], s[52:53], exec
	s_and_b64 s[52:53], vcc, exec
	s_mov_b64 s[4:5], exec
	s_andn2_b64 s[48:49], s[48:49], exec
	s_andn2_b64 s[46:47], s[46:47], exec
	;; [unrolled: 1-line block ×3, first 2 shown]
	s_or_b64 s[52:53], s[50:51], s[52:53]
; %bb.69:                               ;   in Loop: Header=BB107_3 Depth=1
	s_or_b64 exec, exec, s[2:3]
	s_mov_b64 s[2:3], 0
	s_mov_b64 s[50:51], s[48:49]
	s_and_saveexec_b64 s[54:55], s[52:53]
	s_cbranch_execnz .LBB107_72
; %bb.70:                               ;   in Loop: Header=BB107_3 Depth=1
	s_or_b64 exec, exec, s[54:55]
	s_and_saveexec_b64 s[52:53], s[4:5]
	s_cbranch_execnz .LBB107_75
.LBB107_71:                             ;   in Loop: Header=BB107_3 Depth=1
	s_or_b64 exec, exec, s[52:53]
	s_and_saveexec_b64 s[4:5], s[2:3]
	s_cbranch_execnz .LBB107_76
	s_branch .LBB107_79
.LBB107_72:                             ;   in Loop: Header=BB107_3 Depth=1
	s_waitcnt vmcnt(2)
	v_cmp_le_f32_e32 vcc, 0, v7
	v_cmp_ge_f32_e64 s[2:3], 1.0, v7
	s_and_b64 s[50:51], vcc, s[2:3]
	s_mov_b64 s[2:3], 0
	s_and_saveexec_b64 s[52:53], s[50:51]
	s_xor_b64 s[50:51], exec, s[52:53]
	s_cbranch_execz .LBB107_74
; %bb.73:                               ;   in Loop: Header=BB107_3 Depth=1
	v_cvt_f32_u32_e32 v10, v13
	s_waitcnt vmcnt(1)
	v_mov_b32_e32 v9, v3
	s_waitcnt vmcnt(0)
	v_mov_b32_e32 v11, 0x2f800000
	v_lshlrev_b64 v[8:9], 1, v[8:9]
	v_fmac_f32_e32 v11, 0x2f800000, v10
	s_waitcnt lgkmcnt(0)
	v_mov_b32_e32 v10, s15
	v_add_co_u32_e32 v8, vcc, s14, v8
	v_addc_co_u32_e32 v9, vcc, v10, v9, vcc
	v_cmp_le_f32_e32 vcc, v11, v7
	v_cndmask_b32_e64 v7, 0, 1.0, vcc
	s_mov_b64 s[2:3], exec
	global_store_short_d16_hi v[8:9], v7, off
.LBB107_74:                             ;   in Loop: Header=BB107_3 Depth=1
	s_or_b64 exec, exec, s[50:51]
	s_andn2_b64 s[50:51], s[48:49], exec
	s_or_b64 s[48:49], s[48:49], exec
	s_andn2_b64 s[46:47], s[46:47], exec
	s_andn2_b64 s[44:45], s[44:45], exec
	s_and_b64 s[2:3], s[2:3], exec
	s_andn2_b64 s[4:5], s[4:5], exec
	s_or_b64 exec, exec, s[54:55]
	s_and_saveexec_b64 s[52:53], s[4:5]
	s_cbranch_execz .LBB107_71
.LBB107_75:                             ;   in Loop: Header=BB107_3 Depth=1
	v_cmp_eq_u32_e32 vcc, 1, v17
	s_andn2_b64 s[2:3], s[2:3], exec
	s_and_b64 s[4:5], vcc, exec
	s_andn2_b64 s[50:51], s[50:51], exec
	s_andn2_b64 s[48:49], s[48:49], exec
	;; [unrolled: 1-line block ×4, first 2 shown]
	s_or_b64 s[42:43], s[42:43], exec
	s_or_b64 s[2:3], s[2:3], s[4:5]
	s_or_b64 exec, exec, s[52:53]
	s_and_saveexec_b64 s[4:5], s[2:3]
	s_cbranch_execz .LBB107_79
.LBB107_76:                             ;   in Loop: Header=BB107_3 Depth=1
	s_waitcnt vmcnt(3)
	v_cmp_le_f32_e32 vcc, 0, v2
	v_cmp_ge_f32_e64 s[2:3], 1.0, v2
	s_and_b64 s[54:55], vcc, s[2:3]
	s_mov_b64 s[2:3], 0
	s_and_saveexec_b64 s[52:53], s[54:55]
	s_cbranch_execz .LBB107_78
; %bb.77:                               ;   in Loop: Header=BB107_3 Depth=1
	v_cvt_f32_u32_e32 v8, v12
	s_waitcnt vmcnt(2)
	v_mov_b32_e32 v7, v3
	s_waitcnt vmcnt(1)
	v_mov_b32_e32 v9, 0x2f800000
	v_lshlrev_b64 v[6:7], 1, v[6:7]
	v_fmac_f32_e32 v9, 0x2f800000, v8
	s_waitcnt lgkmcnt(0)
	v_mov_b32_e32 v8, s15
	v_add_co_u32_e32 v6, vcc, s14, v6
	v_addc_co_u32_e32 v7, vcc, v8, v7, vcc
	v_cmp_le_f32_e32 vcc, v9, v2
	s_mov_b64 s[2:3], exec
	v_cndmask_b32_e64 v2, 0, 1.0, vcc
	global_store_short_d16_hi v[6:7], v2, off
.LBB107_78:                             ;   in Loop: Header=BB107_3 Depth=1
	s_or_b64 exec, exec, s[52:53]
	s_andn2_b64 s[42:43], s[42:43], exec
	s_and_b64 s[2:3], s[2:3], exec
	s_or_b64 s[50:51], s[50:51], exec
	s_andn2_b64 s[48:49], s[48:49], exec
	s_andn2_b64 s[46:47], s[46:47], exec
	s_andn2_b64 s[44:45], s[44:45], exec
	s_or_b64 s[42:43], s[42:43], s[2:3]
.LBB107_79:                             ;   in Loop: Header=BB107_3 Depth=1
	s_or_b64 exec, exec, s[4:5]
	s_andn2_b64 s[4:5], s[40:41], exec
	s_and_b64 s[40:41], s[50:51], exec
	s_or_b64 s[40:41], s[4:5], s[40:41]
	s_andn2_b64 s[4:5], s[38:39], exec
	s_and_b64 s[38:39], s[48:49], exec
	s_or_b64 s[38:39], s[4:5], s[38:39]
	;; [unrolled: 3-line block ×3, first 2 shown]
	s_andn2_b64 s[4:5], s[34:35], exec
	s_and_b64 s[34:35], s[44:45], exec
	s_mov_b64 s[2:3], -1
	s_or_b64 s[34:35], s[4:5], s[34:35]
	s_and_saveexec_b64 s[4:5], s[42:43]
	s_cbranch_execz .LBB107_2
; %bb.80:                               ;   in Loop: Header=BB107_3 Depth=1
	v_add_u32_e32 v30, s59, v30
	v_cmp_le_u32_e32 vcc, s33, v30
	s_andn2_b64 s[40:41], s[40:41], exec
	s_andn2_b64 s[38:39], s[38:39], exec
	;; [unrolled: 1-line block ×4, first 2 shown]
	s_orn2_b64 s[2:3], vcc, exec
	s_branch .LBB107_2
.LBB107_81:
	s_or_b64 exec, exec, s[24:25]
	s_xor_b64 s[6:7], s[30:31], -1
	s_xor_b64 s[8:9], s[28:29], -1
	;; [unrolled: 1-line block ×3, first 2 shown]
	s_mov_b64 s[2:3], 0
	s_and_saveexec_b64 s[4:5], s[0:1]
	s_xor_b64 s[0:1], exec, s[4:5]
	s_cbranch_execnz .LBB107_86
; %bb.82:
	s_andn2_saveexec_b64 s[0:1], s[0:1]
	s_cbranch_execnz .LBB107_94
.LBB107_83:
	s_or_b64 exec, exec, s[0:1]
	s_and_b64 exec, exec, s[2:3]
.LBB107_84:
	; divergent unreachable
.LBB107_85:
	s_endpgm
.LBB107_86:
	s_mov_b64 s[4:5], 0
	s_and_saveexec_b64 s[2:3], s[8:9]
	s_xor_b64 s[2:3], exec, s[2:3]
	s_cbranch_execz .LBB107_92
; %bb.87:
	s_and_saveexec_b64 s[8:9], s[6:7]
	s_xor_b64 s[6:7], exec, s[8:9]
	s_cbranch_execz .LBB107_90
; %bb.88:
	s_and_saveexec_b64 s[8:9], s[18:19]
	s_xor_b64 s[8:9], exec, s[8:9]
	s_cbranch_execnz .LBB107_97
.LBB107_89:
	s_or_b64 exec, exec, s[8:9]
	s_and_b64 s[4:5], s[4:5], exec
.LBB107_90:
	s_andn2_saveexec_b64 s[6:7], s[6:7]
	s_cbranch_execnz .LBB107_96
.LBB107_91:
	s_or_b64 exec, exec, s[6:7]
	s_and_b64 s[4:5], s[4:5], exec
.LBB107_92:
	s_andn2_saveexec_b64 s[2:3], s[2:3]
	s_cbranch_execnz .LBB107_95
.LBB107_93:
	s_or_b64 exec, exec, s[2:3]
	s_and_b64 s[2:3], s[4:5], exec
	s_andn2_saveexec_b64 s[0:1], s[0:1]
	s_cbranch_execz .LBB107_83
.LBB107_94:
	s_or_b64 s[2:3], s[2:3], exec
	s_trap 2
	s_or_b64 exec, exec, s[0:1]
	s_and_b64 exec, exec, s[2:3]
	s_cbranch_execnz .LBB107_84
	s_branch .LBB107_85
.LBB107_95:
	s_or_b64 s[4:5], s[4:5], exec
	s_trap 2
	s_branch .LBB107_93
.LBB107_96:
	s_trap 2
	s_or_b64 s[4:5], s[4:5], exec
	s_branch .LBB107_91
.LBB107_97:
	s_mov_b64 s[4:5], exec
	s_trap 2
	s_branch .LBB107_89
	.section	.rodata,"a",@progbits
	.p2align	6, 0x0
	.amdhsa_kernel _ZN2at4cuda12_GLOBAL__N_121kernelPointwiseApply2IZNS_6native9templates4cuda28bernoulli_tensor_cuda_kernelIN3c108BFloat16EfEEvRKNS_10TensorBaseESB_NS_15PhiloxCudaStateEEUliRS8_SD_SD_SD_RKfSF_SF_SF_E_S8_SE_jLin1ELin1ELi4ELi512ELi2EEEvNS0_6detail10TensorInfoIT0_T2_EENSI_IT1_SK_EESK_T_
		.amdhsa_group_segment_fixed_size 0
		.amdhsa_private_segment_fixed_size 0
		.amdhsa_kernarg_size 728
		.amdhsa_user_sgpr_count 6
		.amdhsa_user_sgpr_private_segment_buffer 1
		.amdhsa_user_sgpr_dispatch_ptr 0
		.amdhsa_user_sgpr_queue_ptr 0
		.amdhsa_user_sgpr_kernarg_segment_ptr 1
		.amdhsa_user_sgpr_dispatch_id 0
		.amdhsa_user_sgpr_flat_scratch_init 0
		.amdhsa_user_sgpr_kernarg_preload_length 0
		.amdhsa_user_sgpr_kernarg_preload_offset 0
		.amdhsa_user_sgpr_private_segment_size 0
		.amdhsa_uses_dynamic_stack 0
		.amdhsa_system_sgpr_private_segment_wavefront_offset 0
		.amdhsa_system_sgpr_workgroup_id_x 1
		.amdhsa_system_sgpr_workgroup_id_y 0
		.amdhsa_system_sgpr_workgroup_id_z 0
		.amdhsa_system_sgpr_workgroup_info 0
		.amdhsa_system_vgpr_workitem_id 0
		.amdhsa_next_free_vgpr 50
		.amdhsa_next_free_sgpr 64
		.amdhsa_accum_offset 52
		.amdhsa_reserve_vcc 1
		.amdhsa_reserve_flat_scratch 0
		.amdhsa_float_round_mode_32 0
		.amdhsa_float_round_mode_16_64 0
		.amdhsa_float_denorm_mode_32 3
		.amdhsa_float_denorm_mode_16_64 3
		.amdhsa_dx10_clamp 1
		.amdhsa_ieee_mode 1
		.amdhsa_fp16_overflow 0
		.amdhsa_tg_split 0
		.amdhsa_exception_fp_ieee_invalid_op 0
		.amdhsa_exception_fp_denorm_src 0
		.amdhsa_exception_fp_ieee_div_zero 0
		.amdhsa_exception_fp_ieee_overflow 0
		.amdhsa_exception_fp_ieee_underflow 0
		.amdhsa_exception_fp_ieee_inexact 0
		.amdhsa_exception_int_div_zero 0
	.end_amdhsa_kernel
	.section	.text._ZN2at4cuda12_GLOBAL__N_121kernelPointwiseApply2IZNS_6native9templates4cuda28bernoulli_tensor_cuda_kernelIN3c108BFloat16EfEEvRKNS_10TensorBaseESB_NS_15PhiloxCudaStateEEUliRS8_SD_SD_SD_RKfSF_SF_SF_E_S8_SE_jLin1ELin1ELi4ELi512ELi2EEEvNS0_6detail10TensorInfoIT0_T2_EENSI_IT1_SK_EESK_T_,"axG",@progbits,_ZN2at4cuda12_GLOBAL__N_121kernelPointwiseApply2IZNS_6native9templates4cuda28bernoulli_tensor_cuda_kernelIN3c108BFloat16EfEEvRKNS_10TensorBaseESB_NS_15PhiloxCudaStateEEUliRS8_SD_SD_SD_RKfSF_SF_SF_E_S8_SE_jLin1ELin1ELi4ELi512ELi2EEEvNS0_6detail10TensorInfoIT0_T2_EENSI_IT1_SK_EESK_T_,comdat
.Lfunc_end107:
	.size	_ZN2at4cuda12_GLOBAL__N_121kernelPointwiseApply2IZNS_6native9templates4cuda28bernoulli_tensor_cuda_kernelIN3c108BFloat16EfEEvRKNS_10TensorBaseESB_NS_15PhiloxCudaStateEEUliRS8_SD_SD_SD_RKfSF_SF_SF_E_S8_SE_jLin1ELin1ELi4ELi512ELi2EEEvNS0_6detail10TensorInfoIT0_T2_EENSI_IT1_SK_EESK_T_, .Lfunc_end107-_ZN2at4cuda12_GLOBAL__N_121kernelPointwiseApply2IZNS_6native9templates4cuda28bernoulli_tensor_cuda_kernelIN3c108BFloat16EfEEvRKNS_10TensorBaseESB_NS_15PhiloxCudaStateEEUliRS8_SD_SD_SD_RKfSF_SF_SF_E_S8_SE_jLin1ELin1ELi4ELi512ELi2EEEvNS0_6detail10TensorInfoIT0_T2_EENSI_IT1_SK_EESK_T_
                                        ; -- End function
	.section	.AMDGPU.csdata,"",@progbits
; Kernel info:
; codeLenInByte = 4500
; NumSgprs: 68
; NumVgprs: 50
; NumAgprs: 0
; TotalNumVgprs: 50
; ScratchSize: 0
; MemoryBound: 0
; FloatMode: 240
; IeeeMode: 1
; LDSByteSize: 0 bytes/workgroup (compile time only)
; SGPRBlocks: 8
; VGPRBlocks: 6
; NumSGPRsForWavesPerEU: 68
; NumVGPRsForWavesPerEU: 50
; AccumOffset: 52
; Occupancy: 8
; WaveLimiterHint : 1
; COMPUTE_PGM_RSRC2:SCRATCH_EN: 0
; COMPUTE_PGM_RSRC2:USER_SGPR: 6
; COMPUTE_PGM_RSRC2:TRAP_HANDLER: 0
; COMPUTE_PGM_RSRC2:TGID_X_EN: 1
; COMPUTE_PGM_RSRC2:TGID_Y_EN: 0
; COMPUTE_PGM_RSRC2:TGID_Z_EN: 0
; COMPUTE_PGM_RSRC2:TIDIG_COMP_CNT: 0
; COMPUTE_PGM_RSRC3_GFX90A:ACCUM_OFFSET: 12
; COMPUTE_PGM_RSRC3_GFX90A:TG_SPLIT: 0
	.section	.text._ZN2at4cuda12_GLOBAL__N_121kernelPointwiseApply2IZNS_6native9templates4cuda28bernoulli_tensor_cuda_kernelIN3c108BFloat16EfEEvRKNS_10TensorBaseESB_NS_15PhiloxCudaStateEEUliRS8_SD_SD_SD_RKfSF_SF_SF_E_S8_SE_mLi1ELi1ELi4ELi512ELi2EEEvNS0_6detail10TensorInfoIT0_T2_EENSI_IT1_SK_EESK_T_,"axG",@progbits,_ZN2at4cuda12_GLOBAL__N_121kernelPointwiseApply2IZNS_6native9templates4cuda28bernoulli_tensor_cuda_kernelIN3c108BFloat16EfEEvRKNS_10TensorBaseESB_NS_15PhiloxCudaStateEEUliRS8_SD_SD_SD_RKfSF_SF_SF_E_S8_SE_mLi1ELi1ELi4ELi512ELi2EEEvNS0_6detail10TensorInfoIT0_T2_EENSI_IT1_SK_EESK_T_,comdat
	.globl	_ZN2at4cuda12_GLOBAL__N_121kernelPointwiseApply2IZNS_6native9templates4cuda28bernoulli_tensor_cuda_kernelIN3c108BFloat16EfEEvRKNS_10TensorBaseESB_NS_15PhiloxCudaStateEEUliRS8_SD_SD_SD_RKfSF_SF_SF_E_S8_SE_mLi1ELi1ELi4ELi512ELi2EEEvNS0_6detail10TensorInfoIT0_T2_EENSI_IT1_SK_EESK_T_ ; -- Begin function _ZN2at4cuda12_GLOBAL__N_121kernelPointwiseApply2IZNS_6native9templates4cuda28bernoulli_tensor_cuda_kernelIN3c108BFloat16EfEEvRKNS_10TensorBaseESB_NS_15PhiloxCudaStateEEUliRS8_SD_SD_SD_RKfSF_SF_SF_E_S8_SE_mLi1ELi1ELi4ELi512ELi2EEEvNS0_6detail10TensorInfoIT0_T2_EENSI_IT1_SK_EESK_T_
	.p2align	8
	.type	_ZN2at4cuda12_GLOBAL__N_121kernelPointwiseApply2IZNS_6native9templates4cuda28bernoulli_tensor_cuda_kernelIN3c108BFloat16EfEEvRKNS_10TensorBaseESB_NS_15PhiloxCudaStateEEUliRS8_SD_SD_SD_RKfSF_SF_SF_E_S8_SE_mLi1ELi1ELi4ELi512ELi2EEEvNS0_6detail10TensorInfoIT0_T2_EENSI_IT1_SK_EESK_T_,@function
_ZN2at4cuda12_GLOBAL__N_121kernelPointwiseApply2IZNS_6native9templates4cuda28bernoulli_tensor_cuda_kernelIN3c108BFloat16EfEEvRKNS_10TensorBaseESB_NS_15PhiloxCudaStateEEUliRS8_SD_SD_SD_RKfSF_SF_SF_E_S8_SE_mLi1ELi1ELi4ELi512ELi2EEEvNS0_6detail10TensorInfoIT0_T2_EENSI_IT1_SK_EESK_T_: ; @_ZN2at4cuda12_GLOBAL__N_121kernelPointwiseApply2IZNS_6native9templates4cuda28bernoulli_tensor_cuda_kernelIN3c108BFloat16EfEEvRKNS_10TensorBaseESB_NS_15PhiloxCudaStateEEUliRS8_SD_SD_SD_RKfSF_SF_SF_E_S8_SE_mLi1ELi1ELi4ELi512ELi2EEEvNS0_6detail10TensorInfoIT0_T2_EENSI_IT1_SK_EESK_T_
; %bb.0:
	s_load_dword s2, s[4:5], 0x374
	s_load_dwordx8 s[12:19], s[4:5], 0x340
	s_add_u32 s0, s4, 0x368
	s_addc_u32 s1, s5, 0
	v_mov_b32_e32 v1, 0
	s_waitcnt lgkmcnt(0)
	s_and_b32 s2, s2, 0xffff
	s_mul_i32 s6, s6, s2
	v_add_u32_e32 v5, s6, v0
	v_lshlrev_b32_e32 v0, 2, v5
	v_cmp_gt_u64_e32 vcc, s[12:13], v[0:1]
	s_and_saveexec_b64 s[6:7], vcc
	s_cbranch_execz .LBB108_43
; %bb.1:
	s_load_dword s3, s[0:1], 0x0
	s_load_dword s22, s[4:5], 0x360
	s_load_dwordx2 s[10:11], s[4:5], 0x0
	s_load_dwordx2 s[6:7], s[4:5], 0xd0
	;; [unrolled: 1-line block ×4, first 2 shown]
	s_waitcnt lgkmcnt(0)
	s_mul_i32 s3, s3, s2
	s_bitcmp1_b32 s22, 0
	s_mov_b32 s33, 0xcd9e8d57
	v_pk_mov_b32 v[6:7], s[6:7], s[6:7] op_sel:[0,1]
	s_cselect_b64 s[22:23], -1, 0
	v_mad_u64_u32 v[2:3], s[0:1], v5, s33, 0
	s_lshl_b32 s60, s3, 2
	v_mad_u64_u32 v[6:7], s[0:1], s6, v0, v[6:7]
	s_mul_i32 s0, s7, s60
	s_mul_hi_u32 s1, s6, s60
	v_add_co_u32_e32 v16, vcc, 2, v0
	s_add_i32 s62, s1, s0
	v_addc_co_u32_e64 v17, s[0:1], 0, 0, vcc
	v_add_co_u32_e32 v18, vcc, 3, v0
	v_mul_lo_u32 v10, s7, v16
	v_mul_lo_u32 v11, s6, v17
	v_mad_u64_u32 v[8:9], s[0:1], s6, v16, 0
	v_addc_co_u32_e64 v19, s[0:1], 0, 0, vcc
	v_add3_u32 v9, v9, v11, v10
	v_mul_lo_u32 v12, s7, v18
	v_mul_lo_u32 v13, s6, v19
	v_mad_u64_u32 v[10:11], s[0:1], s6, v18, 0
	v_mul_lo_u32 v14, s7, v0
	v_add3_u32 v11, v11, v13, v12
	v_mad_u64_u32 v[12:13], s[0:1], s6, v0, 0
	v_add_u32_e32 v7, v14, v7
	v_add_u32_e32 v13, v13, v14
	v_pk_mov_b32 v[14:15], s[8:9], s[8:9] op_sel:[0,1]
	v_mad_u64_u32 v[14:15], s[0:1], s8, v0, v[14:15]
	s_mul_i32 s0, s9, s60
	s_mul_hi_u32 s1, s8, s60
	s_add_i32 s64, s1, s0
	v_mul_lo_u32 v20, s9, v16
	v_mul_lo_u32 v21, s8, v17
	v_mad_u64_u32 v[16:17], s[0:1], s8, v16, 0
	v_add3_u32 v17, v17, v21, v20
	v_mul_lo_u32 v20, s9, v18
	v_mul_lo_u32 v21, s8, v19
	v_mad_u64_u32 v[18:19], s[0:1], s8, v18, 0
	v_mul_lo_u32 v22, s9, v0
	v_add3_u32 v19, v19, v21, v20
	v_mad_u64_u32 v[20:21], s[0:1], s8, v0, 0
	v_mov_b32_e32 v4, v3
	s_mov_b32 s61, 0
	v_sub_u32_e32 v3, s12, v0
	s_mul_i32 s63, s6, s60
	v_add_u32_e32 v15, v22, v15
	s_mul_i32 s65, s8, s60
	v_add_u32_e32 v21, v21, v22
	s_mov_b64 s[26:27], 0
	s_mov_b32 s66, 0xd2511f53
	v_mov_b32_e32 v38, s21
	s_mov_b32 s21, 0xf1bbcdc8
	s_mov_b64 s[42:43], 0
	s_mov_b64 s[46:47], 0
                                        ; implicit-def: $sgpr28_sgpr29
                                        ; implicit-def: $sgpr30_sgpr31
                                        ; implicit-def: $sgpr34_sgpr35
                                        ; implicit-def: $sgpr24_sgpr25
                                        ; implicit-def: $sgpr36_sgpr37
                                        ; implicit-def: $sgpr38_sgpr39
                                        ; implicit-def: $sgpr40_sgpr41
                                        ; implicit-def: $sgpr44_sgpr45
	s_branch .LBB108_3
.LBB108_2:                              ;   in Loop: Header=BB108_3 Depth=1
	s_or_b64 exec, exec, s[2:3]
	s_and_b64 s[0:1], exec, s[0:1]
	s_or_b64 s[26:27], s[0:1], s[26:27]
	s_andn2_b64 s[0:1], s[24:25], exec
	s_and_b64 s[2:3], s[44:45], exec
	s_or_b64 s[24:25], s[0:1], s[2:3]
	s_andn2_b64 s[0:1], s[34:35], exec
	s_and_b64 s[2:3], s[40:41], exec
	;; [unrolled: 3-line block ×4, first 2 shown]
	s_or_b64 s[28:29], s[0:1], s[2:3]
	s_andn2_b64 exec, exec, s[26:27]
	s_cbranch_execz .LBB108_39
.LBB108_3:                              ; =>This Inner Loop Header: Depth=1
	v_mov_b32_e32 v28, s43
	v_add_co_u32_e32 v22, vcc, s42, v20
	v_addc_co_u32_e32 v23, vcc, v21, v28, vcc
	v_add_co_u32_e32 v24, vcc, s42, v14
	v_addc_co_u32_e32 v25, vcc, v15, v28, vcc
	v_add_co_u32_e32 v26, vcc, s42, v16
	v_cmp_lt_i32_e64 s[0:1], 0, v3
	v_addc_co_u32_e32 v27, vcc, v17, v28, vcc
	v_cndmask_b32_e64 v23, 0, v23, s[0:1]
	v_cndmask_b32_e64 v22, 0, v22, s[0:1]
	v_add_co_u32_e32 v30, vcc, s42, v18
	v_cmp_lt_i32_e64 s[2:3], 1, v3
	v_addc_co_u32_e32 v28, vcc, v19, v28, vcc
	v_lshlrev_b64 v[22:23], 2, v[22:23]
	v_cndmask_b32_e64 v25, 0, v25, s[2:3]
	v_cndmask_b32_e64 v24, 0, v24, s[2:3]
	v_add_co_u32_e32 v22, vcc, s20, v22
	v_cmp_lt_i32_e64 s[4:5], 2, v3
	v_addc_co_u32_e32 v23, vcc, v38, v23, vcc
	v_lshlrev_b64 v[24:25], 2, v[24:25]
	;; [unrolled: 6-line block ×3, first 2 shown]
	v_cndmask_b32_e64 v29, 0, v28, s[6:7]
	v_cndmask_b32_e64 v28, 0, v30, s[6:7]
	v_add_co_u32_e32 v26, vcc, s20, v26
	v_addc_co_u32_e32 v27, vcc, v38, v27, vcc
	v_lshlrev_b64 v[28:29], 2, v[28:29]
	v_add_co_u32_e32 v28, vcc, s20, v28
	v_addc_co_u32_e32 v29, vcc, v38, v29, vcc
	global_load_dword v39, v[22:23], off
	global_load_dword v40, v[24:25], off
	;; [unrolled: 1-line block ×4, first 2 shown]
	s_andn2_b64 vcc, exec, s[22:23]
	v_pk_mov_b32 v[22:23], s[16:17], s[16:17] op_sel:[0,1]
	v_pk_mov_b32 v[24:25], s[14:15], s[14:15] op_sel:[0,1]
	s_cbranch_vccnz .LBB108_5
; %bb.4:                                ;   in Loop: Header=BB108_3 Depth=1
	v_pk_mov_b32 v[22:23], s[16:17], s[16:17] op_sel:[0,1]
	flat_load_dwordx2 v[22:23], v[22:23]
	v_pk_mov_b32 v[24:25], s[14:15], s[14:15] op_sel:[0,1]
	flat_load_dwordx2 v[24:25], v[24:25]
	v_mov_b32_e32 v26, s19
	s_waitcnt vmcnt(0) lgkmcnt(0)
	v_add_co_u32_e32 v22, vcc, s18, v22
	v_addc_co_u32_e32 v23, vcc, v23, v26, vcc
.LBB108_5:                              ;   in Loop: Header=BB108_3 Depth=1
	v_alignbit_b32 v34, v23, v22, 2
	v_lshrrev_b32_e32 v35, 2, v23
	v_xor_b32_e32 v26, v4, v24
	v_and_b32_e32 v43, 3, v22
	v_mad_u64_u32 v[22:23], s[8:9], v34, s66, 0
	v_xor_b32_e32 v26, v26, v35
	v_xor_b32_e32 v23, v23, v25
	v_add_u32_e32 v48, 0xbb67ae85, v25
	v_mad_u64_u32 v[26:27], s[8:9], v26, s66, 0
	v_mad_u64_u32 v[28:29], s[8:9], v23, s33, 0
	v_xor_b32_e32 v27, v48, v27
	v_add_u32_e32 v47, 0x9e3779b9, v24
	v_xor_b32_e32 v23, v2, v29
	v_xor_b32_e32 v27, v27, v22
	v_xor_b32_e32 v23, v23, v47
	v_add_u32_e32 v49, 0x3c6ef372, v24
	v_mad_u64_u32 v[30:31], s[8:9], v27, s33, 0
	v_add_u32_e32 v50, 0x76cf5d0a, v25
	v_mad_u64_u32 v[22:23], s[8:9], v23, s66, 0
	v_xor_b32_e32 v27, v49, v31
	v_xor_b32_e32 v27, v27, v28
	v_xor_b32_e32 v23, v50, v23
	v_xor_b32_e32 v23, v23, v26
	v_add_u32_e32 v52, 0x32370b8f, v25
	v_mad_u64_u32 v[26:27], s[8:9], v27, s66, 0
	v_add_u32_e32 v51, 0xdaa66d2b, v24
	v_mad_u64_u32 v[28:29], s[8:9], v23, s33, 0
	v_xor_b32_e32 v27, v52, v27
	;; [unrolled: 8-line block ×5, first 2 shown]
	v_xor_b32_e32 v27, v27, v28
	v_xor_b32_e32 v23, v58, v23
	;; [unrolled: 1-line block ×3, first 2 shown]
	v_add_u32_e32 v60, 0x1fd5c5a3, v25
	v_mad_u64_u32 v[26:27], s[8:9], v27, s66, 0
	v_xor_b32_e32 v27, v60, v27
	v_xor_b32_e32 v22, v27, v22
	v_add_u32_e32 v59, 0x5384540f, v24
	v_mad_u64_u32 v[32:33], s[8:9], v23, s33, 0
	v_add_co_u32_e32 v45, vcc, s21, v24
	v_mad_u64_u32 v[28:29], s[8:9], v22, s33, 0
	v_xor_b32_e32 v23, v59, v33
	v_xor_b32_e32 v22, v45, v29
	;; [unrolled: 1-line block ×4, first 2 shown]
	v_mad_u64_u32 v[30:31], s[8:9], v23, s66, 0
	v_mad_u64_u32 v[22:23], s[8:9], v22, s66, 0
	v_add_u32_e32 v46, 0x96a522ad, v25
	v_xor_b32_e32 v23, v23, v30
	v_xor_b32_e32 v44, v46, v23
	v_add_co_u32_e32 v23, vcc, 1, v34
	v_cndmask_b32_e64 v30, 0, 1, vcc
	v_addc_co_u32_e32 v36, vcc, 0, v35, vcc
	v_cmp_eq_u32_e32 vcc, 0, v36
	v_cndmask_b32_e32 v30, 0, v30, vcc
	v_add_u32_e32 v34, v30, v5
	v_cmp_eq_u32_e32 vcc, 0, v34
	v_mad_u64_u32 v[32:33], s[8:9], v23, s66, 0
	v_mad_u64_u32 v[34:35], s[8:9], v34, s33, 0
	v_add_u32_e32 v29, 0x8ff34781, v24
	v_cndmask_b32_e32 v30, 0, v30, vcc
	v_xor_b32_e32 v23, v35, v24
	v_xor_b32_e32 v24, v33, v25
	;; [unrolled: 1-line block ×4, first 2 shown]
	v_mad_u64_u32 v[36:37], s[8:9], v30, s33, 0
	v_add_u32_e32 v27, 0xdb3d7428, v25
	v_mad_u64_u32 v[24:25], s[8:9], v23, s66, 0
	v_xor_b32_e32 v23, v47, v37
	v_xor_b32_e32 v23, v23, v34
	v_xor_b32_e32 v25, v48, v25
	v_xor_b32_e32 v25, v25, v32
	v_mad_u64_u32 v[32:33], s[8:9], v23, s66, 0
	v_mad_u64_u32 v[34:35], s[8:9], v25, s33, 0
	v_xor_b32_e32 v25, v50, v33
	v_xor_b32_e32 v23, v49, v35
	v_xor_b32_e32 v30, v25, v24
	v_xor_b32_e32 v23, v23, v36
	v_mad_u64_u32 v[36:37], s[8:9], v30, s33, 0
	;; [unrolled: 6-line block ×7, first 2 shown]
	v_xor_b32_e32 v23, v27, v35
	v_xor_b32_e32 v23, v23, v24
	v_mad_u64_u32 v[36:37], s[8:9], v25, s33, 0
	v_mad_u64_u32 v[24:25], s[8:9], v23, s33, 0
	v_xor_b32_e32 v23, v25, v36
	v_xor_b32_e32 v23, v29, v23
	v_cmp_lt_i32_e32 vcc, 1, v43
                                        ; implicit-def: $vgpr33
	s_and_saveexec_b64 s[8:9], vcc
	s_xor_b64 s[8:9], exec, s[8:9]
	s_cbranch_execz .LBB108_11
; %bb.6:                                ;   in Loop: Header=BB108_3 Depth=1
	v_cmp_lt_i32_e32 vcc, 2, v43
                                        ; implicit-def: $vgpr33
	s_and_saveexec_b64 s[48:49], vcc
	s_xor_b64 s[48:49], exec, s[48:49]
; %bb.7:                                ;   in Loop: Header=BB108_3 Depth=1
	v_xor_b32_e32 v25, v45, v37
	v_xor_b32_e32 v25, v25, v32
	v_mul_hi_u32 v25, v25, s66
	v_xor_b32_e32 v25, v25, v34
	v_xor_b32_e32 v33, v46, v25
                                        ; implicit-def: $vgpr44
; %bb.8:                                ;   in Loop: Header=BB108_3 Depth=1
	s_andn2_saveexec_b64 s[48:49], s[48:49]
; %bb.9:                                ;   in Loop: Header=BB108_3 Depth=1
	v_mov_b32_e32 v33, v24
	v_mov_b32_e32 v24, v23
	;; [unrolled: 1-line block ×4, first 2 shown]
; %bb.10:                               ;   in Loop: Header=BB108_3 Depth=1
	s_or_b64 exec, exec, s[48:49]
                                        ; implicit-def: $vgpr26_vgpr27
                                        ; implicit-def: $vgpr28_vgpr29
                                        ; implicit-def: $vgpr43
                                        ; implicit-def: $vgpr44
                                        ; implicit-def: $vgpr30_vgpr31
                                        ; implicit-def: $vgpr27
                                        ; implicit-def: $vgpr29
.LBB108_11:                             ;   in Loop: Header=BB108_3 Depth=1
	s_andn2_saveexec_b64 s[8:9], s[8:9]
	s_cbranch_execz .LBB108_15
; %bb.12:                               ;   in Loop: Header=BB108_3 Depth=1
	v_xor_b32_e32 v24, v27, v31
	v_xor_b32_e32 v24, v24, v26
	v_mad_u64_u32 v[26:27], s[48:49], v24, s33, 0
	v_xor_b32_e32 v24, v27, v28
	v_xor_b32_e32 v25, v29, v24
	v_cmp_eq_u32_e32 vcc, 1, v43
	v_mov_b32_e32 v33, v22
	v_mov_b32_e32 v24, v44
	;; [unrolled: 1-line block ×3, first 2 shown]
	s_and_saveexec_b64 s[48:49], vcc
; %bb.13:                               ;   in Loop: Header=BB108_3 Depth=1
	v_mov_b32_e32 v33, v23
	v_mov_b32_e32 v24, v22
	;; [unrolled: 1-line block ×4, first 2 shown]
; %bb.14:                               ;   in Loop: Header=BB108_3 Depth=1
	s_or_b64 exec, exec, s[48:49]
	v_mov_b32_e32 v22, v25
	v_mov_b32_e32 v23, v27
.LBB108_15:                             ;   in Loop: Header=BB108_3 Depth=1
	s_or_b64 exec, exec, s[8:9]
	v_min_i32_e32 v25, 4, v3
	v_cmp_lt_i32_e32 vcc, 2, v25
	s_mov_b64 s[48:49], 0
	s_mov_b64 s[58:59], 0
                                        ; implicit-def: $sgpr8_sgpr9
                                        ; implicit-def: $sgpr50_sgpr51
                                        ; implicit-def: $sgpr52_sgpr53
	s_and_saveexec_b64 s[54:55], vcc
	s_xor_b64 s[54:55], exec, s[54:55]
	s_cbranch_execz .LBB108_25
; %bb.16:                               ;   in Loop: Header=BB108_3 Depth=1
	v_cmp_lt_i32_e32 vcc, 3, v25
	s_mov_b64 s[52:53], -1
                                        ; implicit-def: $sgpr8_sgpr9
                                        ; implicit-def: $sgpr56_sgpr57
	s_and_saveexec_b64 s[50:51], vcc
	s_cbranch_execz .LBB108_20
; %bb.17:                               ;   in Loop: Header=BB108_3 Depth=1
	s_waitcnt vmcnt(0)
	v_cmp_le_f32_e32 vcc, 0, v42
	v_cmp_ge_f32_e64 s[8:9], 1.0, v42
	s_and_b64 s[58:59], vcc, s[8:9]
	s_mov_b64 s[8:9], 0
	s_mov_b64 s[52:53], 0
	s_and_saveexec_b64 s[56:57], s[58:59]
	s_cbranch_execz .LBB108_19
; %bb.18:                               ;   in Loop: Header=BB108_3 Depth=1
	v_cvt_f32_u32_e32 v26, v33
	v_mov_b32_e32 v28, 0x2f800000
	v_mov_b32_e32 v27, s47
	;; [unrolled: 1-line block ×3, first 2 shown]
	v_fmac_f32_e32 v28, 0x2f800000, v26
	v_add_co_u32_e32 v26, vcc, s46, v10
	v_addc_co_u32_e32 v27, vcc, v11, v27, vcc
	v_cndmask_b32_e64 v27, 0, v27, s[6:7]
	v_cndmask_b32_e64 v26, 0, v26, s[6:7]
	v_lshlrev_b64 v[26:27], 1, v[26:27]
	v_add_co_u32_e32 v26, vcc, s10, v26
	v_addc_co_u32_e32 v27, vcc, v29, v27, vcc
	v_cmp_le_f32_e32 vcc, v28, v42
	s_mov_b64 s[52:53], exec
	v_cndmask_b32_e64 v28, 0, 1.0, vcc
	global_store_short_d16_hi v[26:27], v28, off
.LBB108_19:                             ;   in Loop: Header=BB108_3 Depth=1
	s_or_b64 exec, exec, s[56:57]
	s_mov_b64 s[56:57], -1
	s_orn2_b64 s[52:53], s[52:53], exec
.LBB108_20:                             ;   in Loop: Header=BB108_3 Depth=1
	s_or_b64 exec, exec, s[50:51]
	s_mov_b64 s[6:7], 0
	s_mov_b64 s[58:59], s[8:9]
	s_and_saveexec_b64 s[50:51], s[52:53]
	s_cbranch_execz .LBB108_24
; %bb.21:                               ;   in Loop: Header=BB108_3 Depth=1
	s_waitcnt vmcnt(1)
	v_cmp_le_f32_e32 vcc, 0, v41
	v_cmp_ge_f32_e64 s[6:7], 1.0, v41
	s_and_b64 s[52:53], vcc, s[6:7]
	s_mov_b64 s[6:7], 0
	s_and_saveexec_b64 s[58:59], s[52:53]
	s_xor_b64 s[52:53], exec, s[58:59]
	s_cbranch_execz .LBB108_23
; %bb.22:                               ;   in Loop: Header=BB108_3 Depth=1
	v_cvt_f32_u32_e32 v24, v24
	v_mov_b32_e32 v28, 0x2f800000
	v_mov_b32_e32 v26, s47
	s_mov_b64 s[6:7], exec
	v_fmac_f32_e32 v28, 0x2f800000, v24
	v_add_co_u32_e32 v24, vcc, s46, v8
	v_addc_co_u32_e32 v26, vcc, v9, v26, vcc
	v_cndmask_b32_e64 v27, 0, v26, s[4:5]
	v_cndmask_b32_e64 v26, 0, v24, s[4:5]
	v_lshlrev_b64 v[26:27], 1, v[26:27]
	v_mov_b32_e32 v24, s11
	v_add_co_u32_e32 v26, vcc, s10, v26
	v_addc_co_u32_e32 v27, vcc, v24, v27, vcc
	v_cmp_le_f32_e32 vcc, v28, v41
	v_cndmask_b32_e64 v24, 0, 1.0, vcc
	global_store_short_d16_hi v[26:27], v24, off
.LBB108_23:                             ;   in Loop: Header=BB108_3 Depth=1
	s_or_b64 exec, exec, s[52:53]
	s_andn2_b64 s[58:59], s[8:9], exec
	s_or_b64 s[8:9], s[8:9], exec
	s_andn2_b64 s[56:57], s[56:57], exec
	s_and_b64 s[6:7], s[6:7], exec
.LBB108_24:                             ;   in Loop: Header=BB108_3 Depth=1
	s_or_b64 exec, exec, s[50:51]
	s_and_b64 s[52:53], s[58:59], exec
	s_and_b64 s[50:51], s[8:9], exec
	;; [unrolled: 1-line block ×4, first 2 shown]
.LBB108_25:                             ;   in Loop: Header=BB108_3 Depth=1
	s_andn2_saveexec_b64 s[4:5], s[54:55]
; %bb.26:                               ;   in Loop: Header=BB108_3 Depth=1
	v_cmp_lt_i32_e32 vcc, 1, v25
	s_andn2_b64 s[6:7], s[58:59], exec
	s_and_b64 s[54:55], vcc, exec
	s_mov_b64 s[48:49], exec
	s_andn2_b64 s[52:53], s[52:53], exec
	s_andn2_b64 s[50:51], s[50:51], exec
	;; [unrolled: 1-line block ×3, first 2 shown]
	s_or_b64 s[58:59], s[6:7], s[54:55]
; %bb.27:                               ;   in Loop: Header=BB108_3 Depth=1
	s_or_b64 exec, exec, s[4:5]
	s_mov_b64 s[6:7], 0
	s_mov_b64 s[54:55], 0
	;; [unrolled: 1-line block ×3, first 2 shown]
	s_and_saveexec_b64 s[56:57], s[58:59]
	s_cbranch_execnz .LBB108_30
; %bb.28:                               ;   in Loop: Header=BB108_3 Depth=1
	s_or_b64 exec, exec, s[56:57]
	s_and_saveexec_b64 s[2:3], s[48:49]
	s_cbranch_execnz .LBB108_33
.LBB108_29:                             ;   in Loop: Header=BB108_3 Depth=1
	s_or_b64 exec, exec, s[2:3]
	s_and_saveexec_b64 s[48:49], s[54:55]
	s_cbranch_execnz .LBB108_34
	s_branch .LBB108_37
.LBB108_30:                             ;   in Loop: Header=BB108_3 Depth=1
	s_waitcnt vmcnt(2)
	v_cmp_le_f32_e32 vcc, 0, v40
	v_cmp_ge_f32_e64 s[4:5], 1.0, v40
	s_and_b64 s[4:5], vcc, s[4:5]
	s_and_saveexec_b64 s[58:59], s[4:5]
	s_xor_b64 s[4:5], exec, s[58:59]
	s_cbranch_execz .LBB108_32
; %bb.31:                               ;   in Loop: Header=BB108_3 Depth=1
	v_cvt_f32_u32_e32 v23, v23
	v_mov_b32_e32 v24, 0x2f800000
	v_mov_b32_e32 v26, s47
	s_mov_b64 s[54:55], exec
	v_fmac_f32_e32 v24, 0x2f800000, v23
	v_add_co_u32_e32 v23, vcc, s46, v6
	v_addc_co_u32_e32 v26, vcc, v7, v26, vcc
	v_cndmask_b32_e64 v27, 0, v26, s[2:3]
	v_cndmask_b32_e64 v26, 0, v23, s[2:3]
	v_lshlrev_b64 v[26:27], 1, v[26:27]
	v_mov_b32_e32 v23, s11
	v_add_co_u32_e32 v26, vcc, s10, v26
	v_addc_co_u32_e32 v27, vcc, v23, v27, vcc
	v_cmp_le_f32_e32 vcc, v24, v40
	v_cndmask_b32_e64 v23, 0, 1.0, vcc
	global_store_short_d16_hi v[26:27], v23, off
.LBB108_32:                             ;   in Loop: Header=BB108_3 Depth=1
	s_or_b64 exec, exec, s[4:5]
	s_andn2_b64 s[4:5], s[52:53], exec
	s_or_b64 s[52:53], s[52:53], exec
	s_andn2_b64 s[50:51], s[50:51], exec
	s_andn2_b64 s[8:9], s[8:9], exec
	s_and_b64 s[54:55], s[54:55], exec
	s_andn2_b64 s[48:49], s[48:49], exec
	s_or_b64 exec, exec, s[56:57]
	s_and_saveexec_b64 s[2:3], s[48:49]
	s_cbranch_execz .LBB108_29
.LBB108_33:                             ;   in Loop: Header=BB108_3 Depth=1
	v_cmp_eq_u32_e32 vcc, 1, v25
	s_andn2_b64 s[48:49], s[54:55], exec
	s_and_b64 s[54:55], vcc, exec
	s_mov_b64 s[6:7], exec
	s_andn2_b64 s[4:5], s[4:5], exec
	s_andn2_b64 s[52:53], s[52:53], exec
	;; [unrolled: 1-line block ×4, first 2 shown]
	s_or_b64 s[54:55], s[48:49], s[54:55]
	s_or_b64 exec, exec, s[2:3]
	s_and_saveexec_b64 s[48:49], s[54:55]
	s_cbranch_execz .LBB108_37
.LBB108_34:                             ;   in Loop: Header=BB108_3 Depth=1
	s_waitcnt vmcnt(3)
	v_cmp_le_f32_e32 vcc, 0, v39
	v_cmp_ge_f32_e64 s[2:3], 1.0, v39
	s_and_b64 s[56:57], vcc, s[2:3]
	s_mov_b64 s[2:3], 0
	s_and_saveexec_b64 s[54:55], s[56:57]
	s_cbranch_execz .LBB108_36
; %bb.35:                               ;   in Loop: Header=BB108_3 Depth=1
	v_cvt_f32_u32_e32 v22, v22
	v_mov_b32_e32 v24, 0x2f800000
	v_mov_b32_e32 v23, s47
	;; [unrolled: 1-line block ×3, first 2 shown]
	v_fmac_f32_e32 v24, 0x2f800000, v22
	v_add_co_u32_e32 v22, vcc, s46, v12
	v_addc_co_u32_e32 v23, vcc, v13, v23, vcc
	v_cndmask_b32_e64 v23, 0, v23, s[0:1]
	v_cndmask_b32_e64 v22, 0, v22, s[0:1]
	v_lshlrev_b64 v[22:23], 1, v[22:23]
	v_add_co_u32_e32 v22, vcc, s10, v22
	v_addc_co_u32_e32 v23, vcc, v25, v23, vcc
	v_cmp_le_f32_e32 vcc, v24, v39
	s_mov_b64 s[2:3], exec
	v_cndmask_b32_e64 v24, 0, 1.0, vcc
	global_store_short_d16_hi v[22:23], v24, off
.LBB108_36:                             ;   in Loop: Header=BB108_3 Depth=1
	s_or_b64 exec, exec, s[54:55]
	s_andn2_b64 s[0:1], s[6:7], exec
	s_and_b64 s[2:3], s[2:3], exec
	s_or_b64 s[4:5], s[4:5], exec
	s_andn2_b64 s[52:53], s[52:53], exec
	s_andn2_b64 s[50:51], s[50:51], exec
	;; [unrolled: 1-line block ×3, first 2 shown]
	s_or_b64 s[6:7], s[0:1], s[2:3]
.LBB108_37:                             ;   in Loop: Header=BB108_3 Depth=1
	s_or_b64 exec, exec, s[48:49]
	s_andn2_b64 s[2:3], s[44:45], exec
	s_and_b64 s[4:5], s[4:5], exec
	s_or_b64 s[44:45], s[2:3], s[4:5]
	s_andn2_b64 s[2:3], s[40:41], exec
	s_and_b64 s[4:5], s[52:53], exec
	s_or_b64 s[40:41], s[2:3], s[4:5]
	;; [unrolled: 3-line block ×3, first 2 shown]
	s_andn2_b64 s[2:3], s[36:37], exec
	s_and_b64 s[4:5], s[8:9], exec
	s_mov_b64 s[0:1], -1
	s_or_b64 s[36:37], s[2:3], s[4:5]
	s_and_saveexec_b64 s[2:3], s[6:7]
	s_cbranch_execz .LBB108_2
; %bb.38:                               ;   in Loop: Header=BB108_3 Depth=1
	v_mov_b32_e32 v22, s61
	v_add_co_u32_e32 v0, vcc, s60, v0
	s_add_u32 s46, s46, s63
	v_addc_co_u32_e32 v1, vcc, v1, v22, vcc
	s_addc_u32 s47, s47, s62
	s_add_u32 s42, s42, s65
	v_cmp_le_u64_e32 vcc, s[12:13], v[0:1]
	v_subrev_u32_e32 v3, s60, v3
	s_addc_u32 s43, s43, s64
	s_andn2_b64 s[44:45], s[44:45], exec
	s_andn2_b64 s[40:41], s[40:41], exec
	;; [unrolled: 1-line block ×4, first 2 shown]
	s_orn2_b64 s[0:1], vcc, exec
	s_branch .LBB108_2
.LBB108_39:
	s_or_b64 exec, exec, s[26:27]
	s_xor_b64 s[6:7], s[34:35], -1
	s_xor_b64 s[8:9], s[30:31], -1
	;; [unrolled: 1-line block ×3, first 2 shown]
	s_mov_b64 s[2:3], 0
	s_and_saveexec_b64 s[4:5], s[0:1]
	s_xor_b64 s[0:1], exec, s[4:5]
	s_cbranch_execnz .LBB108_44
; %bb.40:
	s_andn2_saveexec_b64 s[0:1], s[0:1]
	s_cbranch_execnz .LBB108_52
.LBB108_41:
	s_or_b64 exec, exec, s[0:1]
	s_and_b64 exec, exec, s[2:3]
.LBB108_42:
	; divergent unreachable
.LBB108_43:
	s_endpgm
.LBB108_44:
	s_mov_b64 s[4:5], 0
	s_and_saveexec_b64 s[2:3], s[8:9]
	s_xor_b64 s[2:3], exec, s[2:3]
	s_cbranch_execz .LBB108_50
; %bb.45:
	s_and_saveexec_b64 s[8:9], s[6:7]
	s_xor_b64 s[6:7], exec, s[8:9]
	s_cbranch_execz .LBB108_48
; %bb.46:
	s_and_saveexec_b64 s[8:9], s[24:25]
	s_xor_b64 s[8:9], exec, s[8:9]
	s_cbranch_execnz .LBB108_55
.LBB108_47:
	s_or_b64 exec, exec, s[8:9]
	s_and_b64 s[4:5], s[4:5], exec
.LBB108_48:
	s_andn2_saveexec_b64 s[6:7], s[6:7]
	s_cbranch_execnz .LBB108_54
.LBB108_49:
	s_or_b64 exec, exec, s[6:7]
	s_and_b64 s[4:5], s[4:5], exec
.LBB108_50:
	s_andn2_saveexec_b64 s[2:3], s[2:3]
	s_cbranch_execnz .LBB108_53
.LBB108_51:
	s_or_b64 exec, exec, s[2:3]
	s_and_b64 s[2:3], s[4:5], exec
	s_andn2_saveexec_b64 s[0:1], s[0:1]
	s_cbranch_execz .LBB108_41
.LBB108_52:
	s_or_b64 s[2:3], s[2:3], exec
	s_trap 2
	s_or_b64 exec, exec, s[0:1]
	s_and_b64 exec, exec, s[2:3]
	s_cbranch_execnz .LBB108_42
	s_branch .LBB108_43
.LBB108_53:
	s_or_b64 s[4:5], s[4:5], exec
	s_trap 2
	s_branch .LBB108_51
.LBB108_54:
	s_trap 2
	s_or_b64 s[4:5], s[4:5], exec
	s_branch .LBB108_49
.LBB108_55:
	s_mov_b64 s[4:5], exec
	s_trap 2
	s_branch .LBB108_47
	.section	.rodata,"a",@progbits
	.p2align	6, 0x0
	.amdhsa_kernel _ZN2at4cuda12_GLOBAL__N_121kernelPointwiseApply2IZNS_6native9templates4cuda28bernoulli_tensor_cuda_kernelIN3c108BFloat16EfEEvRKNS_10TensorBaseESB_NS_15PhiloxCudaStateEEUliRS8_SD_SD_SD_RKfSF_SF_SF_E_S8_SE_mLi1ELi1ELi4ELi512ELi2EEEvNS0_6detail10TensorInfoIT0_T2_EENSI_IT1_SK_EESK_T_
		.amdhsa_group_segment_fixed_size 0
		.amdhsa_private_segment_fixed_size 0
		.amdhsa_kernarg_size 1128
		.amdhsa_user_sgpr_count 6
		.amdhsa_user_sgpr_private_segment_buffer 1
		.amdhsa_user_sgpr_dispatch_ptr 0
		.amdhsa_user_sgpr_queue_ptr 0
		.amdhsa_user_sgpr_kernarg_segment_ptr 1
		.amdhsa_user_sgpr_dispatch_id 0
		.amdhsa_user_sgpr_flat_scratch_init 0
		.amdhsa_user_sgpr_kernarg_preload_length 0
		.amdhsa_user_sgpr_kernarg_preload_offset 0
		.amdhsa_user_sgpr_private_segment_size 0
		.amdhsa_uses_dynamic_stack 0
		.amdhsa_system_sgpr_private_segment_wavefront_offset 0
		.amdhsa_system_sgpr_workgroup_id_x 1
		.amdhsa_system_sgpr_workgroup_id_y 0
		.amdhsa_system_sgpr_workgroup_id_z 0
		.amdhsa_system_sgpr_workgroup_info 0
		.amdhsa_system_vgpr_workitem_id 0
		.amdhsa_next_free_vgpr 61
		.amdhsa_next_free_sgpr 67
		.amdhsa_accum_offset 64
		.amdhsa_reserve_vcc 1
		.amdhsa_reserve_flat_scratch 0
		.amdhsa_float_round_mode_32 0
		.amdhsa_float_round_mode_16_64 0
		.amdhsa_float_denorm_mode_32 3
		.amdhsa_float_denorm_mode_16_64 3
		.amdhsa_dx10_clamp 1
		.amdhsa_ieee_mode 1
		.amdhsa_fp16_overflow 0
		.amdhsa_tg_split 0
		.amdhsa_exception_fp_ieee_invalid_op 0
		.amdhsa_exception_fp_denorm_src 0
		.amdhsa_exception_fp_ieee_div_zero 0
		.amdhsa_exception_fp_ieee_overflow 0
		.amdhsa_exception_fp_ieee_underflow 0
		.amdhsa_exception_fp_ieee_inexact 0
		.amdhsa_exception_int_div_zero 0
	.end_amdhsa_kernel
	.section	.text._ZN2at4cuda12_GLOBAL__N_121kernelPointwiseApply2IZNS_6native9templates4cuda28bernoulli_tensor_cuda_kernelIN3c108BFloat16EfEEvRKNS_10TensorBaseESB_NS_15PhiloxCudaStateEEUliRS8_SD_SD_SD_RKfSF_SF_SF_E_S8_SE_mLi1ELi1ELi4ELi512ELi2EEEvNS0_6detail10TensorInfoIT0_T2_EENSI_IT1_SK_EESK_T_,"axG",@progbits,_ZN2at4cuda12_GLOBAL__N_121kernelPointwiseApply2IZNS_6native9templates4cuda28bernoulli_tensor_cuda_kernelIN3c108BFloat16EfEEvRKNS_10TensorBaseESB_NS_15PhiloxCudaStateEEUliRS8_SD_SD_SD_RKfSF_SF_SF_E_S8_SE_mLi1ELi1ELi4ELi512ELi2EEEvNS0_6detail10TensorInfoIT0_T2_EENSI_IT1_SK_EESK_T_,comdat
.Lfunc_end108:
	.size	_ZN2at4cuda12_GLOBAL__N_121kernelPointwiseApply2IZNS_6native9templates4cuda28bernoulli_tensor_cuda_kernelIN3c108BFloat16EfEEvRKNS_10TensorBaseESB_NS_15PhiloxCudaStateEEUliRS8_SD_SD_SD_RKfSF_SF_SF_E_S8_SE_mLi1ELi1ELi4ELi512ELi2EEEvNS0_6detail10TensorInfoIT0_T2_EENSI_IT1_SK_EESK_T_, .Lfunc_end108-_ZN2at4cuda12_GLOBAL__N_121kernelPointwiseApply2IZNS_6native9templates4cuda28bernoulli_tensor_cuda_kernelIN3c108BFloat16EfEEvRKNS_10TensorBaseESB_NS_15PhiloxCudaStateEEUliRS8_SD_SD_SD_RKfSF_SF_SF_E_S8_SE_mLi1ELi1ELi4ELi512ELi2EEEvNS0_6detail10TensorInfoIT0_T2_EENSI_IT1_SK_EESK_T_
                                        ; -- End function
	.section	.AMDGPU.csdata,"",@progbits
; Kernel info:
; codeLenInByte = 2916
; NumSgprs: 71
; NumVgprs: 61
; NumAgprs: 0
; TotalNumVgprs: 61
; ScratchSize: 0
; MemoryBound: 0
; FloatMode: 240
; IeeeMode: 1
; LDSByteSize: 0 bytes/workgroup (compile time only)
; SGPRBlocks: 8
; VGPRBlocks: 7
; NumSGPRsForWavesPerEU: 71
; NumVGPRsForWavesPerEU: 61
; AccumOffset: 64
; Occupancy: 8
; WaveLimiterHint : 1
; COMPUTE_PGM_RSRC2:SCRATCH_EN: 0
; COMPUTE_PGM_RSRC2:USER_SGPR: 6
; COMPUTE_PGM_RSRC2:TRAP_HANDLER: 0
; COMPUTE_PGM_RSRC2:TGID_X_EN: 1
; COMPUTE_PGM_RSRC2:TGID_Y_EN: 0
; COMPUTE_PGM_RSRC2:TGID_Z_EN: 0
; COMPUTE_PGM_RSRC2:TIDIG_COMP_CNT: 0
; COMPUTE_PGM_RSRC3_GFX90A:ACCUM_OFFSET: 15
; COMPUTE_PGM_RSRC3_GFX90A:TG_SPLIT: 0
	.section	.text._ZN2at4cuda12_GLOBAL__N_121kernelPointwiseApply2IZNS_6native9templates4cuda28bernoulli_tensor_cuda_kernelIN3c108BFloat16EfEEvRKNS_10TensorBaseESB_NS_15PhiloxCudaStateEEUliRS8_SD_SD_SD_RKfSF_SF_SF_E_S8_SE_mLin1ELin1ELi4ELi512ELi2EEEvNS0_6detail10TensorInfoIT0_T2_EENSI_IT1_SK_EESK_T_,"axG",@progbits,_ZN2at4cuda12_GLOBAL__N_121kernelPointwiseApply2IZNS_6native9templates4cuda28bernoulli_tensor_cuda_kernelIN3c108BFloat16EfEEvRKNS_10TensorBaseESB_NS_15PhiloxCudaStateEEUliRS8_SD_SD_SD_RKfSF_SF_SF_E_S8_SE_mLin1ELin1ELi4ELi512ELi2EEEvNS0_6detail10TensorInfoIT0_T2_EENSI_IT1_SK_EESK_T_,comdat
	.globl	_ZN2at4cuda12_GLOBAL__N_121kernelPointwiseApply2IZNS_6native9templates4cuda28bernoulli_tensor_cuda_kernelIN3c108BFloat16EfEEvRKNS_10TensorBaseESB_NS_15PhiloxCudaStateEEUliRS8_SD_SD_SD_RKfSF_SF_SF_E_S8_SE_mLin1ELin1ELi4ELi512ELi2EEEvNS0_6detail10TensorInfoIT0_T2_EENSI_IT1_SK_EESK_T_ ; -- Begin function _ZN2at4cuda12_GLOBAL__N_121kernelPointwiseApply2IZNS_6native9templates4cuda28bernoulli_tensor_cuda_kernelIN3c108BFloat16EfEEvRKNS_10TensorBaseESB_NS_15PhiloxCudaStateEEUliRS8_SD_SD_SD_RKfSF_SF_SF_E_S8_SE_mLin1ELin1ELi4ELi512ELi2EEEvNS0_6detail10TensorInfoIT0_T2_EENSI_IT1_SK_EESK_T_
	.p2align	8
	.type	_ZN2at4cuda12_GLOBAL__N_121kernelPointwiseApply2IZNS_6native9templates4cuda28bernoulli_tensor_cuda_kernelIN3c108BFloat16EfEEvRKNS_10TensorBaseESB_NS_15PhiloxCudaStateEEUliRS8_SD_SD_SD_RKfSF_SF_SF_E_S8_SE_mLin1ELin1ELi4ELi512ELi2EEEvNS0_6detail10TensorInfoIT0_T2_EENSI_IT1_SK_EESK_T_,@function
_ZN2at4cuda12_GLOBAL__N_121kernelPointwiseApply2IZNS_6native9templates4cuda28bernoulli_tensor_cuda_kernelIN3c108BFloat16EfEEvRKNS_10TensorBaseESB_NS_15PhiloxCudaStateEEUliRS8_SD_SD_SD_RKfSF_SF_SF_E_S8_SE_mLin1ELin1ELi4ELi512ELi2EEEvNS0_6detail10TensorInfoIT0_T2_EENSI_IT1_SK_EESK_T_: ; @_ZN2at4cuda12_GLOBAL__N_121kernelPointwiseApply2IZNS_6native9templates4cuda28bernoulli_tensor_cuda_kernelIN3c108BFloat16EfEEvRKNS_10TensorBaseESB_NS_15PhiloxCudaStateEEUliRS8_SD_SD_SD_RKfSF_SF_SF_E_S8_SE_mLin1ELin1ELi4ELi512ELi2EEEvNS0_6detail10TensorInfoIT0_T2_EENSI_IT1_SK_EESK_T_
; %bb.0:
	s_load_dword s2, s[4:5], 0x374
	s_load_dwordx8 s[8:15], s[4:5], 0x340
	s_add_u32 s0, s4, 0x368
	s_addc_u32 s1, s5, 0
	v_mov_b32_e32 v2, 0
	s_waitcnt lgkmcnt(0)
	s_and_b32 s2, s2, 0xffff
	s_mul_i32 s6, s6, s2
	v_add_u32_e32 v7, s6, v0
	v_lshlrev_b32_e32 v0, 2, v7
	v_mov_b32_e32 v1, v2
	v_cmp_gt_u64_e32 vcc, s[8:9], v[0:1]
	s_and_saveexec_b64 s[6:7], vcc
	s_cbranch_execz .LBB109_114
; %bb.1:
	s_load_dword s0, s[0:1], 0x0
	s_add_u32 s6, s4, 0x1a0
	s_load_dword s7, s[4:5], 0x198
	s_load_dwordx2 s[20:21], s[4:5], 0x270
	s_addc_u32 s28, s5, 0
	s_waitcnt lgkmcnt(0)
	s_mul_i32 s29, s0, s2
	s_load_dword s2, s[4:5], 0x360
	s_load_dword s34, s[4:5], 0x338
	s_load_dwordx2 s[16:17], s[4:5], 0x1a0
	s_load_dwordx2 s[18:19], s[4:5], 0xd0
	;; [unrolled: 1-line block ×3, first 2 shown]
	s_cmp_gt_i32 s7, 1
	s_cselect_b64 s[0:1], -1, 0
	s_waitcnt lgkmcnt(0)
	s_cmp_gt_i32 s34, 1
	s_mov_b32 s33, 0xcd9e8d57
	s_cselect_b64 s[22:23], -1, 0
	s_bitcmp1_b32 s2, 0
	v_mad_u64_u32 v[4:5], s[2:3], v7, s33, 0
	s_mov_b32 s63, 0
	s_cselect_b64 s[26:27], -1, 0
	s_add_i32 s2, s7, -1
	s_mov_b32 s3, s63
	s_lshl_b32 s62, s29, 2
	s_add_i32 s64, s7, 1
	s_lshl_b64 s[2:3], s[2:3], 3
	s_add_u32 s2, s2, s4
	s_addc_u32 s3, s3, s5
	s_add_u32 s30, s2, 8
	s_addc_u32 s31, s3, 0
	s_add_i32 s2, s34, -1
	s_mov_b32 s3, s63
	s_add_i32 s65, s34, 1
	s_lshl_b64 s[2:3], s[2:3], 3
	s_add_u32 s2, s2, s6
	s_addc_u32 s3, s3, s28
	s_add_u32 s34, s2, 8
	v_mov_b32_e32 v6, v5
	s_addc_u32 s35, s3, 0
	s_mov_b64 s[36:37], 0
	v_cndmask_b32_e64 v5, 0, 1, s[0:1]
	s_mov_b32 s66, 0xd2511f53
	s_mov_b32 s67, 0xf1bbcdc8
                                        ; implicit-def: $sgpr38_sgpr39
                                        ; implicit-def: $sgpr40_sgpr41
                                        ; implicit-def: $sgpr42_sgpr43
                                        ; implicit-def: $sgpr28_sgpr29
                                        ; implicit-def: $sgpr44_sgpr45
                                        ; implicit-def: $sgpr46_sgpr47
                                        ; implicit-def: $sgpr48_sgpr49
                                        ; implicit-def: $sgpr50_sgpr51
	s_branch .LBB109_3
.LBB109_2:                              ;   in Loop: Header=BB109_3 Depth=1
	s_or_b64 exec, exec, s[2:3]
	s_and_b64 s[0:1], exec, s[0:1]
	s_or_b64 s[36:37], s[0:1], s[36:37]
	s_andn2_b64 s[0:1], s[28:29], exec
	s_and_b64 s[2:3], s[50:51], exec
	s_or_b64 s[28:29], s[0:1], s[2:3]
	s_andn2_b64 s[0:1], s[42:43], exec
	s_and_b64 s[2:3], s[48:49], exec
	;; [unrolled: 3-line block ×4, first 2 shown]
	s_or_b64 s[38:39], s[0:1], s[2:3]
	s_andn2_b64 exec, exec, s[36:37]
	s_cbranch_execz .LBB109_110
.LBB109_3:                              ; =>This Loop Header: Depth=1
                                        ;     Child Loop BB109_5 Depth 2
                                        ;     Child Loop BB109_14 Depth 2
	;; [unrolled: 1-line block ×8, first 2 shown]
	v_sub_u32_e32 v32, s8, v0
	v_cmp_lt_i32_e64 s[4:5], 0, v32
	v_pk_mov_b32 v[8:9], 0, 0
	v_cmp_ne_u32_e64 s[0:1], 1, v5
	s_and_saveexec_b64 s[6:7], s[4:5]
	s_cbranch_execz .LBB109_12
; %bb.4:                                ;   in Loop: Header=BB109_3 Depth=1
	s_and_b64 vcc, exec, s[0:1]
	v_pk_mov_b32 v[8:9], 0, 0
	s_mov_b64 s[52:53], s[30:31]
	s_mov_b32 s58, s64
	v_pk_mov_b32 v[10:11], v[0:1], v[0:1] op_sel:[0,1]
	v_pk_mov_b32 v[12:13], v[0:1], v[0:1] op_sel:[0,1]
	s_cbranch_vccnz .LBB109_11
.LBB109_5:                              ;   Parent Loop BB109_3 Depth=1
                                        ; =>  This Inner Loop Header: Depth=2
	s_load_dwordx2 s[54:55], s[52:53], 0x0
                                        ; implicit-def: $vgpr12_vgpr13
	s_waitcnt vmcnt(3) lgkmcnt(0)
	v_or_b32_e32 v3, s55, v11
	v_cmp_ne_u64_e32 vcc, 0, v[2:3]
	s_and_saveexec_b64 s[2:3], vcc
	s_xor_b64 s[56:57], exec, s[2:3]
	s_cbranch_execz .LBB109_7
; %bb.6:                                ;   in Loop: Header=BB109_5 Depth=2
	v_cvt_f32_u32_e32 v3, s54
	v_cvt_f32_u32_e32 v12, s55
	s_sub_u32 s2, 0, s54
	s_subb_u32 s3, 0, s55
	v_mac_f32_e32 v3, 0x4f800000, v12
	v_rcp_f32_e32 v3, v3
	v_mul_f32_e32 v3, 0x5f7ffffc, v3
	v_mul_f32_e32 v12, 0x2f800000, v3
	v_trunc_f32_e32 v12, v12
	v_mac_f32_e32 v3, 0xcf800000, v12
	v_cvt_u32_f32_e32 v12, v12
	v_cvt_u32_f32_e32 v3, v3
	v_mul_lo_u32 v13, s2, v12
	v_mul_hi_u32 v15, s2, v3
	v_mul_lo_u32 v14, s3, v3
	v_add_u32_e32 v13, v15, v13
	v_mul_lo_u32 v16, s2, v3
	v_add_u32_e32 v13, v13, v14
	v_mul_hi_u32 v15, v3, v16
	v_mul_lo_u32 v17, v3, v13
	v_mul_hi_u32 v14, v3, v13
	v_add_co_u32_e32 v15, vcc, v15, v17
	v_addc_co_u32_e32 v14, vcc, 0, v14, vcc
	v_mul_hi_u32 v18, v12, v16
	v_mul_lo_u32 v16, v12, v16
	v_add_co_u32_e32 v15, vcc, v15, v16
	v_mul_hi_u32 v17, v12, v13
	v_addc_co_u32_e32 v14, vcc, v14, v18, vcc
	v_addc_co_u32_e32 v15, vcc, 0, v17, vcc
	v_mul_lo_u32 v13, v12, v13
	v_add_co_u32_e32 v13, vcc, v14, v13
	v_addc_co_u32_e32 v14, vcc, 0, v15, vcc
	v_add_co_u32_e32 v3, vcc, v3, v13
	v_addc_co_u32_e32 v12, vcc, v12, v14, vcc
	v_mul_lo_u32 v13, s2, v12
	v_mul_hi_u32 v14, s2, v3
	v_add_u32_e32 v13, v14, v13
	v_mul_lo_u32 v14, s3, v3
	v_add_u32_e32 v13, v13, v14
	v_mul_lo_u32 v15, s2, v3
	v_mul_hi_u32 v16, v12, v15
	v_mul_lo_u32 v17, v12, v15
	v_mul_lo_u32 v19, v3, v13
	v_mul_hi_u32 v15, v3, v15
	v_mul_hi_u32 v18, v3, v13
	v_add_co_u32_e32 v15, vcc, v15, v19
	v_addc_co_u32_e32 v18, vcc, 0, v18, vcc
	v_add_co_u32_e32 v15, vcc, v15, v17
	v_mul_hi_u32 v14, v12, v13
	v_addc_co_u32_e32 v15, vcc, v18, v16, vcc
	v_addc_co_u32_e32 v14, vcc, 0, v14, vcc
	v_mul_lo_u32 v13, v12, v13
	v_add_co_u32_e32 v13, vcc, v15, v13
	v_addc_co_u32_e32 v14, vcc, 0, v14, vcc
	v_add_co_u32_e32 v3, vcc, v3, v13
	v_addc_co_u32_e32 v14, vcc, v12, v14, vcc
	v_mad_u64_u32 v[12:13], s[2:3], v10, v14, 0
	v_mul_hi_u32 v15, v10, v3
	v_add_co_u32_e32 v16, vcc, v15, v12
	v_addc_co_u32_e32 v17, vcc, 0, v13, vcc
	v_mad_u64_u32 v[12:13], s[2:3], v11, v14, 0
	v_mad_u64_u32 v[14:15], s[2:3], v11, v3, 0
	v_add_co_u32_e32 v3, vcc, v16, v14
	v_addc_co_u32_e32 v3, vcc, v17, v15, vcc
	v_addc_co_u32_e32 v13, vcc, 0, v13, vcc
	v_add_co_u32_e32 v3, vcc, v3, v12
	v_addc_co_u32_e32 v14, vcc, 0, v13, vcc
	v_mul_lo_u32 v15, s55, v3
	v_mul_lo_u32 v16, s54, v14
	v_mad_u64_u32 v[12:13], s[2:3], s54, v3, 0
	v_add3_u32 v13, v13, v16, v15
	v_sub_u32_e32 v15, v11, v13
	v_mov_b32_e32 v16, s55
	v_sub_co_u32_e32 v12, vcc, v10, v12
	v_subb_co_u32_e64 v15, s[2:3], v15, v16, vcc
	v_subrev_co_u32_e64 v16, s[2:3], s54, v12
	v_subbrev_co_u32_e64 v15, s[2:3], 0, v15, s[2:3]
	v_cmp_le_u32_e64 s[2:3], s55, v15
	v_cndmask_b32_e64 v17, 0, -1, s[2:3]
	v_cmp_le_u32_e64 s[2:3], s54, v16
	v_cndmask_b32_e64 v16, 0, -1, s[2:3]
	v_cmp_eq_u32_e64 s[2:3], s55, v15
	v_cndmask_b32_e64 v15, v17, v16, s[2:3]
	v_add_co_u32_e64 v16, s[2:3], 2, v3
	v_addc_co_u32_e64 v17, s[2:3], 0, v14, s[2:3]
	v_add_co_u32_e64 v18, s[2:3], 1, v3
	v_addc_co_u32_e64 v19, s[2:3], 0, v14, s[2:3]
	v_subb_co_u32_e32 v13, vcc, v11, v13, vcc
	v_cmp_ne_u32_e64 s[2:3], 0, v15
	v_cmp_le_u32_e32 vcc, s55, v13
	v_cndmask_b32_e64 v15, v19, v17, s[2:3]
	v_cndmask_b32_e64 v17, 0, -1, vcc
	v_cmp_le_u32_e32 vcc, s54, v12
	v_cndmask_b32_e64 v12, 0, -1, vcc
	v_cmp_eq_u32_e32 vcc, s55, v13
	v_cndmask_b32_e32 v12, v17, v12, vcc
	v_cmp_ne_u32_e32 vcc, 0, v12
	v_cndmask_b32_e64 v12, v18, v16, s[2:3]
	v_cndmask_b32_e32 v13, v14, v15, vcc
	v_cndmask_b32_e32 v12, v3, v12, vcc
.LBB109_7:                              ;   in Loop: Header=BB109_5 Depth=2
	s_andn2_saveexec_b64 s[2:3], s[56:57]
	s_cbranch_execz .LBB109_9
; %bb.8:                                ;   in Loop: Header=BB109_5 Depth=2
	v_cvt_f32_u32_e32 v3, s54
	s_sub_i32 s56, 0, s54
	v_rcp_iflag_f32_e32 v3, v3
	v_mul_f32_e32 v3, 0x4f7ffffe, v3
	v_cvt_u32_f32_e32 v3, v3
	v_mul_lo_u32 v12, s56, v3
	v_mul_hi_u32 v12, v3, v12
	v_add_u32_e32 v3, v3, v12
	v_mul_hi_u32 v3, v10, v3
	v_mul_lo_u32 v12, v3, s54
	v_sub_u32_e32 v12, v10, v12
	v_add_u32_e32 v13, 1, v3
	v_subrev_u32_e32 v14, s54, v12
	v_cmp_le_u32_e32 vcc, s54, v12
	v_cndmask_b32_e32 v12, v12, v14, vcc
	v_cndmask_b32_e32 v3, v3, v13, vcc
	v_add_u32_e32 v13, 1, v3
	v_cmp_le_u32_e32 vcc, s54, v12
	v_cndmask_b32_e32 v12, v3, v13, vcc
	v_mov_b32_e32 v13, v2
.LBB109_9:                              ;   in Loop: Header=BB109_5 Depth=2
	s_or_b64 exec, exec, s[2:3]
	v_mad_u64_u32 v[14:15], s[2:3], v12, s54, 0
	s_load_dwordx2 s[2:3], s[52:53], 0xc8
	v_mul_lo_u32 v3, v13, s54
	v_mul_lo_u32 v16, v12, s55
	v_add3_u32 v3, v15, v16, v3
	v_sub_co_u32_e32 v10, vcc, v10, v14
	s_add_i32 s58, s58, -1
	v_subb_co_u32_e32 v3, vcc, v11, v3, vcc
	s_add_u32 s52, s52, -8
	s_waitcnt lgkmcnt(0)
	v_mul_lo_u32 v3, s2, v3
	v_mul_lo_u32 v11, s3, v10
	v_mad_u64_u32 v[8:9], s[2:3], s2, v10, v[8:9]
	s_addc_u32 s53, s53, -1
	s_cmp_gt_u32 s58, 2
	v_add3_u32 v9, v11, v9, v3
	s_cbranch_scc0 .LBB109_11
; %bb.10:                               ;   in Loop: Header=BB109_5 Depth=2
	v_pk_mov_b32 v[10:11], v[12:13], v[12:13] op_sel:[0,1]
	s_branch .LBB109_5
.LBB109_11:                             ;   in Loop: Header=BB109_3 Depth=1
	v_mad_u64_u32 v[8:9], s[2:3], s18, v12, v[8:9]
	s_waitcnt vmcnt(3)
	v_mul_lo_u32 v3, s18, v13
	v_mul_lo_u32 v10, s19, v12
	v_add3_u32 v9, v10, v9, v3
.LBB109_12:                             ;   in Loop: Header=BB109_3 Depth=1
	s_or_b64 exec, exec, s[6:7]
	s_waitcnt vmcnt(3)
	v_cndmask_b32_e64 v3, 0, 1, s[22:23]
	v_pk_mov_b32 v[12:13], 0, 0
	v_cmp_ne_u32_e64 s[2:3], 1, v3
	s_and_saveexec_b64 s[6:7], s[4:5]
	s_cbranch_execz .LBB109_21
; %bb.13:                               ;   in Loop: Header=BB109_3 Depth=1
	s_and_b64 vcc, exec, s[2:3]
	v_pk_mov_b32 v[10:11], 0, 0
	s_mov_b64 s[52:53], s[34:35]
	s_mov_b32 s58, s65
	v_pk_mov_b32 v[12:13], v[0:1], v[0:1] op_sel:[0,1]
	v_pk_mov_b32 v[14:15], v[0:1], v[0:1] op_sel:[0,1]
	s_cbranch_vccnz .LBB109_20
.LBB109_14:                             ;   Parent Loop BB109_3 Depth=1
                                        ; =>  This Inner Loop Header: Depth=2
	s_load_dwordx2 s[54:55], s[52:53], 0x0
                                        ; implicit-def: $vgpr14_vgpr15
	s_waitcnt lgkmcnt(0)
	v_or_b32_e32 v3, s55, v13
	v_cmp_ne_u64_e32 vcc, 0, v[2:3]
	s_and_saveexec_b64 s[4:5], vcc
	s_xor_b64 s[56:57], exec, s[4:5]
	s_cbranch_execz .LBB109_16
; %bb.15:                               ;   in Loop: Header=BB109_14 Depth=2
	v_cvt_f32_u32_e32 v3, s54
	v_cvt_f32_u32_e32 v14, s55
	s_sub_u32 s4, 0, s54
	s_subb_u32 s5, 0, s55
	v_mac_f32_e32 v3, 0x4f800000, v14
	v_rcp_f32_e32 v3, v3
	v_mul_f32_e32 v3, 0x5f7ffffc, v3
	v_mul_f32_e32 v14, 0x2f800000, v3
	v_trunc_f32_e32 v14, v14
	v_mac_f32_e32 v3, 0xcf800000, v14
	v_cvt_u32_f32_e32 v14, v14
	v_cvt_u32_f32_e32 v3, v3
	v_mul_lo_u32 v15, s4, v14
	v_mul_hi_u32 v17, s4, v3
	v_mul_lo_u32 v16, s5, v3
	v_add_u32_e32 v15, v17, v15
	v_mul_lo_u32 v18, s4, v3
	v_add_u32_e32 v15, v15, v16
	v_mul_hi_u32 v17, v3, v18
	v_mul_lo_u32 v19, v3, v15
	v_mul_hi_u32 v16, v3, v15
	v_add_co_u32_e32 v17, vcc, v17, v19
	v_addc_co_u32_e32 v16, vcc, 0, v16, vcc
	v_mul_hi_u32 v20, v14, v18
	v_mul_lo_u32 v18, v14, v18
	v_add_co_u32_e32 v17, vcc, v17, v18
	v_mul_hi_u32 v19, v14, v15
	v_addc_co_u32_e32 v16, vcc, v16, v20, vcc
	v_addc_co_u32_e32 v17, vcc, 0, v19, vcc
	v_mul_lo_u32 v15, v14, v15
	v_add_co_u32_e32 v15, vcc, v16, v15
	v_addc_co_u32_e32 v16, vcc, 0, v17, vcc
	v_add_co_u32_e32 v3, vcc, v3, v15
	v_addc_co_u32_e32 v14, vcc, v14, v16, vcc
	v_mul_lo_u32 v15, s4, v14
	v_mul_hi_u32 v16, s4, v3
	v_add_u32_e32 v15, v16, v15
	v_mul_lo_u32 v16, s5, v3
	v_add_u32_e32 v15, v15, v16
	v_mul_lo_u32 v17, s4, v3
	v_mul_hi_u32 v18, v14, v17
	v_mul_lo_u32 v19, v14, v17
	v_mul_lo_u32 v21, v3, v15
	v_mul_hi_u32 v17, v3, v17
	v_mul_hi_u32 v20, v3, v15
	v_add_co_u32_e32 v17, vcc, v17, v21
	v_addc_co_u32_e32 v20, vcc, 0, v20, vcc
	v_add_co_u32_e32 v17, vcc, v17, v19
	v_mul_hi_u32 v16, v14, v15
	v_addc_co_u32_e32 v17, vcc, v20, v18, vcc
	v_addc_co_u32_e32 v16, vcc, 0, v16, vcc
	v_mul_lo_u32 v15, v14, v15
	v_add_co_u32_e32 v15, vcc, v17, v15
	v_addc_co_u32_e32 v16, vcc, 0, v16, vcc
	v_add_co_u32_e32 v3, vcc, v3, v15
	v_addc_co_u32_e32 v16, vcc, v14, v16, vcc
	v_mad_u64_u32 v[14:15], s[4:5], v12, v16, 0
	v_mul_hi_u32 v17, v12, v3
	v_add_co_u32_e32 v18, vcc, v17, v14
	v_addc_co_u32_e32 v19, vcc, 0, v15, vcc
	v_mad_u64_u32 v[14:15], s[4:5], v13, v16, 0
	v_mad_u64_u32 v[16:17], s[4:5], v13, v3, 0
	v_add_co_u32_e32 v3, vcc, v18, v16
	v_addc_co_u32_e32 v3, vcc, v19, v17, vcc
	v_addc_co_u32_e32 v15, vcc, 0, v15, vcc
	v_add_co_u32_e32 v3, vcc, v3, v14
	v_addc_co_u32_e32 v16, vcc, 0, v15, vcc
	v_mul_lo_u32 v17, s55, v3
	v_mul_lo_u32 v18, s54, v16
	v_mad_u64_u32 v[14:15], s[4:5], s54, v3, 0
	v_add3_u32 v15, v15, v18, v17
	v_sub_u32_e32 v17, v13, v15
	v_mov_b32_e32 v18, s55
	v_sub_co_u32_e32 v14, vcc, v12, v14
	v_subb_co_u32_e64 v17, s[4:5], v17, v18, vcc
	v_subrev_co_u32_e64 v18, s[4:5], s54, v14
	v_subbrev_co_u32_e64 v17, s[4:5], 0, v17, s[4:5]
	v_cmp_le_u32_e64 s[4:5], s55, v17
	v_cndmask_b32_e64 v19, 0, -1, s[4:5]
	v_cmp_le_u32_e64 s[4:5], s54, v18
	v_cndmask_b32_e64 v18, 0, -1, s[4:5]
	v_cmp_eq_u32_e64 s[4:5], s55, v17
	v_cndmask_b32_e64 v17, v19, v18, s[4:5]
	v_add_co_u32_e64 v18, s[4:5], 2, v3
	v_addc_co_u32_e64 v19, s[4:5], 0, v16, s[4:5]
	v_add_co_u32_e64 v20, s[4:5], 1, v3
	v_addc_co_u32_e64 v21, s[4:5], 0, v16, s[4:5]
	v_subb_co_u32_e32 v15, vcc, v13, v15, vcc
	v_cmp_ne_u32_e64 s[4:5], 0, v17
	v_cmp_le_u32_e32 vcc, s55, v15
	v_cndmask_b32_e64 v17, v21, v19, s[4:5]
	v_cndmask_b32_e64 v19, 0, -1, vcc
	v_cmp_le_u32_e32 vcc, s54, v14
	v_cndmask_b32_e64 v14, 0, -1, vcc
	v_cmp_eq_u32_e32 vcc, s55, v15
	v_cndmask_b32_e32 v14, v19, v14, vcc
	v_cmp_ne_u32_e32 vcc, 0, v14
	v_cndmask_b32_e64 v14, v20, v18, s[4:5]
	v_cndmask_b32_e32 v15, v16, v17, vcc
	v_cndmask_b32_e32 v14, v3, v14, vcc
.LBB109_16:                             ;   in Loop: Header=BB109_14 Depth=2
	s_andn2_saveexec_b64 s[4:5], s[56:57]
	s_cbranch_execz .LBB109_18
; %bb.17:                               ;   in Loop: Header=BB109_14 Depth=2
	v_cvt_f32_u32_e32 v3, s54
	s_sub_i32 s56, 0, s54
	v_rcp_iflag_f32_e32 v3, v3
	v_mul_f32_e32 v3, 0x4f7ffffe, v3
	v_cvt_u32_f32_e32 v3, v3
	v_mul_lo_u32 v14, s56, v3
	v_mul_hi_u32 v14, v3, v14
	v_add_u32_e32 v3, v3, v14
	v_mul_hi_u32 v3, v12, v3
	v_mul_lo_u32 v14, v3, s54
	v_sub_u32_e32 v14, v12, v14
	v_add_u32_e32 v15, 1, v3
	v_subrev_u32_e32 v16, s54, v14
	v_cmp_le_u32_e32 vcc, s54, v14
	v_cndmask_b32_e32 v14, v14, v16, vcc
	v_cndmask_b32_e32 v3, v3, v15, vcc
	v_add_u32_e32 v15, 1, v3
	v_cmp_le_u32_e32 vcc, s54, v14
	v_cndmask_b32_e32 v14, v3, v15, vcc
	v_mov_b32_e32 v15, v2
.LBB109_18:                             ;   in Loop: Header=BB109_14 Depth=2
	s_or_b64 exec, exec, s[4:5]
	v_mad_u64_u32 v[16:17], s[4:5], v14, s54, 0
	s_load_dwordx2 s[4:5], s[52:53], 0xc8
	v_mul_lo_u32 v3, v15, s54
	v_mul_lo_u32 v18, v14, s55
	v_add3_u32 v3, v17, v18, v3
	v_sub_co_u32_e32 v12, vcc, v12, v16
	s_add_i32 s58, s58, -1
	v_subb_co_u32_e32 v3, vcc, v13, v3, vcc
	s_add_u32 s52, s52, -8
	s_waitcnt lgkmcnt(0)
	v_mul_lo_u32 v3, s4, v3
	v_mul_lo_u32 v13, s5, v12
	v_mad_u64_u32 v[10:11], s[4:5], s4, v12, v[10:11]
	s_addc_u32 s53, s53, -1
	s_cmp_gt_u32 s58, 2
	v_add3_u32 v11, v13, v11, v3
	s_cbranch_scc0 .LBB109_20
; %bb.19:                               ;   in Loop: Header=BB109_14 Depth=2
	v_pk_mov_b32 v[12:13], v[14:15], v[14:15] op_sel:[0,1]
	s_branch .LBB109_14
.LBB109_20:                             ;   in Loop: Header=BB109_3 Depth=1
	v_mad_u64_u32 v[12:13], s[4:5], s20, v14, v[10:11]
	v_mul_lo_u32 v3, s20, v15
	v_mul_lo_u32 v10, s21, v14
	v_add3_u32 v13, v10, v13, v3
.LBB109_21:                             ;   in Loop: Header=BB109_3 Depth=1
	s_or_b64 exec, exec, s[6:7]
	v_or_b32_e32 v14, 1, v0
	v_mov_b32_e32 v15, v1
	v_cmp_lt_i32_e64 s[4:5], 1, v32
	v_pk_mov_b32 v[10:11], 0, 0
	s_and_saveexec_b64 s[52:53], s[4:5]
	s_cbranch_execz .LBB109_30
; %bb.22:                               ;   in Loop: Header=BB109_3 Depth=1
	s_and_b64 vcc, exec, s[0:1]
	v_pk_mov_b32 v[10:11], 0, 0
	s_mov_b64 s[54:55], s[30:31]
	s_mov_b32 s60, s64
	v_pk_mov_b32 v[16:17], v[14:15], v[14:15] op_sel:[0,1]
	v_pk_mov_b32 v[18:19], v[14:15], v[14:15] op_sel:[0,1]
	s_cbranch_vccnz .LBB109_29
.LBB109_23:                             ;   Parent Loop BB109_3 Depth=1
                                        ; =>  This Inner Loop Header: Depth=2
	s_load_dwordx2 s[56:57], s[54:55], 0x0
                                        ; implicit-def: $vgpr18_vgpr19
	s_waitcnt lgkmcnt(0)
	v_or_b32_e32 v3, s57, v17
	v_cmp_ne_u64_e32 vcc, 0, v[2:3]
	s_and_saveexec_b64 s[6:7], vcc
	s_xor_b64 s[58:59], exec, s[6:7]
	s_cbranch_execz .LBB109_25
; %bb.24:                               ;   in Loop: Header=BB109_23 Depth=2
	v_cvt_f32_u32_e32 v3, s56
	v_cvt_f32_u32_e32 v18, s57
	s_sub_u32 s6, 0, s56
	s_subb_u32 s7, 0, s57
	v_mac_f32_e32 v3, 0x4f800000, v18
	v_rcp_f32_e32 v3, v3
	v_mul_f32_e32 v3, 0x5f7ffffc, v3
	v_mul_f32_e32 v18, 0x2f800000, v3
	v_trunc_f32_e32 v18, v18
	v_mac_f32_e32 v3, 0xcf800000, v18
	v_cvt_u32_f32_e32 v18, v18
	v_cvt_u32_f32_e32 v3, v3
	v_mul_lo_u32 v19, s6, v18
	v_mul_hi_u32 v21, s6, v3
	v_mul_lo_u32 v20, s7, v3
	v_add_u32_e32 v19, v21, v19
	v_mul_lo_u32 v22, s6, v3
	v_add_u32_e32 v19, v19, v20
	v_mul_hi_u32 v21, v3, v22
	v_mul_lo_u32 v23, v3, v19
	v_mul_hi_u32 v20, v3, v19
	v_add_co_u32_e32 v21, vcc, v21, v23
	v_addc_co_u32_e32 v20, vcc, 0, v20, vcc
	v_mul_hi_u32 v24, v18, v22
	v_mul_lo_u32 v22, v18, v22
	v_add_co_u32_e32 v21, vcc, v21, v22
	v_mul_hi_u32 v23, v18, v19
	v_addc_co_u32_e32 v20, vcc, v20, v24, vcc
	v_addc_co_u32_e32 v21, vcc, 0, v23, vcc
	v_mul_lo_u32 v19, v18, v19
	v_add_co_u32_e32 v19, vcc, v20, v19
	v_addc_co_u32_e32 v20, vcc, 0, v21, vcc
	v_add_co_u32_e32 v3, vcc, v3, v19
	v_addc_co_u32_e32 v18, vcc, v18, v20, vcc
	v_mul_lo_u32 v19, s6, v18
	v_mul_hi_u32 v20, s6, v3
	v_add_u32_e32 v19, v20, v19
	v_mul_lo_u32 v20, s7, v3
	v_add_u32_e32 v19, v19, v20
	v_mul_lo_u32 v21, s6, v3
	v_mul_hi_u32 v22, v18, v21
	v_mul_lo_u32 v23, v18, v21
	v_mul_lo_u32 v25, v3, v19
	v_mul_hi_u32 v21, v3, v21
	v_mul_hi_u32 v24, v3, v19
	v_add_co_u32_e32 v21, vcc, v21, v25
	v_addc_co_u32_e32 v24, vcc, 0, v24, vcc
	v_add_co_u32_e32 v21, vcc, v21, v23
	v_mul_hi_u32 v20, v18, v19
	v_addc_co_u32_e32 v21, vcc, v24, v22, vcc
	v_addc_co_u32_e32 v20, vcc, 0, v20, vcc
	v_mul_lo_u32 v19, v18, v19
	v_add_co_u32_e32 v19, vcc, v21, v19
	v_addc_co_u32_e32 v20, vcc, 0, v20, vcc
	v_add_co_u32_e32 v3, vcc, v3, v19
	v_addc_co_u32_e32 v20, vcc, v18, v20, vcc
	v_mad_u64_u32 v[18:19], s[6:7], v16, v20, 0
	v_mul_hi_u32 v21, v16, v3
	v_add_co_u32_e32 v22, vcc, v21, v18
	v_addc_co_u32_e32 v23, vcc, 0, v19, vcc
	v_mad_u64_u32 v[18:19], s[6:7], v17, v20, 0
	v_mad_u64_u32 v[20:21], s[6:7], v17, v3, 0
	v_add_co_u32_e32 v3, vcc, v22, v20
	v_addc_co_u32_e32 v3, vcc, v23, v21, vcc
	v_addc_co_u32_e32 v19, vcc, 0, v19, vcc
	v_add_co_u32_e32 v3, vcc, v3, v18
	v_addc_co_u32_e32 v20, vcc, 0, v19, vcc
	v_mul_lo_u32 v21, s57, v3
	v_mul_lo_u32 v22, s56, v20
	v_mad_u64_u32 v[18:19], s[6:7], s56, v3, 0
	v_add3_u32 v19, v19, v22, v21
	v_sub_u32_e32 v21, v17, v19
	v_mov_b32_e32 v22, s57
	v_sub_co_u32_e32 v18, vcc, v16, v18
	v_subb_co_u32_e64 v21, s[6:7], v21, v22, vcc
	v_subrev_co_u32_e64 v22, s[6:7], s56, v18
	v_subbrev_co_u32_e64 v21, s[6:7], 0, v21, s[6:7]
	v_cmp_le_u32_e64 s[6:7], s57, v21
	v_cndmask_b32_e64 v23, 0, -1, s[6:7]
	v_cmp_le_u32_e64 s[6:7], s56, v22
	v_cndmask_b32_e64 v22, 0, -1, s[6:7]
	v_cmp_eq_u32_e64 s[6:7], s57, v21
	v_cndmask_b32_e64 v21, v23, v22, s[6:7]
	v_add_co_u32_e64 v22, s[6:7], 2, v3
	v_addc_co_u32_e64 v23, s[6:7], 0, v20, s[6:7]
	v_add_co_u32_e64 v24, s[6:7], 1, v3
	v_addc_co_u32_e64 v25, s[6:7], 0, v20, s[6:7]
	v_subb_co_u32_e32 v19, vcc, v17, v19, vcc
	v_cmp_ne_u32_e64 s[6:7], 0, v21
	v_cmp_le_u32_e32 vcc, s57, v19
	v_cndmask_b32_e64 v21, v25, v23, s[6:7]
	v_cndmask_b32_e64 v23, 0, -1, vcc
	v_cmp_le_u32_e32 vcc, s56, v18
	v_cndmask_b32_e64 v18, 0, -1, vcc
	v_cmp_eq_u32_e32 vcc, s57, v19
	v_cndmask_b32_e32 v18, v23, v18, vcc
	v_cmp_ne_u32_e32 vcc, 0, v18
	v_cndmask_b32_e64 v18, v24, v22, s[6:7]
	v_cndmask_b32_e32 v19, v20, v21, vcc
	v_cndmask_b32_e32 v18, v3, v18, vcc
.LBB109_25:                             ;   in Loop: Header=BB109_23 Depth=2
	s_andn2_saveexec_b64 s[6:7], s[58:59]
	s_cbranch_execz .LBB109_27
; %bb.26:                               ;   in Loop: Header=BB109_23 Depth=2
	v_cvt_f32_u32_e32 v3, s56
	s_sub_i32 s58, 0, s56
	v_rcp_iflag_f32_e32 v3, v3
	v_mul_f32_e32 v3, 0x4f7ffffe, v3
	v_cvt_u32_f32_e32 v3, v3
	v_mul_lo_u32 v18, s58, v3
	v_mul_hi_u32 v18, v3, v18
	v_add_u32_e32 v3, v3, v18
	v_mul_hi_u32 v3, v16, v3
	v_mul_lo_u32 v18, v3, s56
	v_sub_u32_e32 v18, v16, v18
	v_add_u32_e32 v19, 1, v3
	v_subrev_u32_e32 v20, s56, v18
	v_cmp_le_u32_e32 vcc, s56, v18
	v_cndmask_b32_e32 v18, v18, v20, vcc
	v_cndmask_b32_e32 v3, v3, v19, vcc
	v_add_u32_e32 v19, 1, v3
	v_cmp_le_u32_e32 vcc, s56, v18
	v_cndmask_b32_e32 v18, v3, v19, vcc
	v_mov_b32_e32 v19, v2
.LBB109_27:                             ;   in Loop: Header=BB109_23 Depth=2
	s_or_b64 exec, exec, s[6:7]
	v_mad_u64_u32 v[20:21], s[6:7], v18, s56, 0
	s_load_dwordx2 s[6:7], s[54:55], 0xc8
	v_mul_lo_u32 v3, v19, s56
	v_mul_lo_u32 v22, v18, s57
	v_add3_u32 v3, v21, v22, v3
	v_sub_co_u32_e32 v16, vcc, v16, v20
	s_add_i32 s60, s60, -1
	v_subb_co_u32_e32 v3, vcc, v17, v3, vcc
	s_add_u32 s54, s54, -8
	s_waitcnt lgkmcnt(0)
	v_mul_lo_u32 v3, s6, v3
	v_mul_lo_u32 v17, s7, v16
	v_mad_u64_u32 v[10:11], s[6:7], s6, v16, v[10:11]
	s_addc_u32 s55, s55, -1
	s_cmp_gt_u32 s60, 2
	v_add3_u32 v11, v17, v11, v3
	s_cbranch_scc0 .LBB109_29
; %bb.28:                               ;   in Loop: Header=BB109_23 Depth=2
	v_pk_mov_b32 v[16:17], v[18:19], v[18:19] op_sel:[0,1]
	s_branch .LBB109_23
.LBB109_29:                             ;   in Loop: Header=BB109_3 Depth=1
	v_mad_u64_u32 v[10:11], s[6:7], s18, v18, v[10:11]
	v_mul_lo_u32 v3, s18, v19
	v_mul_lo_u32 v16, s19, v18
	v_add3_u32 v11, v16, v11, v3
.LBB109_30:                             ;   in Loop: Header=BB109_3 Depth=1
	s_or_b64 exec, exec, s[52:53]
	v_pk_mov_b32 v[16:17], 0, 0
	s_and_saveexec_b64 s[6:7], s[4:5]
	s_cbranch_execz .LBB109_33
; %bb.31:                               ;   in Loop: Header=BB109_3 Depth=1
	s_and_b64 vcc, exec, s[2:3]
	v_pk_mov_b32 v[16:17], 0, 0
	s_mov_b64 s[52:53], s[34:35]
	s_mov_b32 s58, s65
	s_cbranch_vccz .LBB109_42
.LBB109_32:                             ;   in Loop: Header=BB109_3 Depth=1
	v_mad_u64_u32 v[16:17], s[4:5], s20, v14, v[16:17]
	v_mul_lo_u32 v3, s20, v15
	v_mul_lo_u32 v14, s21, v14
	v_add3_u32 v17, v14, v17, v3
.LBB109_33:                             ;   in Loop: Header=BB109_3 Depth=1
	s_or_b64 exec, exec, s[6:7]
	v_or_b32_e32 v18, 2, v0
	v_mov_b32_e32 v19, v1
	v_cmp_lt_i32_e64 s[4:5], 2, v32
	v_pk_mov_b32 v[14:15], 0, 0
	s_and_saveexec_b64 s[52:53], s[4:5]
	s_cbranch_execz .LBB109_47
; %bb.34:                               ;   in Loop: Header=BB109_3 Depth=1
	s_and_b64 vcc, exec, s[0:1]
	v_pk_mov_b32 v[14:15], 0, 0
	s_mov_b64 s[54:55], s[30:31]
	s_mov_b32 s60, s64
	v_pk_mov_b32 v[20:21], v[18:19], v[18:19] op_sel:[0,1]
	v_pk_mov_b32 v[22:23], v[18:19], v[18:19] op_sel:[0,1]
	s_cbranch_vccnz .LBB109_46
.LBB109_35:                             ;   Parent Loop BB109_3 Depth=1
                                        ; =>  This Inner Loop Header: Depth=2
	s_load_dwordx2 s[56:57], s[54:55], 0x0
                                        ; implicit-def: $vgpr22_vgpr23
	s_waitcnt lgkmcnt(0)
	v_or_b32_e32 v3, s57, v21
	v_cmp_ne_u64_e32 vcc, 0, v[2:3]
	s_and_saveexec_b64 s[6:7], vcc
	s_xor_b64 s[58:59], exec, s[6:7]
	s_cbranch_execz .LBB109_37
; %bb.36:                               ;   in Loop: Header=BB109_35 Depth=2
	v_cvt_f32_u32_e32 v3, s56
	v_cvt_f32_u32_e32 v22, s57
	s_sub_u32 s6, 0, s56
	s_subb_u32 s7, 0, s57
	v_mac_f32_e32 v3, 0x4f800000, v22
	v_rcp_f32_e32 v3, v3
	v_mul_f32_e32 v3, 0x5f7ffffc, v3
	v_mul_f32_e32 v22, 0x2f800000, v3
	v_trunc_f32_e32 v22, v22
	v_mac_f32_e32 v3, 0xcf800000, v22
	v_cvt_u32_f32_e32 v22, v22
	v_cvt_u32_f32_e32 v3, v3
	v_mul_lo_u32 v23, s6, v22
	v_mul_hi_u32 v25, s6, v3
	v_mul_lo_u32 v24, s7, v3
	v_add_u32_e32 v23, v25, v23
	v_mul_lo_u32 v26, s6, v3
	v_add_u32_e32 v23, v23, v24
	v_mul_hi_u32 v25, v3, v26
	v_mul_lo_u32 v27, v3, v23
	v_mul_hi_u32 v24, v3, v23
	v_add_co_u32_e32 v25, vcc, v25, v27
	v_addc_co_u32_e32 v24, vcc, 0, v24, vcc
	v_mul_hi_u32 v28, v22, v26
	v_mul_lo_u32 v26, v22, v26
	v_add_co_u32_e32 v25, vcc, v25, v26
	v_mul_hi_u32 v27, v22, v23
	v_addc_co_u32_e32 v24, vcc, v24, v28, vcc
	v_addc_co_u32_e32 v25, vcc, 0, v27, vcc
	v_mul_lo_u32 v23, v22, v23
	v_add_co_u32_e32 v23, vcc, v24, v23
	v_addc_co_u32_e32 v24, vcc, 0, v25, vcc
	v_add_co_u32_e32 v3, vcc, v3, v23
	v_addc_co_u32_e32 v22, vcc, v22, v24, vcc
	v_mul_lo_u32 v23, s6, v22
	v_mul_hi_u32 v24, s6, v3
	v_add_u32_e32 v23, v24, v23
	v_mul_lo_u32 v24, s7, v3
	v_add_u32_e32 v23, v23, v24
	v_mul_lo_u32 v25, s6, v3
	v_mul_hi_u32 v26, v22, v25
	v_mul_lo_u32 v27, v22, v25
	v_mul_lo_u32 v29, v3, v23
	v_mul_hi_u32 v25, v3, v25
	v_mul_hi_u32 v28, v3, v23
	v_add_co_u32_e32 v25, vcc, v25, v29
	v_addc_co_u32_e32 v28, vcc, 0, v28, vcc
	v_add_co_u32_e32 v25, vcc, v25, v27
	v_mul_hi_u32 v24, v22, v23
	v_addc_co_u32_e32 v25, vcc, v28, v26, vcc
	v_addc_co_u32_e32 v24, vcc, 0, v24, vcc
	v_mul_lo_u32 v23, v22, v23
	v_add_co_u32_e32 v23, vcc, v25, v23
	v_addc_co_u32_e32 v24, vcc, 0, v24, vcc
	v_add_co_u32_e32 v3, vcc, v3, v23
	v_addc_co_u32_e32 v24, vcc, v22, v24, vcc
	v_mad_u64_u32 v[22:23], s[6:7], v20, v24, 0
	v_mul_hi_u32 v25, v20, v3
	v_add_co_u32_e32 v26, vcc, v25, v22
	v_addc_co_u32_e32 v27, vcc, 0, v23, vcc
	v_mad_u64_u32 v[22:23], s[6:7], v21, v24, 0
	v_mad_u64_u32 v[24:25], s[6:7], v21, v3, 0
	v_add_co_u32_e32 v3, vcc, v26, v24
	v_addc_co_u32_e32 v3, vcc, v27, v25, vcc
	v_addc_co_u32_e32 v23, vcc, 0, v23, vcc
	v_add_co_u32_e32 v3, vcc, v3, v22
	v_addc_co_u32_e32 v24, vcc, 0, v23, vcc
	v_mul_lo_u32 v25, s57, v3
	v_mul_lo_u32 v26, s56, v24
	v_mad_u64_u32 v[22:23], s[6:7], s56, v3, 0
	v_add3_u32 v23, v23, v26, v25
	v_sub_u32_e32 v25, v21, v23
	v_mov_b32_e32 v26, s57
	v_sub_co_u32_e32 v22, vcc, v20, v22
	v_subb_co_u32_e64 v25, s[6:7], v25, v26, vcc
	v_subrev_co_u32_e64 v26, s[6:7], s56, v22
	v_subbrev_co_u32_e64 v25, s[6:7], 0, v25, s[6:7]
	v_cmp_le_u32_e64 s[6:7], s57, v25
	v_cndmask_b32_e64 v27, 0, -1, s[6:7]
	v_cmp_le_u32_e64 s[6:7], s56, v26
	v_cndmask_b32_e64 v26, 0, -1, s[6:7]
	v_cmp_eq_u32_e64 s[6:7], s57, v25
	v_cndmask_b32_e64 v25, v27, v26, s[6:7]
	v_add_co_u32_e64 v26, s[6:7], 2, v3
	v_addc_co_u32_e64 v27, s[6:7], 0, v24, s[6:7]
	v_add_co_u32_e64 v28, s[6:7], 1, v3
	v_addc_co_u32_e64 v29, s[6:7], 0, v24, s[6:7]
	v_subb_co_u32_e32 v23, vcc, v21, v23, vcc
	v_cmp_ne_u32_e64 s[6:7], 0, v25
	v_cmp_le_u32_e32 vcc, s57, v23
	v_cndmask_b32_e64 v25, v29, v27, s[6:7]
	v_cndmask_b32_e64 v27, 0, -1, vcc
	v_cmp_le_u32_e32 vcc, s56, v22
	v_cndmask_b32_e64 v22, 0, -1, vcc
	v_cmp_eq_u32_e32 vcc, s57, v23
	v_cndmask_b32_e32 v22, v27, v22, vcc
	v_cmp_ne_u32_e32 vcc, 0, v22
	v_cndmask_b32_e64 v22, v28, v26, s[6:7]
	v_cndmask_b32_e32 v23, v24, v25, vcc
	v_cndmask_b32_e32 v22, v3, v22, vcc
.LBB109_37:                             ;   in Loop: Header=BB109_35 Depth=2
	s_andn2_saveexec_b64 s[6:7], s[58:59]
	s_cbranch_execz .LBB109_39
; %bb.38:                               ;   in Loop: Header=BB109_35 Depth=2
	v_cvt_f32_u32_e32 v3, s56
	s_sub_i32 s58, 0, s56
	v_rcp_iflag_f32_e32 v3, v3
	v_mul_f32_e32 v3, 0x4f7ffffe, v3
	v_cvt_u32_f32_e32 v3, v3
	v_mul_lo_u32 v22, s58, v3
	v_mul_hi_u32 v22, v3, v22
	v_add_u32_e32 v3, v3, v22
	v_mul_hi_u32 v3, v20, v3
	v_mul_lo_u32 v22, v3, s56
	v_sub_u32_e32 v22, v20, v22
	v_add_u32_e32 v23, 1, v3
	v_subrev_u32_e32 v24, s56, v22
	v_cmp_le_u32_e32 vcc, s56, v22
	v_cndmask_b32_e32 v22, v22, v24, vcc
	v_cndmask_b32_e32 v3, v3, v23, vcc
	v_add_u32_e32 v23, 1, v3
	v_cmp_le_u32_e32 vcc, s56, v22
	v_cndmask_b32_e32 v22, v3, v23, vcc
	v_mov_b32_e32 v23, v2
.LBB109_39:                             ;   in Loop: Header=BB109_35 Depth=2
	s_or_b64 exec, exec, s[6:7]
	v_mad_u64_u32 v[24:25], s[6:7], v22, s56, 0
	s_load_dwordx2 s[6:7], s[54:55], 0xc8
	v_mul_lo_u32 v3, v23, s56
	v_mul_lo_u32 v26, v22, s57
	v_add3_u32 v3, v25, v26, v3
	v_sub_co_u32_e32 v20, vcc, v20, v24
	s_add_i32 s60, s60, -1
	v_subb_co_u32_e32 v3, vcc, v21, v3, vcc
	s_add_u32 s54, s54, -8
	s_waitcnt lgkmcnt(0)
	v_mul_lo_u32 v3, s6, v3
	v_mul_lo_u32 v21, s7, v20
	v_mad_u64_u32 v[14:15], s[6:7], s6, v20, v[14:15]
	s_addc_u32 s55, s55, -1
	s_cmp_gt_u32 s60, 2
	v_add3_u32 v15, v21, v15, v3
	s_cbranch_scc0 .LBB109_46
; %bb.40:                               ;   in Loop: Header=BB109_35 Depth=2
	v_pk_mov_b32 v[20:21], v[22:23], v[22:23] op_sel:[0,1]
	s_branch .LBB109_35
.LBB109_41:                             ;   in Loop: Header=BB109_42 Depth=2
	s_or_b64 exec, exec, s[4:5]
	v_mad_u64_u32 v[20:21], s[4:5], v18, s54, 0
	s_load_dwordx2 s[4:5], s[52:53], 0xc8
	v_mul_lo_u32 v3, v19, s54
	v_mul_lo_u32 v22, v18, s55
	v_add3_u32 v3, v21, v22, v3
	v_sub_co_u32_e32 v14, vcc, v14, v20
	s_add_i32 s58, s58, -1
	v_subb_co_u32_e32 v3, vcc, v15, v3, vcc
	s_add_u32 s52, s52, -8
	s_waitcnt lgkmcnt(0)
	v_mul_lo_u32 v3, s4, v3
	v_mul_lo_u32 v15, s5, v14
	v_mad_u64_u32 v[16:17], s[4:5], s4, v14, v[16:17]
	s_addc_u32 s53, s53, -1
	s_cmp_gt_u32 s58, 2
	v_add3_u32 v17, v15, v17, v3
	v_pk_mov_b32 v[14:15], v[18:19], v[18:19] op_sel:[0,1]
	s_cbranch_scc0 .LBB109_32
.LBB109_42:                             ;   Parent Loop BB109_3 Depth=1
                                        ; =>  This Inner Loop Header: Depth=2
	s_load_dwordx2 s[54:55], s[52:53], 0x0
                                        ; implicit-def: $vgpr18_vgpr19
	s_waitcnt lgkmcnt(0)
	v_or_b32_e32 v3, s55, v15
	v_cmp_ne_u64_e32 vcc, 0, v[2:3]
	s_and_saveexec_b64 s[4:5], vcc
	s_xor_b64 s[56:57], exec, s[4:5]
	s_cbranch_execz .LBB109_44
; %bb.43:                               ;   in Loop: Header=BB109_42 Depth=2
	v_cvt_f32_u32_e32 v3, s54
	v_cvt_f32_u32_e32 v18, s55
	s_sub_u32 s4, 0, s54
	s_subb_u32 s5, 0, s55
	v_mac_f32_e32 v3, 0x4f800000, v18
	v_rcp_f32_e32 v3, v3
	v_mul_f32_e32 v3, 0x5f7ffffc, v3
	v_mul_f32_e32 v18, 0x2f800000, v3
	v_trunc_f32_e32 v18, v18
	v_mac_f32_e32 v3, 0xcf800000, v18
	v_cvt_u32_f32_e32 v18, v18
	v_cvt_u32_f32_e32 v3, v3
	v_mul_lo_u32 v19, s4, v18
	v_mul_hi_u32 v21, s4, v3
	v_mul_lo_u32 v20, s5, v3
	v_add_u32_e32 v19, v21, v19
	v_mul_lo_u32 v22, s4, v3
	v_add_u32_e32 v19, v19, v20
	v_mul_hi_u32 v21, v3, v22
	v_mul_lo_u32 v23, v3, v19
	v_mul_hi_u32 v20, v3, v19
	v_add_co_u32_e32 v21, vcc, v21, v23
	v_addc_co_u32_e32 v20, vcc, 0, v20, vcc
	v_mul_hi_u32 v24, v18, v22
	v_mul_lo_u32 v22, v18, v22
	v_add_co_u32_e32 v21, vcc, v21, v22
	v_mul_hi_u32 v23, v18, v19
	v_addc_co_u32_e32 v20, vcc, v20, v24, vcc
	v_addc_co_u32_e32 v21, vcc, 0, v23, vcc
	v_mul_lo_u32 v19, v18, v19
	v_add_co_u32_e32 v19, vcc, v20, v19
	v_addc_co_u32_e32 v20, vcc, 0, v21, vcc
	v_add_co_u32_e32 v3, vcc, v3, v19
	v_addc_co_u32_e32 v18, vcc, v18, v20, vcc
	v_mul_lo_u32 v19, s4, v18
	v_mul_hi_u32 v20, s4, v3
	v_add_u32_e32 v19, v20, v19
	v_mul_lo_u32 v20, s5, v3
	v_add_u32_e32 v19, v19, v20
	v_mul_lo_u32 v21, s4, v3
	v_mul_hi_u32 v22, v18, v21
	v_mul_lo_u32 v23, v18, v21
	v_mul_lo_u32 v25, v3, v19
	v_mul_hi_u32 v21, v3, v21
	v_mul_hi_u32 v24, v3, v19
	v_add_co_u32_e32 v21, vcc, v21, v25
	v_addc_co_u32_e32 v24, vcc, 0, v24, vcc
	v_add_co_u32_e32 v21, vcc, v21, v23
	v_mul_hi_u32 v20, v18, v19
	v_addc_co_u32_e32 v21, vcc, v24, v22, vcc
	v_addc_co_u32_e32 v20, vcc, 0, v20, vcc
	v_mul_lo_u32 v19, v18, v19
	v_add_co_u32_e32 v19, vcc, v21, v19
	v_addc_co_u32_e32 v20, vcc, 0, v20, vcc
	v_add_co_u32_e32 v3, vcc, v3, v19
	v_addc_co_u32_e32 v20, vcc, v18, v20, vcc
	v_mad_u64_u32 v[18:19], s[4:5], v14, v20, 0
	v_mul_hi_u32 v21, v14, v3
	v_add_co_u32_e32 v22, vcc, v21, v18
	v_addc_co_u32_e32 v23, vcc, 0, v19, vcc
	v_mad_u64_u32 v[18:19], s[4:5], v15, v20, 0
	v_mad_u64_u32 v[20:21], s[4:5], v15, v3, 0
	v_add_co_u32_e32 v3, vcc, v22, v20
	v_addc_co_u32_e32 v3, vcc, v23, v21, vcc
	v_addc_co_u32_e32 v19, vcc, 0, v19, vcc
	v_add_co_u32_e32 v3, vcc, v3, v18
	v_addc_co_u32_e32 v20, vcc, 0, v19, vcc
	v_mul_lo_u32 v21, s55, v3
	v_mul_lo_u32 v22, s54, v20
	v_mad_u64_u32 v[18:19], s[4:5], s54, v3, 0
	v_add3_u32 v19, v19, v22, v21
	v_sub_u32_e32 v21, v15, v19
	v_mov_b32_e32 v22, s55
	v_sub_co_u32_e32 v18, vcc, v14, v18
	v_subb_co_u32_e64 v21, s[4:5], v21, v22, vcc
	v_subrev_co_u32_e64 v22, s[4:5], s54, v18
	v_subbrev_co_u32_e64 v21, s[4:5], 0, v21, s[4:5]
	v_cmp_le_u32_e64 s[4:5], s55, v21
	v_cndmask_b32_e64 v23, 0, -1, s[4:5]
	v_cmp_le_u32_e64 s[4:5], s54, v22
	v_cndmask_b32_e64 v22, 0, -1, s[4:5]
	v_cmp_eq_u32_e64 s[4:5], s55, v21
	v_cndmask_b32_e64 v21, v23, v22, s[4:5]
	v_add_co_u32_e64 v22, s[4:5], 2, v3
	v_addc_co_u32_e64 v23, s[4:5], 0, v20, s[4:5]
	v_add_co_u32_e64 v24, s[4:5], 1, v3
	v_addc_co_u32_e64 v25, s[4:5], 0, v20, s[4:5]
	v_subb_co_u32_e32 v19, vcc, v15, v19, vcc
	v_cmp_ne_u32_e64 s[4:5], 0, v21
	v_cmp_le_u32_e32 vcc, s55, v19
	v_cndmask_b32_e64 v21, v25, v23, s[4:5]
	v_cndmask_b32_e64 v23, 0, -1, vcc
	v_cmp_le_u32_e32 vcc, s54, v18
	v_cndmask_b32_e64 v18, 0, -1, vcc
	v_cmp_eq_u32_e32 vcc, s55, v19
	v_cndmask_b32_e32 v18, v23, v18, vcc
	v_cmp_ne_u32_e32 vcc, 0, v18
	v_cndmask_b32_e64 v18, v24, v22, s[4:5]
	v_cndmask_b32_e32 v19, v20, v21, vcc
	v_cndmask_b32_e32 v18, v3, v18, vcc
.LBB109_44:                             ;   in Loop: Header=BB109_42 Depth=2
	s_andn2_saveexec_b64 s[4:5], s[56:57]
	s_cbranch_execz .LBB109_41
; %bb.45:                               ;   in Loop: Header=BB109_42 Depth=2
	v_cvt_f32_u32_e32 v3, s54
	s_sub_i32 s56, 0, s54
	v_rcp_iflag_f32_e32 v3, v3
	v_mul_f32_e32 v3, 0x4f7ffffe, v3
	v_cvt_u32_f32_e32 v3, v3
	v_mul_lo_u32 v18, s56, v3
	v_mul_hi_u32 v18, v3, v18
	v_add_u32_e32 v3, v3, v18
	v_mul_hi_u32 v3, v14, v3
	v_mul_lo_u32 v18, v3, s54
	v_sub_u32_e32 v18, v14, v18
	v_add_u32_e32 v19, 1, v3
	v_subrev_u32_e32 v20, s54, v18
	v_cmp_le_u32_e32 vcc, s54, v18
	v_cndmask_b32_e32 v18, v18, v20, vcc
	v_cndmask_b32_e32 v3, v3, v19, vcc
	v_add_u32_e32 v19, 1, v3
	v_cmp_le_u32_e32 vcc, s54, v18
	v_cndmask_b32_e32 v18, v3, v19, vcc
	v_mov_b32_e32 v19, v2
	s_branch .LBB109_41
.LBB109_46:                             ;   in Loop: Header=BB109_3 Depth=1
	v_mad_u64_u32 v[14:15], s[6:7], s18, v22, v[14:15]
	v_mul_lo_u32 v3, s18, v23
	v_mul_lo_u32 v20, s19, v22
	v_add3_u32 v15, v20, v15, v3
.LBB109_47:                             ;   in Loop: Header=BB109_3 Depth=1
	s_or_b64 exec, exec, s[52:53]
	v_pk_mov_b32 v[20:21], 0, 0
	s_and_saveexec_b64 s[6:7], s[4:5]
	s_cbranch_execz .LBB109_50
; %bb.48:                               ;   in Loop: Header=BB109_3 Depth=1
	s_and_b64 vcc, exec, s[2:3]
	v_pk_mov_b32 v[20:21], 0, 0
	s_mov_b64 s[52:53], s[34:35]
	s_mov_b32 s58, s65
	s_cbranch_vccz .LBB109_59
.LBB109_49:                             ;   in Loop: Header=BB109_3 Depth=1
	v_mad_u64_u32 v[20:21], s[4:5], s20, v18, v[20:21]
	v_mul_lo_u32 v3, s20, v19
	v_mul_lo_u32 v18, s21, v18
	v_add3_u32 v21, v18, v21, v3
.LBB109_50:                             ;   in Loop: Header=BB109_3 Depth=1
	s_or_b64 exec, exec, s[6:7]
	v_or_b32_e32 v22, 3, v0
	v_mov_b32_e32 v23, v1
	v_cmp_lt_i32_e64 s[4:5], 3, v32
	v_pk_mov_b32 v[18:19], 0, 0
	s_and_saveexec_b64 s[6:7], s[4:5]
	s_cbranch_execz .LBB109_64
; %bb.51:                               ;   in Loop: Header=BB109_3 Depth=1
	s_and_b64 vcc, exec, s[0:1]
	v_pk_mov_b32 v[18:19], 0, 0
	s_mov_b64 s[52:53], s[30:31]
	s_mov_b32 s58, s64
	v_pk_mov_b32 v[24:25], v[22:23], v[22:23] op_sel:[0,1]
	v_pk_mov_b32 v[26:27], v[22:23], v[22:23] op_sel:[0,1]
	s_cbranch_vccnz .LBB109_63
.LBB109_52:                             ;   Parent Loop BB109_3 Depth=1
                                        ; =>  This Inner Loop Header: Depth=2
	s_load_dwordx2 s[54:55], s[52:53], 0x0
                                        ; implicit-def: $vgpr26_vgpr27
	s_waitcnt lgkmcnt(0)
	v_or_b32_e32 v3, s55, v25
	v_cmp_ne_u64_e32 vcc, 0, v[2:3]
	s_and_saveexec_b64 s[0:1], vcc
	s_xor_b64 s[56:57], exec, s[0:1]
	s_cbranch_execz .LBB109_54
; %bb.53:                               ;   in Loop: Header=BB109_52 Depth=2
	v_cvt_f32_u32_e32 v3, s54
	v_cvt_f32_u32_e32 v26, s55
	s_sub_u32 s0, 0, s54
	s_subb_u32 s1, 0, s55
	v_mac_f32_e32 v3, 0x4f800000, v26
	v_rcp_f32_e32 v3, v3
	v_mul_f32_e32 v3, 0x5f7ffffc, v3
	v_mul_f32_e32 v26, 0x2f800000, v3
	v_trunc_f32_e32 v26, v26
	v_mac_f32_e32 v3, 0xcf800000, v26
	v_cvt_u32_f32_e32 v26, v26
	v_cvt_u32_f32_e32 v3, v3
	v_mul_lo_u32 v27, s0, v26
	v_mul_hi_u32 v29, s0, v3
	v_mul_lo_u32 v28, s1, v3
	v_add_u32_e32 v27, v29, v27
	v_mul_lo_u32 v30, s0, v3
	v_add_u32_e32 v27, v27, v28
	v_mul_hi_u32 v29, v3, v30
	v_mul_lo_u32 v31, v3, v27
	v_mul_hi_u32 v28, v3, v27
	v_add_co_u32_e32 v29, vcc, v29, v31
	v_addc_co_u32_e32 v28, vcc, 0, v28, vcc
	s_waitcnt vmcnt(2)
	v_mul_hi_u32 v33, v26, v30
	v_mul_lo_u32 v30, v26, v30
	v_add_co_u32_e32 v29, vcc, v29, v30
	v_mul_hi_u32 v31, v26, v27
	v_addc_co_u32_e32 v28, vcc, v28, v33, vcc
	v_addc_co_u32_e32 v29, vcc, 0, v31, vcc
	v_mul_lo_u32 v27, v26, v27
	v_add_co_u32_e32 v27, vcc, v28, v27
	v_addc_co_u32_e32 v28, vcc, 0, v29, vcc
	v_add_co_u32_e32 v3, vcc, v3, v27
	v_addc_co_u32_e32 v26, vcc, v26, v28, vcc
	v_mul_lo_u32 v27, s0, v26
	v_mul_hi_u32 v28, s0, v3
	v_add_u32_e32 v27, v28, v27
	v_mul_lo_u32 v28, s1, v3
	v_add_u32_e32 v27, v27, v28
	v_mul_lo_u32 v29, s0, v3
	v_mul_hi_u32 v30, v26, v29
	v_mul_lo_u32 v31, v26, v29
	s_waitcnt vmcnt(1)
	v_mul_lo_u32 v34, v3, v27
	v_mul_hi_u32 v29, v3, v29
	v_mul_hi_u32 v33, v3, v27
	v_add_co_u32_e32 v29, vcc, v29, v34
	v_addc_co_u32_e32 v33, vcc, 0, v33, vcc
	v_add_co_u32_e32 v29, vcc, v29, v31
	v_mul_hi_u32 v28, v26, v27
	v_addc_co_u32_e32 v29, vcc, v33, v30, vcc
	v_addc_co_u32_e32 v28, vcc, 0, v28, vcc
	v_mul_lo_u32 v27, v26, v27
	v_add_co_u32_e32 v27, vcc, v29, v27
	v_addc_co_u32_e32 v28, vcc, 0, v28, vcc
	v_add_co_u32_e32 v3, vcc, v3, v27
	v_addc_co_u32_e32 v28, vcc, v26, v28, vcc
	v_mad_u64_u32 v[26:27], s[0:1], v24, v28, 0
	v_mul_hi_u32 v29, v24, v3
	v_add_co_u32_e32 v30, vcc, v29, v26
	v_addc_co_u32_e32 v31, vcc, 0, v27, vcc
	v_mad_u64_u32 v[26:27], s[0:1], v25, v28, 0
	v_mad_u64_u32 v[28:29], s[0:1], v25, v3, 0
	v_add_co_u32_e32 v3, vcc, v30, v28
	v_addc_co_u32_e32 v3, vcc, v31, v29, vcc
	v_addc_co_u32_e32 v27, vcc, 0, v27, vcc
	v_add_co_u32_e32 v3, vcc, v3, v26
	v_addc_co_u32_e32 v28, vcc, 0, v27, vcc
	v_mul_lo_u32 v29, s55, v3
	v_mul_lo_u32 v30, s54, v28
	v_mad_u64_u32 v[26:27], s[0:1], s54, v3, 0
	v_add3_u32 v27, v27, v30, v29
	v_sub_u32_e32 v29, v25, v27
	v_mov_b32_e32 v30, s55
	v_sub_co_u32_e32 v26, vcc, v24, v26
	v_subb_co_u32_e64 v29, s[0:1], v29, v30, vcc
	v_subrev_co_u32_e64 v30, s[0:1], s54, v26
	v_subbrev_co_u32_e64 v29, s[0:1], 0, v29, s[0:1]
	v_cmp_le_u32_e64 s[0:1], s55, v29
	v_cndmask_b32_e64 v31, 0, -1, s[0:1]
	v_cmp_le_u32_e64 s[0:1], s54, v30
	v_cndmask_b32_e64 v30, 0, -1, s[0:1]
	v_cmp_eq_u32_e64 s[0:1], s55, v29
	v_cndmask_b32_e64 v29, v31, v30, s[0:1]
	v_add_co_u32_e64 v30, s[0:1], 2, v3
	v_addc_co_u32_e64 v31, s[0:1], 0, v28, s[0:1]
	v_add_co_u32_e64 v33, s[0:1], 1, v3
	v_addc_co_u32_e64 v34, s[0:1], 0, v28, s[0:1]
	v_subb_co_u32_e32 v27, vcc, v25, v27, vcc
	v_cmp_ne_u32_e64 s[0:1], 0, v29
	v_cmp_le_u32_e32 vcc, s55, v27
	v_cndmask_b32_e64 v29, v34, v31, s[0:1]
	v_cndmask_b32_e64 v31, 0, -1, vcc
	v_cmp_le_u32_e32 vcc, s54, v26
	v_cndmask_b32_e64 v26, 0, -1, vcc
	v_cmp_eq_u32_e32 vcc, s55, v27
	v_cndmask_b32_e32 v26, v31, v26, vcc
	v_cmp_ne_u32_e32 vcc, 0, v26
	v_cndmask_b32_e64 v26, v33, v30, s[0:1]
	v_cndmask_b32_e32 v27, v28, v29, vcc
	v_cndmask_b32_e32 v26, v3, v26, vcc
.LBB109_54:                             ;   in Loop: Header=BB109_52 Depth=2
	s_andn2_saveexec_b64 s[0:1], s[56:57]
	s_cbranch_execz .LBB109_56
; %bb.55:                               ;   in Loop: Header=BB109_52 Depth=2
	v_cvt_f32_u32_e32 v3, s54
	s_sub_i32 s56, 0, s54
	v_rcp_iflag_f32_e32 v3, v3
	v_mul_f32_e32 v3, 0x4f7ffffe, v3
	v_cvt_u32_f32_e32 v3, v3
	v_mul_lo_u32 v26, s56, v3
	v_mul_hi_u32 v26, v3, v26
	v_add_u32_e32 v3, v3, v26
	v_mul_hi_u32 v3, v24, v3
	v_mul_lo_u32 v26, v3, s54
	v_sub_u32_e32 v26, v24, v26
	v_add_u32_e32 v27, 1, v3
	v_subrev_u32_e32 v28, s54, v26
	v_cmp_le_u32_e32 vcc, s54, v26
	v_cndmask_b32_e32 v26, v26, v28, vcc
	v_cndmask_b32_e32 v3, v3, v27, vcc
	v_add_u32_e32 v27, 1, v3
	v_cmp_le_u32_e32 vcc, s54, v26
	v_cndmask_b32_e32 v26, v3, v27, vcc
	v_mov_b32_e32 v27, v2
.LBB109_56:                             ;   in Loop: Header=BB109_52 Depth=2
	s_or_b64 exec, exec, s[0:1]
	v_mad_u64_u32 v[28:29], s[0:1], v26, s54, 0
	s_load_dwordx2 s[0:1], s[52:53], 0xc8
	v_mul_lo_u32 v3, v27, s54
	v_mul_lo_u32 v30, v26, s55
	v_add3_u32 v3, v29, v30, v3
	v_sub_co_u32_e32 v24, vcc, v24, v28
	s_add_i32 s58, s58, -1
	v_subb_co_u32_e32 v3, vcc, v25, v3, vcc
	s_add_u32 s52, s52, -8
	s_waitcnt lgkmcnt(0)
	v_mul_lo_u32 v3, s0, v3
	v_mul_lo_u32 v25, s1, v24
	v_mad_u64_u32 v[18:19], s[0:1], s0, v24, v[18:19]
	s_addc_u32 s53, s53, -1
	s_cmp_gt_u32 s58, 2
	v_add3_u32 v19, v25, v19, v3
	s_cbranch_scc0 .LBB109_63
; %bb.57:                               ;   in Loop: Header=BB109_52 Depth=2
	v_pk_mov_b32 v[24:25], v[26:27], v[26:27] op_sel:[0,1]
	s_branch .LBB109_52
.LBB109_58:                             ;   in Loop: Header=BB109_59 Depth=2
	s_or_b64 exec, exec, s[4:5]
	v_mad_u64_u32 v[24:25], s[4:5], v22, s54, 0
	s_load_dwordx2 s[4:5], s[52:53], 0xc8
	v_mul_lo_u32 v3, v23, s54
	v_mul_lo_u32 v26, v22, s55
	v_add3_u32 v3, v25, v26, v3
	v_sub_co_u32_e32 v18, vcc, v18, v24
	s_add_i32 s58, s58, -1
	v_subb_co_u32_e32 v3, vcc, v19, v3, vcc
	s_add_u32 s52, s52, -8
	s_waitcnt lgkmcnt(0)
	v_mul_lo_u32 v3, s4, v3
	v_mul_lo_u32 v19, s5, v18
	v_mad_u64_u32 v[20:21], s[4:5], s4, v18, v[20:21]
	s_addc_u32 s53, s53, -1
	s_cmp_gt_u32 s58, 2
	v_add3_u32 v21, v19, v21, v3
	v_pk_mov_b32 v[18:19], v[22:23], v[22:23] op_sel:[0,1]
	s_cbranch_scc0 .LBB109_49
.LBB109_59:                             ;   Parent Loop BB109_3 Depth=1
                                        ; =>  This Inner Loop Header: Depth=2
	s_load_dwordx2 s[54:55], s[52:53], 0x0
                                        ; implicit-def: $vgpr22_vgpr23
	s_waitcnt lgkmcnt(0)
	v_or_b32_e32 v3, s55, v19
	v_cmp_ne_u64_e32 vcc, 0, v[2:3]
	s_and_saveexec_b64 s[4:5], vcc
	s_xor_b64 s[56:57], exec, s[4:5]
	s_cbranch_execz .LBB109_61
; %bb.60:                               ;   in Loop: Header=BB109_59 Depth=2
	v_cvt_f32_u32_e32 v3, s54
	v_cvt_f32_u32_e32 v22, s55
	s_sub_u32 s4, 0, s54
	s_subb_u32 s5, 0, s55
	v_mac_f32_e32 v3, 0x4f800000, v22
	v_rcp_f32_e32 v3, v3
	v_mul_f32_e32 v3, 0x5f7ffffc, v3
	v_mul_f32_e32 v22, 0x2f800000, v3
	v_trunc_f32_e32 v22, v22
	v_mac_f32_e32 v3, 0xcf800000, v22
	v_cvt_u32_f32_e32 v22, v22
	v_cvt_u32_f32_e32 v3, v3
	v_mul_lo_u32 v23, s4, v22
	v_mul_hi_u32 v25, s4, v3
	v_mul_lo_u32 v24, s5, v3
	v_add_u32_e32 v23, v25, v23
	v_mul_lo_u32 v26, s4, v3
	v_add_u32_e32 v23, v23, v24
	v_mul_hi_u32 v25, v3, v26
	v_mul_lo_u32 v27, v3, v23
	v_mul_hi_u32 v24, v3, v23
	v_add_co_u32_e32 v25, vcc, v25, v27
	v_addc_co_u32_e32 v24, vcc, 0, v24, vcc
	v_mul_hi_u32 v28, v22, v26
	v_mul_lo_u32 v26, v22, v26
	v_add_co_u32_e32 v25, vcc, v25, v26
	v_mul_hi_u32 v27, v22, v23
	v_addc_co_u32_e32 v24, vcc, v24, v28, vcc
	v_addc_co_u32_e32 v25, vcc, 0, v27, vcc
	v_mul_lo_u32 v23, v22, v23
	v_add_co_u32_e32 v23, vcc, v24, v23
	v_addc_co_u32_e32 v24, vcc, 0, v25, vcc
	v_add_co_u32_e32 v3, vcc, v3, v23
	v_addc_co_u32_e32 v22, vcc, v22, v24, vcc
	v_mul_lo_u32 v23, s4, v22
	v_mul_hi_u32 v24, s4, v3
	v_add_u32_e32 v23, v24, v23
	v_mul_lo_u32 v24, s5, v3
	v_add_u32_e32 v23, v23, v24
	v_mul_lo_u32 v25, s4, v3
	v_mul_hi_u32 v26, v22, v25
	v_mul_lo_u32 v27, v22, v25
	v_mul_lo_u32 v29, v3, v23
	v_mul_hi_u32 v25, v3, v25
	v_mul_hi_u32 v28, v3, v23
	v_add_co_u32_e32 v25, vcc, v25, v29
	v_addc_co_u32_e32 v28, vcc, 0, v28, vcc
	v_add_co_u32_e32 v25, vcc, v25, v27
	v_mul_hi_u32 v24, v22, v23
	v_addc_co_u32_e32 v25, vcc, v28, v26, vcc
	v_addc_co_u32_e32 v24, vcc, 0, v24, vcc
	v_mul_lo_u32 v23, v22, v23
	v_add_co_u32_e32 v23, vcc, v25, v23
	v_addc_co_u32_e32 v24, vcc, 0, v24, vcc
	v_add_co_u32_e32 v3, vcc, v3, v23
	v_addc_co_u32_e32 v24, vcc, v22, v24, vcc
	v_mad_u64_u32 v[22:23], s[4:5], v18, v24, 0
	v_mul_hi_u32 v25, v18, v3
	v_add_co_u32_e32 v26, vcc, v25, v22
	v_addc_co_u32_e32 v27, vcc, 0, v23, vcc
	v_mad_u64_u32 v[22:23], s[4:5], v19, v24, 0
	v_mad_u64_u32 v[24:25], s[4:5], v19, v3, 0
	v_add_co_u32_e32 v3, vcc, v26, v24
	v_addc_co_u32_e32 v3, vcc, v27, v25, vcc
	v_addc_co_u32_e32 v23, vcc, 0, v23, vcc
	v_add_co_u32_e32 v3, vcc, v3, v22
	v_addc_co_u32_e32 v24, vcc, 0, v23, vcc
	v_mul_lo_u32 v25, s55, v3
	v_mul_lo_u32 v26, s54, v24
	v_mad_u64_u32 v[22:23], s[4:5], s54, v3, 0
	v_add3_u32 v23, v23, v26, v25
	v_sub_u32_e32 v25, v19, v23
	v_mov_b32_e32 v26, s55
	v_sub_co_u32_e32 v22, vcc, v18, v22
	v_subb_co_u32_e64 v25, s[4:5], v25, v26, vcc
	v_subrev_co_u32_e64 v26, s[4:5], s54, v22
	v_subbrev_co_u32_e64 v25, s[4:5], 0, v25, s[4:5]
	v_cmp_le_u32_e64 s[4:5], s55, v25
	v_cndmask_b32_e64 v27, 0, -1, s[4:5]
	v_cmp_le_u32_e64 s[4:5], s54, v26
	v_cndmask_b32_e64 v26, 0, -1, s[4:5]
	v_cmp_eq_u32_e64 s[4:5], s55, v25
	v_cndmask_b32_e64 v25, v27, v26, s[4:5]
	v_add_co_u32_e64 v26, s[4:5], 2, v3
	v_addc_co_u32_e64 v27, s[4:5], 0, v24, s[4:5]
	v_add_co_u32_e64 v28, s[4:5], 1, v3
	v_addc_co_u32_e64 v29, s[4:5], 0, v24, s[4:5]
	v_subb_co_u32_e32 v23, vcc, v19, v23, vcc
	v_cmp_ne_u32_e64 s[4:5], 0, v25
	v_cmp_le_u32_e32 vcc, s55, v23
	v_cndmask_b32_e64 v25, v29, v27, s[4:5]
	v_cndmask_b32_e64 v27, 0, -1, vcc
	v_cmp_le_u32_e32 vcc, s54, v22
	v_cndmask_b32_e64 v22, 0, -1, vcc
	v_cmp_eq_u32_e32 vcc, s55, v23
	v_cndmask_b32_e32 v22, v27, v22, vcc
	v_cmp_ne_u32_e32 vcc, 0, v22
	v_cndmask_b32_e64 v22, v28, v26, s[4:5]
	v_cndmask_b32_e32 v23, v24, v25, vcc
	v_cndmask_b32_e32 v22, v3, v22, vcc
.LBB109_61:                             ;   in Loop: Header=BB109_59 Depth=2
	s_andn2_saveexec_b64 s[4:5], s[56:57]
	s_cbranch_execz .LBB109_58
; %bb.62:                               ;   in Loop: Header=BB109_59 Depth=2
	v_cvt_f32_u32_e32 v3, s54
	s_sub_i32 s56, 0, s54
	v_rcp_iflag_f32_e32 v3, v3
	v_mul_f32_e32 v3, 0x4f7ffffe, v3
	v_cvt_u32_f32_e32 v3, v3
	v_mul_lo_u32 v22, s56, v3
	v_mul_hi_u32 v22, v3, v22
	v_add_u32_e32 v3, v3, v22
	v_mul_hi_u32 v3, v18, v3
	v_mul_lo_u32 v22, v3, s54
	v_sub_u32_e32 v22, v18, v22
	v_add_u32_e32 v23, 1, v3
	v_subrev_u32_e32 v24, s54, v22
	v_cmp_le_u32_e32 vcc, s54, v22
	v_cndmask_b32_e32 v22, v22, v24, vcc
	v_cndmask_b32_e32 v3, v3, v23, vcc
	v_add_u32_e32 v23, 1, v3
	v_cmp_le_u32_e32 vcc, s54, v22
	v_cndmask_b32_e32 v22, v3, v23, vcc
	v_mov_b32_e32 v23, v2
	s_branch .LBB109_58
.LBB109_63:                             ;   in Loop: Header=BB109_3 Depth=1
	v_mad_u64_u32 v[18:19], s[0:1], s18, v26, v[18:19]
	v_mul_lo_u32 v3, s18, v27
	v_mul_lo_u32 v24, s19, v26
	v_add3_u32 v19, v24, v19, v3
.LBB109_64:                             ;   in Loop: Header=BB109_3 Depth=1
	s_or_b64 exec, exec, s[6:7]
	v_pk_mov_b32 v[24:25], 0, 0
	s_and_saveexec_b64 s[6:7], s[4:5]
	s_cbranch_execz .LBB109_67
; %bb.65:                               ;   in Loop: Header=BB109_3 Depth=1
	s_and_b64 vcc, exec, s[2:3]
	v_pk_mov_b32 v[24:25], 0, 0
	s_mov_b64 s[2:3], s[34:35]
	s_mov_b32 s54, s65
	s_cbranch_vccz .LBB109_97
.LBB109_66:                             ;   in Loop: Header=BB109_3 Depth=1
	v_mad_u64_u32 v[24:25], s[0:1], s20, v22, v[24:25]
	v_mul_lo_u32 v3, s20, v23
	v_mul_lo_u32 v22, s21, v22
	v_add3_u32 v25, v22, v25, v3
.LBB109_67:                             ;   in Loop: Header=BB109_3 Depth=1
	s_or_b64 exec, exec, s[6:7]
	v_lshlrev_b64 v[12:13], 2, v[12:13]
	v_mov_b32_e32 v3, s17
	v_add_co_u32_e32 v12, vcc, s16, v12
	v_addc_co_u32_e32 v13, vcc, v3, v13, vcc
	v_lshlrev_b64 v[16:17], 2, v[16:17]
	v_add_co_u32_e32 v16, vcc, s16, v16
	v_addc_co_u32_e32 v17, vcc, v3, v17, vcc
	v_lshlrev_b64 v[20:21], 2, v[20:21]
	;; [unrolled: 3-line block ×3, first 2 shown]
	v_add_co_u32_e32 v22, vcc, s16, v22
	v_addc_co_u32_e32 v23, vcc, v3, v23, vcc
	global_load_dword v3, v[12:13], off
	global_load_dword v33, v[16:17], off
	;; [unrolled: 1-line block ×4, first 2 shown]
	s_andn2_b64 vcc, exec, s[26:27]
	v_pk_mov_b32 v[12:13], s[12:13], s[12:13] op_sel:[0,1]
	v_pk_mov_b32 v[16:17], s[10:11], s[10:11] op_sel:[0,1]
	s_cbranch_vccnz .LBB109_69
; %bb.68:                               ;   in Loop: Header=BB109_3 Depth=1
	v_pk_mov_b32 v[12:13], s[12:13], s[12:13] op_sel:[0,1]
	flat_load_dwordx2 v[12:13], v[12:13]
	v_pk_mov_b32 v[16:17], s[10:11], s[10:11] op_sel:[0,1]
	flat_load_dwordx2 v[16:17], v[16:17]
	v_mov_b32_e32 v20, s15
	s_waitcnt vmcnt(0) lgkmcnt(0)
	v_add_co_u32_e32 v12, vcc, s14, v12
	v_addc_co_u32_e32 v13, vcc, v13, v20, vcc
.LBB109_69:                             ;   in Loop: Header=BB109_3 Depth=1
	v_alignbit_b32 v28, v13, v12, 2
	v_lshrrev_b32_e32 v29, 2, v13
	v_xor_b32_e32 v20, v6, v16
	v_and_b32_e32 v36, 3, v12
	v_mad_u64_u32 v[12:13], s[0:1], v28, s66, 0
	v_xor_b32_e32 v20, v20, v29
	v_xor_b32_e32 v13, v13, v17
	v_add_u32_e32 v41, 0xbb67ae85, v17
	v_mad_u64_u32 v[20:21], s[0:1], v20, s66, 0
	v_mad_u64_u32 v[22:23], s[0:1], v13, s33, 0
	v_xor_b32_e32 v21, v41, v21
	v_add_u32_e32 v40, 0x9e3779b9, v16
	v_xor_b32_e32 v13, v4, v23
	v_xor_b32_e32 v21, v21, v12
	v_xor_b32_e32 v13, v13, v40
	v_add_u32_e32 v42, 0x3c6ef372, v16
	v_mad_u64_u32 v[24:25], s[0:1], v21, s33, 0
	v_add_u32_e32 v43, 0x76cf5d0a, v17
	v_mad_u64_u32 v[12:13], s[0:1], v13, s66, 0
	v_xor_b32_e32 v21, v42, v25
	v_xor_b32_e32 v21, v21, v22
	v_xor_b32_e32 v13, v43, v13
	v_xor_b32_e32 v13, v13, v20
	v_add_u32_e32 v45, 0x32370b8f, v17
	v_mad_u64_u32 v[20:21], s[0:1], v21, s66, 0
	v_add_u32_e32 v44, 0xdaa66d2b, v16
	v_mad_u64_u32 v[22:23], s[0:1], v13, s33, 0
	v_xor_b32_e32 v21, v45, v21
	;; [unrolled: 8-line block ×5, first 2 shown]
	v_xor_b32_e32 v21, v21, v22
	v_xor_b32_e32 v13, v51, v13
	;; [unrolled: 1-line block ×3, first 2 shown]
	v_add_u32_e32 v53, 0x1fd5c5a3, v17
	v_mad_u64_u32 v[20:21], s[0:1], v21, s66, 0
	v_xor_b32_e32 v21, v53, v21
	v_xor_b32_e32 v12, v21, v12
	v_add_u32_e32 v52, 0x5384540f, v16
	v_mad_u64_u32 v[26:27], s[0:1], v13, s33, 0
	v_add_co_u32_e32 v38, vcc, s67, v16
	v_mad_u64_u32 v[22:23], s[0:1], v12, s33, 0
	v_xor_b32_e32 v13, v52, v27
	v_xor_b32_e32 v12, v38, v23
	;; [unrolled: 1-line block ×4, first 2 shown]
	v_mad_u64_u32 v[24:25], s[0:1], v13, s66, 0
	v_mad_u64_u32 v[12:13], s[0:1], v12, s66, 0
	v_add_u32_e32 v39, 0x96a522ad, v17
	v_xor_b32_e32 v13, v13, v24
	v_xor_b32_e32 v37, v39, v13
	v_add_co_u32_e32 v13, vcc, 1, v28
	v_cndmask_b32_e64 v24, 0, 1, vcc
	v_addc_co_u32_e32 v30, vcc, 0, v29, vcc
	v_cmp_eq_u32_e32 vcc, 0, v30
	v_cndmask_b32_e32 v24, 0, v24, vcc
	v_add_u32_e32 v28, v24, v7
	v_cmp_eq_u32_e32 vcc, 0, v28
	v_mad_u64_u32 v[26:27], s[0:1], v13, s66, 0
	v_mad_u64_u32 v[28:29], s[0:1], v28, s33, 0
	v_add_u32_e32 v23, 0x8ff34781, v16
	v_cndmask_b32_e32 v24, 0, v24, vcc
	v_xor_b32_e32 v13, v29, v16
	v_xor_b32_e32 v16, v27, v17
	;; [unrolled: 1-line block ×4, first 2 shown]
	v_mad_u64_u32 v[30:31], s[0:1], v24, s33, 0
	v_add_u32_e32 v21, 0xdb3d7428, v17
	v_mad_u64_u32 v[16:17], s[0:1], v13, s66, 0
	v_xor_b32_e32 v13, v40, v31
	v_xor_b32_e32 v13, v13, v28
	v_xor_b32_e32 v17, v41, v17
	v_xor_b32_e32 v17, v17, v26
	v_mad_u64_u32 v[26:27], s[0:1], v13, s66, 0
	v_mad_u64_u32 v[28:29], s[0:1], v17, s33, 0
	v_xor_b32_e32 v17, v43, v27
	v_xor_b32_e32 v13, v42, v29
	v_xor_b32_e32 v24, v17, v16
	v_xor_b32_e32 v13, v13, v30
	v_mad_u64_u32 v[30:31], s[0:1], v24, s33, 0
	;; [unrolled: 6-line block ×7, first 2 shown]
	v_xor_b32_e32 v13, v21, v29
	v_xor_b32_e32 v13, v13, v16
	v_mad_u64_u32 v[30:31], s[0:1], v17, s33, 0
	v_mad_u64_u32 v[16:17], s[0:1], v13, s33, 0
	v_xor_b32_e32 v13, v17, v30
	v_xor_b32_e32 v13, v23, v13
	v_cmp_lt_i32_e32 vcc, 1, v36
                                        ; implicit-def: $vgpr27
	s_and_saveexec_b64 s[0:1], vcc
	s_xor_b64 s[0:1], exec, s[0:1]
	s_cbranch_execz .LBB109_75
; %bb.70:                               ;   in Loop: Header=BB109_3 Depth=1
	v_cmp_lt_i32_e32 vcc, 2, v36
                                        ; implicit-def: $vgpr27
	s_and_saveexec_b64 s[2:3], vcc
	s_xor_b64 s[2:3], exec, s[2:3]
; %bb.71:                               ;   in Loop: Header=BB109_3 Depth=1
	v_xor_b32_e32 v17, v38, v31
	v_xor_b32_e32 v17, v17, v26
	v_mul_hi_u32 v17, v17, s66
	v_xor_b32_e32 v17, v17, v28
	v_xor_b32_e32 v27, v39, v17
                                        ; implicit-def: $vgpr37
; %bb.72:                               ;   in Loop: Header=BB109_3 Depth=1
	s_andn2_saveexec_b64 s[2:3], s[2:3]
; %bb.73:                               ;   in Loop: Header=BB109_3 Depth=1
	v_mov_b32_e32 v27, v16
	v_mov_b32_e32 v16, v13
	;; [unrolled: 1-line block ×4, first 2 shown]
; %bb.74:                               ;   in Loop: Header=BB109_3 Depth=1
	s_or_b64 exec, exec, s[2:3]
                                        ; implicit-def: $vgpr20_vgpr21
                                        ; implicit-def: $vgpr22_vgpr23
                                        ; implicit-def: $vgpr36
                                        ; implicit-def: $vgpr37
                                        ; implicit-def: $vgpr24_vgpr25
                                        ; implicit-def: $vgpr21
                                        ; implicit-def: $vgpr23
.LBB109_75:                             ;   in Loop: Header=BB109_3 Depth=1
	s_andn2_saveexec_b64 s[0:1], s[0:1]
	s_cbranch_execz .LBB109_79
; %bb.76:                               ;   in Loop: Header=BB109_3 Depth=1
	v_xor_b32_e32 v16, v21, v25
	v_xor_b32_e32 v16, v16, v20
	v_mad_u64_u32 v[20:21], s[2:3], v16, s33, 0
	v_xor_b32_e32 v16, v21, v22
	v_xor_b32_e32 v17, v23, v16
	v_cmp_eq_u32_e32 vcc, 1, v36
	v_mov_b32_e32 v27, v12
	v_mov_b32_e32 v16, v37
	;; [unrolled: 1-line block ×3, first 2 shown]
	s_and_saveexec_b64 s[2:3], vcc
; %bb.77:                               ;   in Loop: Header=BB109_3 Depth=1
	v_mov_b32_e32 v27, v13
	v_mov_b32_e32 v16, v12
	;; [unrolled: 1-line block ×4, first 2 shown]
; %bb.78:                               ;   in Loop: Header=BB109_3 Depth=1
	s_or_b64 exec, exec, s[2:3]
	v_mov_b32_e32 v12, v17
	v_mov_b32_e32 v13, v21
.LBB109_79:                             ;   in Loop: Header=BB109_3 Depth=1
	s_or_b64 exec, exec, s[0:1]
	v_min_i32_e32 v17, 4, v32
	v_cmp_lt_i32_e32 vcc, 2, v17
	s_mov_b64 s[2:3], 0
	s_mov_b64 s[58:59], 0
	;; [unrolled: 1-line block ×3, first 2 shown]
                                        ; implicit-def: $sgpr6_sgpr7
                                        ; implicit-def: $sgpr52_sgpr53
                                        ; implicit-def: $sgpr54_sgpr55
	s_and_saveexec_b64 s[0:1], vcc
	s_xor_b64 s[56:57], exec, s[0:1]
	s_cbranch_execz .LBB109_91
; %bb.80:                               ;   in Loop: Header=BB109_3 Depth=1
	v_cmp_lt_i32_e32 vcc, 3, v17
	s_mov_b64 s[0:1], -1
	s_mov_b64 s[60:61], 0
                                        ; implicit-def: $sgpr4_sgpr5
                                        ; implicit-def: $sgpr6_sgpr7
	s_and_saveexec_b64 s[52:53], vcc
	s_cbranch_execz .LBB109_86
; %bb.81:                               ;   in Loop: Header=BB109_3 Depth=1
	v_cmp_eq_u32_e32 vcc, 4, v17
	s_mov_b64 s[0:1], 0
	s_mov_b64 s[60:61], -1
                                        ; implicit-def: $sgpr4_sgpr5
                                        ; implicit-def: $sgpr6_sgpr7
	s_and_saveexec_b64 s[54:55], vcc
	s_cbranch_execz .LBB109_85
; %bb.82:                               ;   in Loop: Header=BB109_3 Depth=1
	s_waitcnt vmcnt(0)
	v_cmp_le_f32_e32 vcc, 0, v35
	v_cmp_ge_f32_e64 s[0:1], 1.0, v35
	s_and_b64 s[60:61], vcc, s[0:1]
	s_mov_b64 s[4:5], 0
	s_mov_b64 s[0:1], 0
	s_and_saveexec_b64 s[6:7], s[60:61]
	s_cbranch_execz .LBB109_84
; %bb.83:                               ;   in Loop: Header=BB109_3 Depth=1
	v_cvt_f32_u32_e32 v20, v27
	v_mov_b32_e32 v21, 0x2f800000
	v_lshlrev_b64 v[18:19], 1, v[18:19]
	v_add_co_u32_e32 v18, vcc, s24, v18
	v_fmac_f32_e32 v21, 0x2f800000, v20
	v_mov_b32_e32 v20, s25
	v_addc_co_u32_e32 v19, vcc, v20, v19, vcc
	v_cmp_le_f32_e32 vcc, v21, v35
	s_mov_b64 s[0:1], exec
	v_cndmask_b32_e64 v20, 0, 1.0, vcc
	global_store_short_d16_hi v[18:19], v20, off
.LBB109_84:                             ;   in Loop: Header=BB109_3 Depth=1
	s_or_b64 exec, exec, s[6:7]
	s_mov_b64 s[6:7], -1
	s_xor_b64 s[60:61], exec, -1
	s_and_b64 s[0:1], s[0:1], exec
.LBB109_85:                             ;   in Loop: Header=BB109_3 Depth=1
	s_or_b64 exec, exec, s[54:55]
	s_and_b64 s[60:61], s[60:61], exec
	s_orn2_b64 s[0:1], s[0:1], exec
.LBB109_86:                             ;   in Loop: Header=BB109_3 Depth=1
	s_or_b64 exec, exec, s[52:53]
	s_mov_b64 s[54:55], s[4:5]
	s_and_saveexec_b64 s[52:53], s[0:1]
	s_cbranch_execz .LBB109_90
; %bb.87:                               ;   in Loop: Header=BB109_3 Depth=1
	s_waitcnt vmcnt(1)
	v_cmp_le_f32_e32 vcc, 0, v34
	v_cmp_ge_f32_e64 s[0:1], 1.0, v34
	s_and_b64 s[54:55], vcc, s[0:1]
	s_mov_b64 s[0:1], 0
	s_and_saveexec_b64 s[58:59], s[54:55]
	s_xor_b64 s[54:55], exec, s[58:59]
	s_cbranch_execz .LBB109_89
; %bb.88:                               ;   in Loop: Header=BB109_3 Depth=1
	v_cvt_f32_u32_e32 v16, v16
	v_mov_b32_e32 v18, 0x2f800000
	v_lshlrev_b64 v[14:15], 1, v[14:15]
	v_add_co_u32_e32 v14, vcc, s24, v14
	v_fmac_f32_e32 v18, 0x2f800000, v16
	v_mov_b32_e32 v16, s25
	v_addc_co_u32_e32 v15, vcc, v16, v15, vcc
	v_cmp_le_f32_e32 vcc, v18, v34
	v_cndmask_b32_e64 v16, 0, 1.0, vcc
	s_mov_b64 s[0:1], exec
	global_store_short_d16_hi v[14:15], v16, off
.LBB109_89:                             ;   in Loop: Header=BB109_3 Depth=1
	s_or_b64 exec, exec, s[54:55]
	s_andn2_b64 s[54:55], s[4:5], exec
	s_or_b64 s[4:5], s[4:5], exec
	s_andn2_b64 s[6:7], s[6:7], exec
	s_and_b64 s[58:59], s[0:1], exec
.LBB109_90:                             ;   in Loop: Header=BB109_3 Depth=1
	s_or_b64 exec, exec, s[52:53]
	s_and_b64 s[54:55], s[54:55], exec
	s_and_b64 s[52:53], s[4:5], exec
	;; [unrolled: 1-line block ×5, first 2 shown]
.LBB109_91:                             ;   in Loop: Header=BB109_3 Depth=1
	s_andn2_saveexec_b64 s[0:1], s[56:57]
; %bb.92:                               ;   in Loop: Header=BB109_3 Depth=1
	v_cmp_lt_i32_e32 vcc, 1, v17
	s_andn2_b64 s[56:57], s[58:59], exec
	s_and_b64 s[58:59], vcc, exec
	s_mov_b64 s[2:3], exec
	s_andn2_b64 s[54:55], s[54:55], exec
	s_andn2_b64 s[52:53], s[52:53], exec
	;; [unrolled: 1-line block ×3, first 2 shown]
	s_or_b64 s[58:59], s[56:57], s[58:59]
; %bb.93:                               ;   in Loop: Header=BB109_3 Depth=1
	s_or_b64 exec, exec, s[0:1]
	s_mov_b64 s[0:1], 0
	s_mov_b64 s[56:57], s[54:55]
	s_and_saveexec_b64 s[60:61], s[58:59]
	s_cbranch_execnz .LBB109_101
; %bb.94:                               ;   in Loop: Header=BB109_3 Depth=1
	s_or_b64 exec, exec, s[60:61]
	s_and_saveexec_b64 s[58:59], s[2:3]
	s_cbranch_execnz .LBB109_104
.LBB109_95:                             ;   in Loop: Header=BB109_3 Depth=1
	s_or_b64 exec, exec, s[58:59]
	s_and_saveexec_b64 s[2:3], s[0:1]
	s_cbranch_execnz .LBB109_105
	s_branch .LBB109_108
.LBB109_96:                             ;   in Loop: Header=BB109_97 Depth=2
	s_or_b64 exec, exec, s[0:1]
	v_mad_u64_u32 v[28:29], s[0:1], v26, s4, 0
	s_load_dwordx2 s[0:1], s[2:3], 0xc8
	v_mul_lo_u32 v3, v27, s4
	v_mul_lo_u32 v30, v26, s5
	v_add3_u32 v3, v29, v30, v3
	v_sub_co_u32_e32 v22, vcc, v22, v28
	s_add_i32 s54, s54, -1
	v_subb_co_u32_e32 v3, vcc, v23, v3, vcc
	s_add_u32 s2, s2, -8
	s_waitcnt lgkmcnt(0)
	v_mul_lo_u32 v3, s0, v3
	v_mul_lo_u32 v23, s1, v22
	v_mad_u64_u32 v[24:25], s[0:1], s0, v22, v[24:25]
	s_addc_u32 s3, s3, -1
	s_cmp_gt_u32 s54, 2
	v_add3_u32 v25, v23, v25, v3
	v_pk_mov_b32 v[22:23], v[26:27], v[26:27] op_sel:[0,1]
	s_cbranch_scc0 .LBB109_66
.LBB109_97:                             ;   Parent Loop BB109_3 Depth=1
                                        ; =>  This Inner Loop Header: Depth=2
	s_load_dwordx2 s[4:5], s[2:3], 0x0
                                        ; implicit-def: $vgpr26_vgpr27
	s_waitcnt lgkmcnt(0)
	v_or_b32_e32 v3, s5, v23
	v_cmp_ne_u64_e32 vcc, 0, v[2:3]
	s_and_saveexec_b64 s[0:1], vcc
	s_xor_b64 s[52:53], exec, s[0:1]
	s_cbranch_execz .LBB109_99
; %bb.98:                               ;   in Loop: Header=BB109_97 Depth=2
	v_cvt_f32_u32_e32 v3, s4
	v_cvt_f32_u32_e32 v26, s5
	s_sub_u32 s0, 0, s4
	s_subb_u32 s1, 0, s5
	v_mac_f32_e32 v3, 0x4f800000, v26
	v_rcp_f32_e32 v3, v3
	v_mul_f32_e32 v3, 0x5f7ffffc, v3
	v_mul_f32_e32 v26, 0x2f800000, v3
	v_trunc_f32_e32 v26, v26
	v_mac_f32_e32 v3, 0xcf800000, v26
	v_cvt_u32_f32_e32 v26, v26
	v_cvt_u32_f32_e32 v3, v3
	v_mul_lo_u32 v27, s0, v26
	v_mul_hi_u32 v29, s0, v3
	v_mul_lo_u32 v28, s1, v3
	v_add_u32_e32 v27, v29, v27
	v_mul_lo_u32 v30, s0, v3
	v_add_u32_e32 v27, v27, v28
	v_mul_hi_u32 v29, v3, v30
	v_mul_lo_u32 v31, v3, v27
	v_mul_hi_u32 v28, v3, v27
	v_add_co_u32_e32 v29, vcc, v29, v31
	v_addc_co_u32_e32 v28, vcc, 0, v28, vcc
	s_waitcnt vmcnt(2)
	v_mul_hi_u32 v33, v26, v30
	v_mul_lo_u32 v30, v26, v30
	v_add_co_u32_e32 v29, vcc, v29, v30
	v_mul_hi_u32 v31, v26, v27
	v_addc_co_u32_e32 v28, vcc, v28, v33, vcc
	v_addc_co_u32_e32 v29, vcc, 0, v31, vcc
	v_mul_lo_u32 v27, v26, v27
	v_add_co_u32_e32 v27, vcc, v28, v27
	v_addc_co_u32_e32 v28, vcc, 0, v29, vcc
	v_add_co_u32_e32 v3, vcc, v3, v27
	v_addc_co_u32_e32 v26, vcc, v26, v28, vcc
	v_mul_lo_u32 v27, s0, v26
	v_mul_hi_u32 v28, s0, v3
	v_add_u32_e32 v27, v28, v27
	v_mul_lo_u32 v28, s1, v3
	v_add_u32_e32 v27, v27, v28
	v_mul_lo_u32 v29, s0, v3
	v_mul_hi_u32 v30, v26, v29
	v_mul_lo_u32 v31, v26, v29
	s_waitcnt vmcnt(1)
	v_mul_lo_u32 v34, v3, v27
	v_mul_hi_u32 v29, v3, v29
	v_mul_hi_u32 v33, v3, v27
	v_add_co_u32_e32 v29, vcc, v29, v34
	v_addc_co_u32_e32 v33, vcc, 0, v33, vcc
	v_add_co_u32_e32 v29, vcc, v29, v31
	v_mul_hi_u32 v28, v26, v27
	v_addc_co_u32_e32 v29, vcc, v33, v30, vcc
	v_addc_co_u32_e32 v28, vcc, 0, v28, vcc
	v_mul_lo_u32 v27, v26, v27
	v_add_co_u32_e32 v27, vcc, v29, v27
	v_addc_co_u32_e32 v28, vcc, 0, v28, vcc
	v_add_co_u32_e32 v3, vcc, v3, v27
	v_addc_co_u32_e32 v28, vcc, v26, v28, vcc
	v_mad_u64_u32 v[26:27], s[0:1], v22, v28, 0
	v_mul_hi_u32 v29, v22, v3
	v_add_co_u32_e32 v30, vcc, v29, v26
	v_addc_co_u32_e32 v31, vcc, 0, v27, vcc
	v_mad_u64_u32 v[26:27], s[0:1], v23, v28, 0
	v_mad_u64_u32 v[28:29], s[0:1], v23, v3, 0
	v_add_co_u32_e32 v3, vcc, v30, v28
	v_addc_co_u32_e32 v3, vcc, v31, v29, vcc
	v_addc_co_u32_e32 v27, vcc, 0, v27, vcc
	v_add_co_u32_e32 v3, vcc, v3, v26
	v_addc_co_u32_e32 v28, vcc, 0, v27, vcc
	v_mul_lo_u32 v29, s5, v3
	v_mul_lo_u32 v30, s4, v28
	v_mad_u64_u32 v[26:27], s[0:1], s4, v3, 0
	v_add3_u32 v27, v27, v30, v29
	v_sub_u32_e32 v29, v23, v27
	v_mov_b32_e32 v30, s5
	v_sub_co_u32_e32 v26, vcc, v22, v26
	v_subb_co_u32_e64 v29, s[0:1], v29, v30, vcc
	v_subrev_co_u32_e64 v30, s[0:1], s4, v26
	v_subbrev_co_u32_e64 v29, s[0:1], 0, v29, s[0:1]
	v_cmp_le_u32_e64 s[0:1], s5, v29
	v_cndmask_b32_e64 v31, 0, -1, s[0:1]
	v_cmp_le_u32_e64 s[0:1], s4, v30
	v_cndmask_b32_e64 v30, 0, -1, s[0:1]
	v_cmp_eq_u32_e64 s[0:1], s5, v29
	v_cndmask_b32_e64 v29, v31, v30, s[0:1]
	v_add_co_u32_e64 v30, s[0:1], 2, v3
	v_addc_co_u32_e64 v31, s[0:1], 0, v28, s[0:1]
	v_add_co_u32_e64 v33, s[0:1], 1, v3
	v_addc_co_u32_e64 v34, s[0:1], 0, v28, s[0:1]
	v_subb_co_u32_e32 v27, vcc, v23, v27, vcc
	v_cmp_ne_u32_e64 s[0:1], 0, v29
	v_cmp_le_u32_e32 vcc, s5, v27
	v_cndmask_b32_e64 v29, v34, v31, s[0:1]
	v_cndmask_b32_e64 v31, 0, -1, vcc
	v_cmp_le_u32_e32 vcc, s4, v26
	v_cndmask_b32_e64 v26, 0, -1, vcc
	v_cmp_eq_u32_e32 vcc, s5, v27
	v_cndmask_b32_e32 v26, v31, v26, vcc
	v_cmp_ne_u32_e32 vcc, 0, v26
	v_cndmask_b32_e64 v26, v33, v30, s[0:1]
	v_cndmask_b32_e32 v27, v28, v29, vcc
	v_cndmask_b32_e32 v26, v3, v26, vcc
.LBB109_99:                             ;   in Loop: Header=BB109_97 Depth=2
	s_andn2_saveexec_b64 s[0:1], s[52:53]
	s_cbranch_execz .LBB109_96
; %bb.100:                              ;   in Loop: Header=BB109_97 Depth=2
	v_cvt_f32_u32_e32 v3, s4
	s_sub_i32 s52, 0, s4
	v_rcp_iflag_f32_e32 v3, v3
	v_mul_f32_e32 v3, 0x4f7ffffe, v3
	v_cvt_u32_f32_e32 v3, v3
	v_mul_lo_u32 v26, s52, v3
	v_mul_hi_u32 v26, v3, v26
	v_add_u32_e32 v3, v3, v26
	v_mul_hi_u32 v3, v22, v3
	v_mul_lo_u32 v26, v3, s4
	v_sub_u32_e32 v26, v22, v26
	v_add_u32_e32 v27, 1, v3
	v_subrev_u32_e32 v28, s4, v26
	v_cmp_le_u32_e32 vcc, s4, v26
	v_cndmask_b32_e32 v26, v26, v28, vcc
	v_cndmask_b32_e32 v3, v3, v27, vcc
	v_add_u32_e32 v27, 1, v3
	v_cmp_le_u32_e32 vcc, s4, v26
	v_cndmask_b32_e32 v26, v3, v27, vcc
	v_mov_b32_e32 v27, v2
	s_branch .LBB109_96
.LBB109_101:                            ;   in Loop: Header=BB109_3 Depth=1
	s_waitcnt vmcnt(2)
	v_cmp_le_f32_e32 vcc, 0, v33
	v_cmp_ge_f32_e64 s[0:1], 1.0, v33
	s_and_b64 s[56:57], vcc, s[0:1]
	s_mov_b64 s[0:1], 0
	s_and_saveexec_b64 s[58:59], s[56:57]
	s_xor_b64 s[56:57], exec, s[58:59]
	s_cbranch_execz .LBB109_103
; %bb.102:                              ;   in Loop: Header=BB109_3 Depth=1
	v_cvt_f32_u32_e32 v13, v13
	v_mov_b32_e32 v14, 0x2f800000
	v_lshlrev_b64 v[10:11], 1, v[10:11]
	v_add_co_u32_e32 v10, vcc, s24, v10
	v_fmac_f32_e32 v14, 0x2f800000, v13
	v_mov_b32_e32 v13, s25
	v_addc_co_u32_e32 v11, vcc, v13, v11, vcc
	v_cmp_le_f32_e32 vcc, v14, v33
	v_cndmask_b32_e64 v13, 0, 1.0, vcc
	s_mov_b64 s[0:1], exec
	global_store_short_d16_hi v[10:11], v13, off
.LBB109_103:                            ;   in Loop: Header=BB109_3 Depth=1
	s_or_b64 exec, exec, s[56:57]
	s_andn2_b64 s[56:57], s[54:55], exec
	s_or_b64 s[54:55], s[54:55], exec
	s_andn2_b64 s[52:53], s[52:53], exec
	s_andn2_b64 s[6:7], s[6:7], exec
	s_and_b64 s[0:1], s[0:1], exec
	s_andn2_b64 s[2:3], s[2:3], exec
	s_or_b64 exec, exec, s[60:61]
	s_and_saveexec_b64 s[58:59], s[2:3]
	s_cbranch_execz .LBB109_95
.LBB109_104:                            ;   in Loop: Header=BB109_3 Depth=1
	v_cmp_eq_u32_e32 vcc, 1, v17
	s_andn2_b64 s[0:1], s[0:1], exec
	s_and_b64 s[2:3], vcc, exec
	s_andn2_b64 s[56:57], s[56:57], exec
	s_andn2_b64 s[54:55], s[54:55], exec
	;; [unrolled: 1-line block ×4, first 2 shown]
	s_or_b64 s[4:5], s[4:5], exec
	s_or_b64 s[0:1], s[0:1], s[2:3]
	s_or_b64 exec, exec, s[58:59]
	s_and_saveexec_b64 s[2:3], s[0:1]
	s_cbranch_execz .LBB109_108
.LBB109_105:                            ;   in Loop: Header=BB109_3 Depth=1
	s_waitcnt vmcnt(3)
	v_cmp_le_f32_e32 vcc, 0, v3
	v_cmp_ge_f32_e64 s[0:1], 1.0, v3
	s_and_b64 s[60:61], vcc, s[0:1]
	s_mov_b64 s[0:1], 0
	s_and_saveexec_b64 s[58:59], s[60:61]
	s_cbranch_execz .LBB109_107
; %bb.106:                              ;   in Loop: Header=BB109_3 Depth=1
	v_cvt_f32_u32_e32 v10, v12
	v_mov_b32_e32 v11, 0x2f800000
	v_lshlrev_b64 v[8:9], 1, v[8:9]
	v_add_co_u32_e32 v8, vcc, s24, v8
	v_fmac_f32_e32 v11, 0x2f800000, v10
	v_mov_b32_e32 v10, s25
	v_addc_co_u32_e32 v9, vcc, v10, v9, vcc
	v_cmp_le_f32_e32 vcc, v11, v3
	s_mov_b64 s[0:1], exec
	v_cndmask_b32_e64 v3, 0, 1.0, vcc
	global_store_short_d16_hi v[8:9], v3, off
.LBB109_107:                            ;   in Loop: Header=BB109_3 Depth=1
	s_or_b64 exec, exec, s[58:59]
	s_andn2_b64 s[4:5], s[4:5], exec
	s_and_b64 s[0:1], s[0:1], exec
	s_or_b64 s[56:57], s[56:57], exec
	s_andn2_b64 s[54:55], s[54:55], exec
	s_andn2_b64 s[52:53], s[52:53], exec
	s_andn2_b64 s[6:7], s[6:7], exec
	s_or_b64 s[4:5], s[4:5], s[0:1]
.LBB109_108:                            ;   in Loop: Header=BB109_3 Depth=1
	s_or_b64 exec, exec, s[2:3]
	s_andn2_b64 s[2:3], s[50:51], exec
	s_and_b64 s[50:51], s[56:57], exec
	s_or_b64 s[50:51], s[2:3], s[50:51]
	s_andn2_b64 s[2:3], s[48:49], exec
	s_and_b64 s[48:49], s[54:55], exec
	s_or_b64 s[48:49], s[2:3], s[48:49]
	;; [unrolled: 3-line block ×3, first 2 shown]
	s_andn2_b64 s[2:3], s[44:45], exec
	s_and_b64 s[6:7], s[6:7], exec
	s_mov_b64 s[0:1], -1
	s_or_b64 s[44:45], s[2:3], s[6:7]
	s_and_saveexec_b64 s[2:3], s[4:5]
	s_cbranch_execz .LBB109_2
; %bb.109:                              ;   in Loop: Header=BB109_3 Depth=1
	s_waitcnt vmcnt(3)
	v_mov_b32_e32 v3, s63
	v_add_co_u32_e32 v0, vcc, s62, v0
	v_addc_co_u32_e32 v1, vcc, v1, v3, vcc
	v_cmp_le_u64_e32 vcc, s[8:9], v[0:1]
	s_andn2_b64 s[50:51], s[50:51], exec
	s_andn2_b64 s[48:49], s[48:49], exec
	;; [unrolled: 1-line block ×4, first 2 shown]
	s_orn2_b64 s[0:1], vcc, exec
	s_branch .LBB109_2
.LBB109_110:
	s_or_b64 exec, exec, s[36:37]
	s_xor_b64 s[6:7], s[42:43], -1
	s_xor_b64 s[8:9], s[40:41], -1
	;; [unrolled: 1-line block ×3, first 2 shown]
	s_mov_b64 s[2:3], 0
	s_and_saveexec_b64 s[4:5], s[0:1]
	s_xor_b64 s[0:1], exec, s[4:5]
	s_cbranch_execnz .LBB109_115
; %bb.111:
	s_andn2_saveexec_b64 s[0:1], s[0:1]
	s_cbranch_execnz .LBB109_123
.LBB109_112:
	s_or_b64 exec, exec, s[0:1]
	s_and_b64 exec, exec, s[2:3]
.LBB109_113:
	; divergent unreachable
.LBB109_114:
	s_endpgm
.LBB109_115:
	s_mov_b64 s[4:5], 0
	s_and_saveexec_b64 s[2:3], s[8:9]
	s_xor_b64 s[2:3], exec, s[2:3]
	s_cbranch_execz .LBB109_121
; %bb.116:
	s_and_saveexec_b64 s[8:9], s[6:7]
	s_xor_b64 s[6:7], exec, s[8:9]
	s_cbranch_execz .LBB109_119
; %bb.117:
	s_and_saveexec_b64 s[8:9], s[28:29]
	s_xor_b64 s[8:9], exec, s[8:9]
	s_cbranch_execnz .LBB109_126
.LBB109_118:
	s_or_b64 exec, exec, s[8:9]
	s_and_b64 s[4:5], s[4:5], exec
.LBB109_119:
	s_andn2_saveexec_b64 s[6:7], s[6:7]
	s_cbranch_execnz .LBB109_125
.LBB109_120:
	s_or_b64 exec, exec, s[6:7]
	s_and_b64 s[4:5], s[4:5], exec
.LBB109_121:
	s_andn2_saveexec_b64 s[2:3], s[2:3]
	s_cbranch_execnz .LBB109_124
.LBB109_122:
	s_or_b64 exec, exec, s[2:3]
	s_and_b64 s[2:3], s[4:5], exec
	s_andn2_saveexec_b64 s[0:1], s[0:1]
	s_cbranch_execz .LBB109_112
.LBB109_123:
	s_or_b64 s[2:3], s[2:3], exec
	s_trap 2
	s_or_b64 exec, exec, s[0:1]
	s_and_b64 exec, exec, s[2:3]
	s_cbranch_execnz .LBB109_113
	s_branch .LBB109_114
.LBB109_124:
	s_or_b64 s[4:5], s[4:5], exec
	s_trap 2
	s_branch .LBB109_122
.LBB109_125:
	s_trap 2
	s_or_b64 s[4:5], s[4:5], exec
	s_branch .LBB109_120
.LBB109_126:
	s_mov_b64 s[4:5], exec
	s_trap 2
	s_branch .LBB109_118
	.section	.rodata,"a",@progbits
	.p2align	6, 0x0
	.amdhsa_kernel _ZN2at4cuda12_GLOBAL__N_121kernelPointwiseApply2IZNS_6native9templates4cuda28bernoulli_tensor_cuda_kernelIN3c108BFloat16EfEEvRKNS_10TensorBaseESB_NS_15PhiloxCudaStateEEUliRS8_SD_SD_SD_RKfSF_SF_SF_E_S8_SE_mLin1ELin1ELi4ELi512ELi2EEEvNS0_6detail10TensorInfoIT0_T2_EENSI_IT1_SK_EESK_T_
		.amdhsa_group_segment_fixed_size 0
		.amdhsa_private_segment_fixed_size 0
		.amdhsa_kernarg_size 1128
		.amdhsa_user_sgpr_count 6
		.amdhsa_user_sgpr_private_segment_buffer 1
		.amdhsa_user_sgpr_dispatch_ptr 0
		.amdhsa_user_sgpr_queue_ptr 0
		.amdhsa_user_sgpr_kernarg_segment_ptr 1
		.amdhsa_user_sgpr_dispatch_id 0
		.amdhsa_user_sgpr_flat_scratch_init 0
		.amdhsa_user_sgpr_kernarg_preload_length 0
		.amdhsa_user_sgpr_kernarg_preload_offset 0
		.amdhsa_user_sgpr_private_segment_size 0
		.amdhsa_uses_dynamic_stack 0
		.amdhsa_system_sgpr_private_segment_wavefront_offset 0
		.amdhsa_system_sgpr_workgroup_id_x 1
		.amdhsa_system_sgpr_workgroup_id_y 0
		.amdhsa_system_sgpr_workgroup_id_z 0
		.amdhsa_system_sgpr_workgroup_info 0
		.amdhsa_system_vgpr_workitem_id 0
		.amdhsa_next_free_vgpr 54
		.amdhsa_next_free_sgpr 68
		.amdhsa_accum_offset 56
		.amdhsa_reserve_vcc 1
		.amdhsa_reserve_flat_scratch 0
		.amdhsa_float_round_mode_32 0
		.amdhsa_float_round_mode_16_64 0
		.amdhsa_float_denorm_mode_32 3
		.amdhsa_float_denorm_mode_16_64 3
		.amdhsa_dx10_clamp 1
		.amdhsa_ieee_mode 1
		.amdhsa_fp16_overflow 0
		.amdhsa_tg_split 0
		.amdhsa_exception_fp_ieee_invalid_op 0
		.amdhsa_exception_fp_denorm_src 0
		.amdhsa_exception_fp_ieee_div_zero 0
		.amdhsa_exception_fp_ieee_overflow 0
		.amdhsa_exception_fp_ieee_underflow 0
		.amdhsa_exception_fp_ieee_inexact 0
		.amdhsa_exception_int_div_zero 0
	.end_amdhsa_kernel
	.section	.text._ZN2at4cuda12_GLOBAL__N_121kernelPointwiseApply2IZNS_6native9templates4cuda28bernoulli_tensor_cuda_kernelIN3c108BFloat16EfEEvRKNS_10TensorBaseESB_NS_15PhiloxCudaStateEEUliRS8_SD_SD_SD_RKfSF_SF_SF_E_S8_SE_mLin1ELin1ELi4ELi512ELi2EEEvNS0_6detail10TensorInfoIT0_T2_EENSI_IT1_SK_EESK_T_,"axG",@progbits,_ZN2at4cuda12_GLOBAL__N_121kernelPointwiseApply2IZNS_6native9templates4cuda28bernoulli_tensor_cuda_kernelIN3c108BFloat16EfEEvRKNS_10TensorBaseESB_NS_15PhiloxCudaStateEEUliRS8_SD_SD_SD_RKfSF_SF_SF_E_S8_SE_mLin1ELin1ELi4ELi512ELi2EEEvNS0_6detail10TensorInfoIT0_T2_EENSI_IT1_SK_EESK_T_,comdat
.Lfunc_end109:
	.size	_ZN2at4cuda12_GLOBAL__N_121kernelPointwiseApply2IZNS_6native9templates4cuda28bernoulli_tensor_cuda_kernelIN3c108BFloat16EfEEvRKNS_10TensorBaseESB_NS_15PhiloxCudaStateEEUliRS8_SD_SD_SD_RKfSF_SF_SF_E_S8_SE_mLin1ELin1ELi4ELi512ELi2EEEvNS0_6detail10TensorInfoIT0_T2_EENSI_IT1_SK_EESK_T_, .Lfunc_end109-_ZN2at4cuda12_GLOBAL__N_121kernelPointwiseApply2IZNS_6native9templates4cuda28bernoulli_tensor_cuda_kernelIN3c108BFloat16EfEEvRKNS_10TensorBaseESB_NS_15PhiloxCudaStateEEUliRS8_SD_SD_SD_RKfSF_SF_SF_E_S8_SE_mLin1ELin1ELi4ELi512ELi2EEEvNS0_6detail10TensorInfoIT0_T2_EENSI_IT1_SK_EESK_T_
                                        ; -- End function
	.section	.AMDGPU.csdata,"",@progbits
; Kernel info:
; codeLenInByte = 10288
; NumSgprs: 72
; NumVgprs: 54
; NumAgprs: 0
; TotalNumVgprs: 54
; ScratchSize: 0
; MemoryBound: 0
; FloatMode: 240
; IeeeMode: 1
; LDSByteSize: 0 bytes/workgroup (compile time only)
; SGPRBlocks: 8
; VGPRBlocks: 6
; NumSGPRsForWavesPerEU: 72
; NumVGPRsForWavesPerEU: 54
; AccumOffset: 56
; Occupancy: 8
; WaveLimiterHint : 1
; COMPUTE_PGM_RSRC2:SCRATCH_EN: 0
; COMPUTE_PGM_RSRC2:USER_SGPR: 6
; COMPUTE_PGM_RSRC2:TRAP_HANDLER: 0
; COMPUTE_PGM_RSRC2:TGID_X_EN: 1
; COMPUTE_PGM_RSRC2:TGID_Y_EN: 0
; COMPUTE_PGM_RSRC2:TGID_Z_EN: 0
; COMPUTE_PGM_RSRC2:TIDIG_COMP_CNT: 0
; COMPUTE_PGM_RSRC3_GFX90A:ACCUM_OFFSET: 13
; COMPUTE_PGM_RSRC3_GFX90A:TG_SPLIT: 0
	.section	.text._ZN2at4cuda12_GLOBAL__N_121kernelPointwiseApply2IZNS_6native9templates4cuda28bernoulli_tensor_cuda_kernelIbfEEvRKNS_10TensorBaseES9_NS_15PhiloxCudaStateEEUliRbSB_SB_SB_RKfSD_SD_SD_E_bSC_jLi1ELi1ELi4ELi512ELi2EEEvNS0_6detail10TensorInfoIT0_T2_EENSG_IT1_SI_EESI_T_,"axG",@progbits,_ZN2at4cuda12_GLOBAL__N_121kernelPointwiseApply2IZNS_6native9templates4cuda28bernoulli_tensor_cuda_kernelIbfEEvRKNS_10TensorBaseES9_NS_15PhiloxCudaStateEEUliRbSB_SB_SB_RKfSD_SD_SD_E_bSC_jLi1ELi1ELi4ELi512ELi2EEEvNS0_6detail10TensorInfoIT0_T2_EENSG_IT1_SI_EESI_T_,comdat
	.globl	_ZN2at4cuda12_GLOBAL__N_121kernelPointwiseApply2IZNS_6native9templates4cuda28bernoulli_tensor_cuda_kernelIbfEEvRKNS_10TensorBaseES9_NS_15PhiloxCudaStateEEUliRbSB_SB_SB_RKfSD_SD_SD_E_bSC_jLi1ELi1ELi4ELi512ELi2EEEvNS0_6detail10TensorInfoIT0_T2_EENSG_IT1_SI_EESI_T_ ; -- Begin function _ZN2at4cuda12_GLOBAL__N_121kernelPointwiseApply2IZNS_6native9templates4cuda28bernoulli_tensor_cuda_kernelIbfEEvRKNS_10TensorBaseES9_NS_15PhiloxCudaStateEEUliRbSB_SB_SB_RKfSD_SD_SD_E_bSC_jLi1ELi1ELi4ELi512ELi2EEEvNS0_6detail10TensorInfoIT0_T2_EENSG_IT1_SI_EESI_T_
	.p2align	8
	.type	_ZN2at4cuda12_GLOBAL__N_121kernelPointwiseApply2IZNS_6native9templates4cuda28bernoulli_tensor_cuda_kernelIbfEEvRKNS_10TensorBaseES9_NS_15PhiloxCudaStateEEUliRbSB_SB_SB_RKfSD_SD_SD_E_bSC_jLi1ELi1ELi4ELi512ELi2EEEvNS0_6detail10TensorInfoIT0_T2_EENSG_IT1_SI_EESI_T_,@function
_ZN2at4cuda12_GLOBAL__N_121kernelPointwiseApply2IZNS_6native9templates4cuda28bernoulli_tensor_cuda_kernelIbfEEvRKNS_10TensorBaseES9_NS_15PhiloxCudaStateEEUliRbSB_SB_SB_RKfSD_SD_SD_E_bSC_jLi1ELi1ELi4ELi512ELi2EEEvNS0_6detail10TensorInfoIT0_T2_EENSG_IT1_SI_EESI_T_: ; @_ZN2at4cuda12_GLOBAL__N_121kernelPointwiseApply2IZNS_6native9templates4cuda28bernoulli_tensor_cuda_kernelIbfEEvRKNS_10TensorBaseES9_NS_15PhiloxCudaStateEEUliRbSB_SB_SB_RKfSD_SD_SD_E_bSC_jLi1ELi1ELi4ELi512ELi2EEEvNS0_6detail10TensorInfoIT0_T2_EENSG_IT1_SI_EESI_T_
; %bb.0:
	s_load_dword s2, s[4:5], 0x1e4
	s_load_dword s33, s[4:5], 0x1b0
	s_add_u32 s0, s4, 0x1d8
	s_addc_u32 s1, s5, 0
	s_waitcnt lgkmcnt(0)
	s_and_b32 s2, s2, 0xffff
	s_mul_i32 s6, s6, s2
	v_add_u32_e32 v5, s6, v0
	v_lshlrev_b32_e32 v22, 2, v5
	v_cmp_gt_u32_e32 vcc, s33, v22
	s_and_saveexec_b64 s[6:7], vcc
	s_cbranch_execz .LBB110_43
; %bb.1:
	s_load_dword s3, s[0:1], 0x0
	s_load_dword s6, s[4:5], 0x1d0
	s_load_dwordx2 s[16:17], s[4:5], 0x0
	s_load_dword s7, s[4:5], 0x6c
	s_load_dwordx2 s[18:19], s[4:5], 0xd8
	;; [unrolled: 2-line block ×3, first 2 shown]
	s_load_dwordx4 s[12:15], s[4:5], 0x1b8
	s_mov_b32 s54, 0xcd9e8d57
	s_waitcnt lgkmcnt(0)
	v_mul_lo_u32 v2, s7, v22
	s_bitcmp1_b32 s6, 0
	v_mad_u64_u32 v[0:1], s[0:1], v5, s54, 0
	v_add_u32_e32 v23, s7, v2
	v_add_u32_e32 v2, 2, v22
	s_mul_i32 s2, s3, s2
	s_cselect_b64 s[0:1], -1, 0
	v_mul_lo_u32 v24, s7, v2
	v_mul_lo_u32 v7, s7, v5
	;; [unrolled: 1-line block ×4, first 2 shown]
	s_lshl_b32 s56, s2, 2
	s_mul_i32 s3, s2, s7
	v_add_u32_e32 v6, 3, v22
	v_lshlrev_b32_e32 v26, 2, v7
	v_mul_lo_u32 v7, s8, v22
	s_mul_i32 s2, s2, s8
	v_lshlrev_b32_e32 v30, 2, v2
	v_cndmask_b32_e64 v2, 0, 1, s[0:1]
	s_mov_b32 s55, 0
	v_mov_b32_e32 v3, 0
	v_mov_b32_e32 v4, v1
	v_sub_u32_e32 v1, s33, v22
	s_lshl_b32 s57, s3, 2
	v_mul_lo_u32 v25, s7, v6
	v_add_u32_e32 v27, s8, v7
	s_lshl_b32 s58, s2, 2
	v_mul_lo_u32 v29, s8, v6
	s_mov_b64 s[24:25], 0
	v_mov_b32_e32 v31, s19
	v_cmp_ne_u32_e64 s[0:1], 1, v2
	s_mov_b32 s19, 0xd2511f53
	s_mov_b32 s59, 0xf1bbcdc8
	;; [unrolled: 1-line block ×3, first 2 shown]
                                        ; implicit-def: $sgpr26_sgpr27
                                        ; implicit-def: $sgpr28_sgpr29
                                        ; implicit-def: $sgpr30_sgpr31
                                        ; implicit-def: $sgpr22_sgpr23
                                        ; implicit-def: $sgpr34_sgpr35
                                        ; implicit-def: $sgpr36_sgpr37
                                        ; implicit-def: $sgpr38_sgpr39
                                        ; implicit-def: $sgpr40_sgpr41
	s_branch .LBB110_3
.LBB110_2:                              ;   in Loop: Header=BB110_3 Depth=1
	s_or_b64 exec, exec, s[4:5]
	s_and_b64 s[2:3], exec, s[2:3]
	s_or_b64 s[24:25], s[2:3], s[24:25]
	s_andn2_b64 s[2:3], s[22:23], exec
	s_and_b64 s[4:5], s[40:41], exec
	s_or_b64 s[22:23], s[2:3], s[4:5]
	s_andn2_b64 s[2:3], s[30:31], exec
	s_and_b64 s[4:5], s[38:39], exec
	;; [unrolled: 3-line block ×4, first 2 shown]
	s_or_b64 s[26:27], s[2:3], s[4:5]
	s_andn2_b64 exec, exec, s[24:25]
	s_cbranch_execz .LBB110_39
.LBB110_3:                              ; =>This Inner Loop Header: Depth=1
	s_waitcnt vmcnt(3)
	v_add_u32_e32 v2, s55, v30
	v_cmp_lt_i32_e64 s[2:3], 0, v1
	v_cndmask_b32_e64 v2, 0, v2, s[2:3]
	v_add_u32_e32 v8, s55, v27
	v_lshlrev_b64 v[6:7], 2, v[2:3]
	v_cmp_lt_i32_e64 s[4:5], 1, v1
	v_add_co_u32_e32 v6, vcc, s18, v6
	v_cndmask_b32_e64 v2, 0, v8, s[4:5]
	v_add_u32_e32 v10, s55, v28
	v_addc_co_u32_e32 v7, vcc, v31, v7, vcc
	v_lshlrev_b64 v[8:9], 2, v[2:3]
	v_cmp_lt_i32_e64 s[6:7], 2, v1
	v_add_co_u32_e32 v8, vcc, s18, v8
	v_cndmask_b32_e64 v2, 0, v10, s[6:7]
	v_add_u32_e32 v12, s55, v29
	v_addc_co_u32_e32 v9, vcc, v31, v9, vcc
	v_lshlrev_b64 v[10:11], 2, v[2:3]
	v_cmp_lt_i32_e64 s[8:9], 3, v1
	v_add_co_u32_e32 v10, vcc, s18, v10
	v_cndmask_b32_e64 v2, 0, v12, s[8:9]
	v_addc_co_u32_e32 v11, vcc, v31, v11, vcc
	v_lshlrev_b64 v[12:13], 2, v[2:3]
	v_add_co_u32_e32 v12, vcc, s18, v12
	v_addc_co_u32_e32 v13, vcc, v31, v13, vcc
	global_load_dword v2, v[6:7], off
	global_load_dword v32, v[8:9], off
	;; [unrolled: 1-line block ×4, first 2 shown]
	s_and_b64 vcc, exec, s[0:1]
	v_pk_mov_b32 v[6:7], s[14:15], s[14:15] op_sel:[0,1]
	v_pk_mov_b32 v[8:9], s[12:13], s[12:13] op_sel:[0,1]
	s_cbranch_vccnz .LBB110_5
; %bb.4:                                ;   in Loop: Header=BB110_3 Depth=1
	v_pk_mov_b32 v[6:7], s[14:15], s[14:15] op_sel:[0,1]
	flat_load_dwordx2 v[6:7], v[6:7]
	v_pk_mov_b32 v[8:9], s[12:13], s[12:13] op_sel:[0,1]
	flat_load_dwordx2 v[8:9], v[8:9]
	v_mov_b32_e32 v10, s21
	s_waitcnt vmcnt(0) lgkmcnt(0)
	v_add_co_u32_e32 v6, vcc, s20, v6
	v_addc_co_u32_e32 v7, vcc, v7, v10, vcc
.LBB110_5:                              ;   in Loop: Header=BB110_3 Depth=1
	v_alignbit_b32 v18, v7, v6, 2
	v_lshrrev_b32_e32 v19, 2, v7
	v_xor_b32_e32 v10, v4, v8
	v_and_b32_e32 v35, 3, v6
	v_mad_u64_u32 v[6:7], s[10:11], v18, s19, 0
	v_xor_b32_e32 v10, v10, v19
	v_xor_b32_e32 v7, v7, v9
	v_add_u32_e32 v40, 0xbb67ae85, v9
	v_mad_u64_u32 v[10:11], s[10:11], v10, s19, 0
	v_mad_u64_u32 v[12:13], s[10:11], v7, s54, 0
	v_xor_b32_e32 v11, v40, v11
	v_add_u32_e32 v39, 0x9e3779b9, v8
	v_xor_b32_e32 v7, v0, v13
	v_xor_b32_e32 v11, v11, v6
	v_xor_b32_e32 v7, v7, v39
	v_add_u32_e32 v41, 0x3c6ef372, v8
	v_mad_u64_u32 v[14:15], s[10:11], v11, s54, 0
	v_add_u32_e32 v42, 0x76cf5d0a, v9
	v_mad_u64_u32 v[6:7], s[10:11], v7, s19, 0
	v_xor_b32_e32 v11, v41, v15
	v_xor_b32_e32 v11, v11, v12
	v_xor_b32_e32 v7, v42, v7
	v_xor_b32_e32 v7, v7, v10
	v_add_u32_e32 v44, 0x32370b8f, v9
	v_mad_u64_u32 v[10:11], s[10:11], v11, s19, 0
	v_add_u32_e32 v43, 0xdaa66d2b, v8
	v_mad_u64_u32 v[12:13], s[10:11], v7, s54, 0
	v_xor_b32_e32 v11, v44, v11
	;; [unrolled: 8-line block ×5, first 2 shown]
	v_xor_b32_e32 v11, v11, v12
	v_xor_b32_e32 v7, v50, v7
	;; [unrolled: 1-line block ×3, first 2 shown]
	v_add_u32_e32 v52, 0x1fd5c5a3, v9
	v_mad_u64_u32 v[10:11], s[10:11], v11, s19, 0
	v_xor_b32_e32 v11, v52, v11
	v_xor_b32_e32 v6, v11, v6
	v_add_u32_e32 v51, 0x5384540f, v8
	v_mad_u64_u32 v[16:17], s[10:11], v7, s54, 0
	v_add_co_u32_e32 v37, vcc, s59, v8
	v_mad_u64_u32 v[12:13], s[10:11], v6, s54, 0
	v_xor_b32_e32 v7, v51, v17
	v_xor_b32_e32 v6, v37, v13
	;; [unrolled: 1-line block ×4, first 2 shown]
	v_mad_u64_u32 v[14:15], s[10:11], v7, s19, 0
	v_mad_u64_u32 v[6:7], s[10:11], v6, s19, 0
	v_add_u32_e32 v38, 0x96a522ad, v9
	v_xor_b32_e32 v7, v7, v14
	v_xor_b32_e32 v36, v38, v7
	v_add_co_u32_e32 v7, vcc, 1, v18
	v_cndmask_b32_e64 v14, 0, 1, vcc
	v_addc_co_u32_e32 v20, vcc, 0, v19, vcc
	v_cmp_eq_u32_e32 vcc, 0, v20
	v_cndmask_b32_e32 v14, 0, v14, vcc
	v_add_u32_e32 v18, v14, v5
	v_cmp_eq_u32_e32 vcc, 0, v18
	v_mad_u64_u32 v[16:17], s[10:11], v7, s19, 0
	v_mad_u64_u32 v[18:19], s[10:11], v18, s54, 0
	v_add_u32_e32 v13, 0x8ff34781, v8
	v_cndmask_b32_e32 v14, 0, v14, vcc
	v_xor_b32_e32 v7, v19, v8
	v_xor_b32_e32 v8, v17, v9
	;; [unrolled: 1-line block ×4, first 2 shown]
	v_mad_u64_u32 v[20:21], s[10:11], v14, s54, 0
	v_add_u32_e32 v11, 0xdb3d7428, v9
	v_mad_u64_u32 v[8:9], s[10:11], v7, s19, 0
	v_xor_b32_e32 v7, v39, v21
	v_xor_b32_e32 v7, v7, v18
	v_xor_b32_e32 v9, v40, v9
	v_xor_b32_e32 v9, v9, v16
	v_mad_u64_u32 v[16:17], s[10:11], v7, s19, 0
	v_mad_u64_u32 v[18:19], s[10:11], v9, s54, 0
	v_xor_b32_e32 v9, v42, v17
	v_xor_b32_e32 v7, v41, v19
	v_xor_b32_e32 v14, v9, v8
	v_xor_b32_e32 v7, v7, v20
	v_mad_u64_u32 v[20:21], s[10:11], v14, s54, 0
	v_mad_u64_u32 v[8:9], s[10:11], v7, s19, 0
	v_xor_b32_e32 v7, v43, v21
	v_xor_b32_e32 v7, v7, v18
	v_xor_b32_e32 v9, v44, v9
	v_xor_b32_e32 v9, v9, v16
	v_mad_u64_u32 v[16:17], s[10:11], v7, s19, 0
	v_mad_u64_u32 v[18:19], s[10:11], v9, s54, 0
	v_xor_b32_e32 v9, v46, v17
	v_xor_b32_e32 v7, v45, v19
	v_xor_b32_e32 v14, v9, v8
	v_xor_b32_e32 v7, v7, v20
	v_mad_u64_u32 v[20:21], s[10:11], v14, s54, 0
	v_mad_u64_u32 v[8:9], s[10:11], v7, s19, 0
	v_xor_b32_e32 v7, v47, v21
	v_xor_b32_e32 v7, v7, v18
	v_xor_b32_e32 v9, v48, v9
	v_xor_b32_e32 v9, v9, v16
	v_mad_u64_u32 v[18:19], s[10:11], v7, s19, 0
	v_mad_u64_u32 v[40:41], s[10:11], v9, s54, 0
	v_xor_b32_e32 v9, v50, v19
	v_xor_b32_e32 v7, v49, v41
	v_xor_b32_e32 v14, v9, v8
	v_xor_b32_e32 v7, v7, v20
	v_mad_u64_u32 v[16:17], s[10:11], v14, s54, 0
	v_mad_u64_u32 v[8:9], s[10:11], v7, s19, 0
	v_xor_b32_e32 v7, v51, v17
	v_xor_b32_e32 v7, v7, v40
	v_xor_b32_e32 v9, v52, v9
	v_xor_b32_e32 v9, v9, v18
	v_mad_u64_u32 v[18:19], s[10:11], v7, s19, 0
	v_xor_b32_e32 v7, v11, v19
	v_xor_b32_e32 v7, v7, v8
	v_mad_u64_u32 v[20:21], s[10:11], v9, s54, 0
	v_mad_u64_u32 v[8:9], s[10:11], v7, s54, 0
	v_xor_b32_e32 v7, v9, v20
	v_xor_b32_e32 v7, v13, v7
	v_cmp_lt_i32_e32 vcc, 1, v35
                                        ; implicit-def: $vgpr17
	s_and_saveexec_b64 s[10:11], vcc
	s_xor_b64 s[10:11], exec, s[10:11]
	s_cbranch_execz .LBB110_11
; %bb.6:                                ;   in Loop: Header=BB110_3 Depth=1
	v_cmp_lt_i32_e32 vcc, 2, v35
                                        ; implicit-def: $vgpr17
	s_and_saveexec_b64 s[42:43], vcc
	s_xor_b64 s[42:43], exec, s[42:43]
; %bb.7:                                ;   in Loop: Header=BB110_3 Depth=1
	v_xor_b32_e32 v9, v37, v21
	v_xor_b32_e32 v9, v9, v16
	v_mul_hi_u32 v9, v9, s19
	v_xor_b32_e32 v9, v9, v18
	v_xor_b32_e32 v17, v38, v9
                                        ; implicit-def: $vgpr36
; %bb.8:                                ;   in Loop: Header=BB110_3 Depth=1
	s_andn2_saveexec_b64 s[42:43], s[42:43]
; %bb.9:                                ;   in Loop: Header=BB110_3 Depth=1
	v_mov_b32_e32 v17, v8
	v_mov_b32_e32 v8, v7
	v_mov_b32_e32 v7, v6
	v_mov_b32_e32 v6, v36
; %bb.10:                               ;   in Loop: Header=BB110_3 Depth=1
	s_or_b64 exec, exec, s[42:43]
                                        ; implicit-def: $vgpr10_vgpr11
                                        ; implicit-def: $vgpr12_vgpr13
                                        ; implicit-def: $vgpr35
                                        ; implicit-def: $vgpr36
                                        ; implicit-def: $vgpr14_vgpr15
                                        ; implicit-def: $vgpr11
                                        ; implicit-def: $vgpr13
.LBB110_11:                             ;   in Loop: Header=BB110_3 Depth=1
	s_andn2_saveexec_b64 s[10:11], s[10:11]
	s_cbranch_execz .LBB110_15
; %bb.12:                               ;   in Loop: Header=BB110_3 Depth=1
	v_xor_b32_e32 v8, v11, v15
	v_xor_b32_e32 v8, v8, v10
	v_mad_u64_u32 v[10:11], s[42:43], v8, s54, 0
	v_xor_b32_e32 v8, v11, v12
	v_xor_b32_e32 v9, v13, v8
	v_cmp_eq_u32_e32 vcc, 1, v35
	v_mov_b32_e32 v17, v6
	v_mov_b32_e32 v8, v36
	;; [unrolled: 1-line block ×3, first 2 shown]
	s_and_saveexec_b64 s[42:43], vcc
; %bb.13:                               ;   in Loop: Header=BB110_3 Depth=1
	v_mov_b32_e32 v17, v7
	v_mov_b32_e32 v8, v6
	;; [unrolled: 1-line block ×4, first 2 shown]
; %bb.14:                               ;   in Loop: Header=BB110_3 Depth=1
	s_or_b64 exec, exec, s[42:43]
	v_mov_b32_e32 v6, v9
	v_mov_b32_e32 v7, v11
.LBB110_15:                             ;   in Loop: Header=BB110_3 Depth=1
	s_or_b64 exec, exec, s[10:11]
	v_min_i32_e32 v9, 4, v1
	v_cmp_lt_i32_e32 vcc, 2, v9
	s_mov_b64 s[42:43], 0
	s_mov_b64 s[50:51], 0
                                        ; implicit-def: $sgpr10_sgpr11
                                        ; implicit-def: $sgpr44_sgpr45
                                        ; implicit-def: $sgpr46_sgpr47
	s_and_saveexec_b64 s[48:49], vcc
	s_xor_b64 s[48:49], exec, s[48:49]
	s_cbranch_execz .LBB110_25
; %bb.16:                               ;   in Loop: Header=BB110_3 Depth=1
	v_cmp_lt_i32_e32 vcc, 3, v9
	s_mov_b64 s[46:47], -1
                                        ; implicit-def: $sgpr10_sgpr11
                                        ; implicit-def: $sgpr50_sgpr51
	s_and_saveexec_b64 s[44:45], vcc
	s_cbranch_execz .LBB110_20
; %bb.17:                               ;   in Loop: Header=BB110_3 Depth=1
	s_waitcnt vmcnt(0)
	v_cmp_le_f32_e32 vcc, 0, v34
	v_cmp_ge_f32_e64 s[10:11], 1.0, v34
	s_and_b64 s[52:53], vcc, s[10:11]
	s_mov_b64 s[10:11], 0
	s_mov_b64 s[46:47], 0
	s_and_saveexec_b64 s[50:51], s[52:53]
	s_cbranch_execz .LBB110_19
; %bb.18:                               ;   in Loop: Header=BB110_3 Depth=1
	v_cvt_f32_u32_e32 v10, v17
	v_mov_b32_e32 v11, 0x2f800000
	v_add_u32_e32 v12, s60, v25
	s_mov_b64 s[46:47], exec
	v_fmac_f32_e32 v11, 0x2f800000, v10
	v_cmp_le_f32_e32 vcc, v11, v34
	v_cndmask_b32_e64 v10, 0, v12, s[8:9]
	v_cndmask_b32_e64 v11, 0, 1, vcc
	global_store_byte v10, v11, s[16:17]
.LBB110_19:                             ;   in Loop: Header=BB110_3 Depth=1
	s_or_b64 exec, exec, s[50:51]
	s_mov_b64 s[50:51], -1
	s_orn2_b64 s[46:47], s[46:47], exec
.LBB110_20:                             ;   in Loop: Header=BB110_3 Depth=1
	s_or_b64 exec, exec, s[44:45]
	s_mov_b64 s[8:9], 0
	s_mov_b64 s[52:53], s[10:11]
	s_and_saveexec_b64 s[44:45], s[46:47]
	s_cbranch_execz .LBB110_24
; %bb.21:                               ;   in Loop: Header=BB110_3 Depth=1
	s_waitcnt vmcnt(1)
	v_cmp_le_f32_e32 vcc, 0, v33
	v_cmp_ge_f32_e64 s[8:9], 1.0, v33
	s_and_b64 s[46:47], vcc, s[8:9]
	s_mov_b64 s[8:9], 0
	s_and_saveexec_b64 s[52:53], s[46:47]
	s_xor_b64 s[46:47], exec, s[52:53]
	s_cbranch_execz .LBB110_23
; %bb.22:                               ;   in Loop: Header=BB110_3 Depth=1
	v_cvt_f32_u32_e32 v8, v8
	v_mov_b32_e32 v10, 0x2f800000
	v_add_u32_e32 v11, s60, v24
	s_mov_b64 s[8:9], exec
	v_fmac_f32_e32 v10, 0x2f800000, v8
	v_cmp_le_f32_e32 vcc, v10, v33
	v_cndmask_b32_e64 v8, 0, v11, s[6:7]
	v_cndmask_b32_e64 v10, 0, 1, vcc
	global_store_byte v8, v10, s[16:17]
.LBB110_23:                             ;   in Loop: Header=BB110_3 Depth=1
	s_or_b64 exec, exec, s[46:47]
	s_andn2_b64 s[52:53], s[10:11], exec
	s_or_b64 s[10:11], s[10:11], exec
	s_andn2_b64 s[50:51], s[50:51], exec
	s_and_b64 s[8:9], s[8:9], exec
.LBB110_24:                             ;   in Loop: Header=BB110_3 Depth=1
	s_or_b64 exec, exec, s[44:45]
	s_and_b64 s[46:47], s[52:53], exec
	s_and_b64 s[44:45], s[10:11], exec
	;; [unrolled: 1-line block ×4, first 2 shown]
.LBB110_25:                             ;   in Loop: Header=BB110_3 Depth=1
	s_andn2_saveexec_b64 s[6:7], s[48:49]
; %bb.26:                               ;   in Loop: Header=BB110_3 Depth=1
	v_cmp_lt_i32_e32 vcc, 1, v9
	s_andn2_b64 s[8:9], s[50:51], exec
	s_and_b64 s[48:49], vcc, exec
	s_mov_b64 s[42:43], exec
	s_andn2_b64 s[46:47], s[46:47], exec
	s_andn2_b64 s[44:45], s[44:45], exec
	;; [unrolled: 1-line block ×3, first 2 shown]
	s_or_b64 s[50:51], s[8:9], s[48:49]
; %bb.27:                               ;   in Loop: Header=BB110_3 Depth=1
	s_or_b64 exec, exec, s[6:7]
	s_mov_b64 s[8:9], 0
	s_mov_b64 s[48:49], 0
	s_mov_b64 s[6:7], s[46:47]
	s_and_saveexec_b64 s[52:53], s[50:51]
	s_cbranch_execnz .LBB110_30
; %bb.28:                               ;   in Loop: Header=BB110_3 Depth=1
	s_or_b64 exec, exec, s[52:53]
	s_and_saveexec_b64 s[4:5], s[42:43]
	s_cbranch_execnz .LBB110_33
.LBB110_29:                             ;   in Loop: Header=BB110_3 Depth=1
	s_or_b64 exec, exec, s[4:5]
	s_and_saveexec_b64 s[42:43], s[48:49]
	s_cbranch_execnz .LBB110_34
	s_branch .LBB110_37
.LBB110_30:                             ;   in Loop: Header=BB110_3 Depth=1
	s_waitcnt vmcnt(2)
	v_cmp_le_f32_e32 vcc, 0, v32
	v_cmp_ge_f32_e64 s[6:7], 1.0, v32
	s_and_b64 s[6:7], vcc, s[6:7]
	s_and_saveexec_b64 s[50:51], s[6:7]
	s_xor_b64 s[6:7], exec, s[50:51]
	s_cbranch_execz .LBB110_32
; %bb.31:                               ;   in Loop: Header=BB110_3 Depth=1
	v_cvt_f32_u32_e32 v7, v7
	v_mov_b32_e32 v8, 0x2f800000
	v_add_u32_e32 v10, s60, v23
	s_mov_b64 s[48:49], exec
	v_fmac_f32_e32 v8, 0x2f800000, v7
	v_cmp_le_f32_e32 vcc, v8, v32
	v_cndmask_b32_e64 v7, 0, v10, s[4:5]
	v_cndmask_b32_e64 v8, 0, 1, vcc
	global_store_byte v7, v8, s[16:17]
.LBB110_32:                             ;   in Loop: Header=BB110_3 Depth=1
	s_or_b64 exec, exec, s[6:7]
	s_andn2_b64 s[6:7], s[46:47], exec
	s_or_b64 s[46:47], s[46:47], exec
	s_andn2_b64 s[44:45], s[44:45], exec
	s_andn2_b64 s[10:11], s[10:11], exec
	s_and_b64 s[48:49], s[48:49], exec
	s_andn2_b64 s[42:43], s[42:43], exec
	s_or_b64 exec, exec, s[52:53]
	s_and_saveexec_b64 s[4:5], s[42:43]
	s_cbranch_execz .LBB110_29
.LBB110_33:                             ;   in Loop: Header=BB110_3 Depth=1
	v_cmp_eq_u32_e32 vcc, 1, v9
	s_andn2_b64 s[42:43], s[48:49], exec
	s_and_b64 s[48:49], vcc, exec
	s_mov_b64 s[8:9], exec
	s_andn2_b64 s[6:7], s[6:7], exec
	s_andn2_b64 s[46:47], s[46:47], exec
	;; [unrolled: 1-line block ×4, first 2 shown]
	s_or_b64 s[48:49], s[42:43], s[48:49]
	s_or_b64 exec, exec, s[4:5]
	s_and_saveexec_b64 s[42:43], s[48:49]
	s_cbranch_execz .LBB110_37
.LBB110_34:                             ;   in Loop: Header=BB110_3 Depth=1
	s_waitcnt vmcnt(3)
	v_cmp_le_f32_e32 vcc, 0, v2
	v_cmp_ge_f32_e64 s[4:5], 1.0, v2
	s_and_b64 s[50:51], vcc, s[4:5]
	s_mov_b64 s[4:5], 0
	s_and_saveexec_b64 s[48:49], s[50:51]
	s_cbranch_execz .LBB110_36
; %bb.35:                               ;   in Loop: Header=BB110_3 Depth=1
	v_cvt_f32_u32_e32 v6, v6
	v_mov_b32_e32 v7, 0x2f800000
	v_add_u32_e32 v8, s60, v26
	s_mov_b64 s[4:5], exec
	v_fmac_f32_e32 v7, 0x2f800000, v6
	v_cmp_le_f32_e32 vcc, v7, v2
	v_cndmask_b32_e64 v6, 0, v8, s[2:3]
	v_cndmask_b32_e64 v2, 0, 1, vcc
	global_store_byte v6, v2, s[16:17]
.LBB110_36:                             ;   in Loop: Header=BB110_3 Depth=1
	s_or_b64 exec, exec, s[48:49]
	s_andn2_b64 s[2:3], s[8:9], exec
	s_and_b64 s[4:5], s[4:5], exec
	s_or_b64 s[6:7], s[6:7], exec
	s_andn2_b64 s[46:47], s[46:47], exec
	s_andn2_b64 s[44:45], s[44:45], exec
	;; [unrolled: 1-line block ×3, first 2 shown]
	s_or_b64 s[8:9], s[2:3], s[4:5]
.LBB110_37:                             ;   in Loop: Header=BB110_3 Depth=1
	s_or_b64 exec, exec, s[42:43]
	s_andn2_b64 s[4:5], s[40:41], exec
	s_and_b64 s[6:7], s[6:7], exec
	s_or_b64 s[40:41], s[4:5], s[6:7]
	s_andn2_b64 s[4:5], s[38:39], exec
	s_and_b64 s[6:7], s[46:47], exec
	s_or_b64 s[38:39], s[4:5], s[6:7]
	s_andn2_b64 s[4:5], s[36:37], exec
	s_and_b64 s[6:7], s[44:45], exec
	s_or_b64 s[36:37], s[4:5], s[6:7]
	s_andn2_b64 s[4:5], s[34:35], exec
	s_and_b64 s[6:7], s[10:11], exec
	s_mov_b64 s[2:3], -1
	s_or_b64 s[34:35], s[4:5], s[6:7]
	s_and_saveexec_b64 s[4:5], s[8:9]
	s_cbranch_execz .LBB110_2
; %bb.38:                               ;   in Loop: Header=BB110_3 Depth=1
	v_add_u32_e32 v22, s56, v22
	v_cmp_le_u32_e32 vcc, s33, v22
	v_subrev_u32_e32 v1, s56, v1
	s_add_i32 s60, s60, s57
	s_add_i32 s55, s55, s58
	s_andn2_b64 s[40:41], s[40:41], exec
	s_andn2_b64 s[38:39], s[38:39], exec
	;; [unrolled: 1-line block ×4, first 2 shown]
	s_orn2_b64 s[2:3], vcc, exec
	s_branch .LBB110_2
.LBB110_39:
	s_or_b64 exec, exec, s[24:25]
	s_xor_b64 s[6:7], s[30:31], -1
	s_xor_b64 s[8:9], s[28:29], -1
	;; [unrolled: 1-line block ×3, first 2 shown]
	s_mov_b64 s[2:3], 0
	s_and_saveexec_b64 s[4:5], s[0:1]
	s_xor_b64 s[0:1], exec, s[4:5]
	s_cbranch_execnz .LBB110_44
; %bb.40:
	s_andn2_saveexec_b64 s[0:1], s[0:1]
	s_cbranch_execnz .LBB110_52
.LBB110_41:
	s_or_b64 exec, exec, s[0:1]
	s_and_b64 exec, exec, s[2:3]
.LBB110_42:
	; divergent unreachable
.LBB110_43:
	s_endpgm
.LBB110_44:
	s_mov_b64 s[4:5], 0
	s_and_saveexec_b64 s[2:3], s[8:9]
	s_xor_b64 s[2:3], exec, s[2:3]
	s_cbranch_execz .LBB110_50
; %bb.45:
	s_and_saveexec_b64 s[8:9], s[6:7]
	s_xor_b64 s[6:7], exec, s[8:9]
	s_cbranch_execz .LBB110_48
; %bb.46:
	s_and_saveexec_b64 s[8:9], s[22:23]
	s_xor_b64 s[8:9], exec, s[8:9]
	s_cbranch_execnz .LBB110_55
.LBB110_47:
	s_or_b64 exec, exec, s[8:9]
	s_and_b64 s[4:5], s[4:5], exec
.LBB110_48:
	s_andn2_saveexec_b64 s[6:7], s[6:7]
	s_cbranch_execnz .LBB110_54
.LBB110_49:
	s_or_b64 exec, exec, s[6:7]
	s_and_b64 s[4:5], s[4:5], exec
.LBB110_50:
	s_andn2_saveexec_b64 s[2:3], s[2:3]
	s_cbranch_execnz .LBB110_53
.LBB110_51:
	s_or_b64 exec, exec, s[2:3]
	s_and_b64 s[2:3], s[4:5], exec
	s_andn2_saveexec_b64 s[0:1], s[0:1]
	s_cbranch_execz .LBB110_41
.LBB110_52:
	s_or_b64 s[2:3], s[2:3], exec
	s_trap 2
	s_or_b64 exec, exec, s[0:1]
	s_and_b64 exec, exec, s[2:3]
	s_cbranch_execnz .LBB110_42
	s_branch .LBB110_43
.LBB110_53:
	s_or_b64 s[4:5], s[4:5], exec
	s_trap 2
	s_branch .LBB110_51
.LBB110_54:
	s_trap 2
	s_or_b64 s[4:5], s[4:5], exec
	s_branch .LBB110_49
.LBB110_55:
	s_mov_b64 s[4:5], exec
	s_trap 2
	s_branch .LBB110_47
	.section	.rodata,"a",@progbits
	.p2align	6, 0x0
	.amdhsa_kernel _ZN2at4cuda12_GLOBAL__N_121kernelPointwiseApply2IZNS_6native9templates4cuda28bernoulli_tensor_cuda_kernelIbfEEvRKNS_10TensorBaseES9_NS_15PhiloxCudaStateEEUliRbSB_SB_SB_RKfSD_SD_SD_E_bSC_jLi1ELi1ELi4ELi512ELi2EEEvNS0_6detail10TensorInfoIT0_T2_EENSG_IT1_SI_EESI_T_
		.amdhsa_group_segment_fixed_size 0
		.amdhsa_private_segment_fixed_size 0
		.amdhsa_kernarg_size 728
		.amdhsa_user_sgpr_count 6
		.amdhsa_user_sgpr_private_segment_buffer 1
		.amdhsa_user_sgpr_dispatch_ptr 0
		.amdhsa_user_sgpr_queue_ptr 0
		.amdhsa_user_sgpr_kernarg_segment_ptr 1
		.amdhsa_user_sgpr_dispatch_id 0
		.amdhsa_user_sgpr_flat_scratch_init 0
		.amdhsa_user_sgpr_kernarg_preload_length 0
		.amdhsa_user_sgpr_kernarg_preload_offset 0
		.amdhsa_user_sgpr_private_segment_size 0
		.amdhsa_uses_dynamic_stack 0
		.amdhsa_system_sgpr_private_segment_wavefront_offset 0
		.amdhsa_system_sgpr_workgroup_id_x 1
		.amdhsa_system_sgpr_workgroup_id_y 0
		.amdhsa_system_sgpr_workgroup_id_z 0
		.amdhsa_system_sgpr_workgroup_info 0
		.amdhsa_system_vgpr_workitem_id 0
		.amdhsa_next_free_vgpr 53
		.amdhsa_next_free_sgpr 61
		.amdhsa_accum_offset 56
		.amdhsa_reserve_vcc 1
		.amdhsa_reserve_flat_scratch 0
		.amdhsa_float_round_mode_32 0
		.amdhsa_float_round_mode_16_64 0
		.amdhsa_float_denorm_mode_32 3
		.amdhsa_float_denorm_mode_16_64 3
		.amdhsa_dx10_clamp 1
		.amdhsa_ieee_mode 1
		.amdhsa_fp16_overflow 0
		.amdhsa_tg_split 0
		.amdhsa_exception_fp_ieee_invalid_op 0
		.amdhsa_exception_fp_denorm_src 0
		.amdhsa_exception_fp_ieee_div_zero 0
		.amdhsa_exception_fp_ieee_overflow 0
		.amdhsa_exception_fp_ieee_underflow 0
		.amdhsa_exception_fp_ieee_inexact 0
		.amdhsa_exception_int_div_zero 0
	.end_amdhsa_kernel
	.section	.text._ZN2at4cuda12_GLOBAL__N_121kernelPointwiseApply2IZNS_6native9templates4cuda28bernoulli_tensor_cuda_kernelIbfEEvRKNS_10TensorBaseES9_NS_15PhiloxCudaStateEEUliRbSB_SB_SB_RKfSD_SD_SD_E_bSC_jLi1ELi1ELi4ELi512ELi2EEEvNS0_6detail10TensorInfoIT0_T2_EENSG_IT1_SI_EESI_T_,"axG",@progbits,_ZN2at4cuda12_GLOBAL__N_121kernelPointwiseApply2IZNS_6native9templates4cuda28bernoulli_tensor_cuda_kernelIbfEEvRKNS_10TensorBaseES9_NS_15PhiloxCudaStateEEUliRbSB_SB_SB_RKfSD_SD_SD_E_bSC_jLi1ELi1ELi4ELi512ELi2EEEvNS0_6detail10TensorInfoIT0_T2_EENSG_IT1_SI_EESI_T_,comdat
.Lfunc_end110:
	.size	_ZN2at4cuda12_GLOBAL__N_121kernelPointwiseApply2IZNS_6native9templates4cuda28bernoulli_tensor_cuda_kernelIbfEEvRKNS_10TensorBaseES9_NS_15PhiloxCudaStateEEUliRbSB_SB_SB_RKfSD_SD_SD_E_bSC_jLi1ELi1ELi4ELi512ELi2EEEvNS0_6detail10TensorInfoIT0_T2_EENSG_IT1_SI_EESI_T_, .Lfunc_end110-_ZN2at4cuda12_GLOBAL__N_121kernelPointwiseApply2IZNS_6native9templates4cuda28bernoulli_tensor_cuda_kernelIbfEEvRKNS_10TensorBaseES9_NS_15PhiloxCudaStateEEUliRbSB_SB_SB_RKfSD_SD_SD_E_bSC_jLi1ELi1ELi4ELi512ELi2EEEvNS0_6detail10TensorInfoIT0_T2_EENSG_IT1_SI_EESI_T_
                                        ; -- End function
	.section	.AMDGPU.csdata,"",@progbits
; Kernel info:
; codeLenInByte = 2576
; NumSgprs: 65
; NumVgprs: 53
; NumAgprs: 0
; TotalNumVgprs: 53
; ScratchSize: 0
; MemoryBound: 0
; FloatMode: 240
; IeeeMode: 1
; LDSByteSize: 0 bytes/workgroup (compile time only)
; SGPRBlocks: 8
; VGPRBlocks: 6
; NumSGPRsForWavesPerEU: 65
; NumVGPRsForWavesPerEU: 53
; AccumOffset: 56
; Occupancy: 8
; WaveLimiterHint : 1
; COMPUTE_PGM_RSRC2:SCRATCH_EN: 0
; COMPUTE_PGM_RSRC2:USER_SGPR: 6
; COMPUTE_PGM_RSRC2:TRAP_HANDLER: 0
; COMPUTE_PGM_RSRC2:TGID_X_EN: 1
; COMPUTE_PGM_RSRC2:TGID_Y_EN: 0
; COMPUTE_PGM_RSRC2:TGID_Z_EN: 0
; COMPUTE_PGM_RSRC2:TIDIG_COMP_CNT: 0
; COMPUTE_PGM_RSRC3_GFX90A:ACCUM_OFFSET: 13
; COMPUTE_PGM_RSRC3_GFX90A:TG_SPLIT: 0
	.section	.text._ZN2at4cuda12_GLOBAL__N_121kernelPointwiseApply2IZNS_6native9templates4cuda28bernoulli_tensor_cuda_kernelIbfEEvRKNS_10TensorBaseES9_NS_15PhiloxCudaStateEEUliRbSB_SB_SB_RKfSD_SD_SD_E_bSC_jLi1ELi2ELi4ELi512ELi2EEEvNS0_6detail10TensorInfoIT0_T2_EENSG_IT1_SI_EESI_T_,"axG",@progbits,_ZN2at4cuda12_GLOBAL__N_121kernelPointwiseApply2IZNS_6native9templates4cuda28bernoulli_tensor_cuda_kernelIbfEEvRKNS_10TensorBaseES9_NS_15PhiloxCudaStateEEUliRbSB_SB_SB_RKfSD_SD_SD_E_bSC_jLi1ELi2ELi4ELi512ELi2EEEvNS0_6detail10TensorInfoIT0_T2_EENSG_IT1_SI_EESI_T_,comdat
	.globl	_ZN2at4cuda12_GLOBAL__N_121kernelPointwiseApply2IZNS_6native9templates4cuda28bernoulli_tensor_cuda_kernelIbfEEvRKNS_10TensorBaseES9_NS_15PhiloxCudaStateEEUliRbSB_SB_SB_RKfSD_SD_SD_E_bSC_jLi1ELi2ELi4ELi512ELi2EEEvNS0_6detail10TensorInfoIT0_T2_EENSG_IT1_SI_EESI_T_ ; -- Begin function _ZN2at4cuda12_GLOBAL__N_121kernelPointwiseApply2IZNS_6native9templates4cuda28bernoulli_tensor_cuda_kernelIbfEEvRKNS_10TensorBaseES9_NS_15PhiloxCudaStateEEUliRbSB_SB_SB_RKfSD_SD_SD_E_bSC_jLi1ELi2ELi4ELi512ELi2EEEvNS0_6detail10TensorInfoIT0_T2_EENSG_IT1_SI_EESI_T_
	.p2align	8
	.type	_ZN2at4cuda12_GLOBAL__N_121kernelPointwiseApply2IZNS_6native9templates4cuda28bernoulli_tensor_cuda_kernelIbfEEvRKNS_10TensorBaseES9_NS_15PhiloxCudaStateEEUliRbSB_SB_SB_RKfSD_SD_SD_E_bSC_jLi1ELi2ELi4ELi512ELi2EEEvNS0_6detail10TensorInfoIT0_T2_EENSG_IT1_SI_EESI_T_,@function
_ZN2at4cuda12_GLOBAL__N_121kernelPointwiseApply2IZNS_6native9templates4cuda28bernoulli_tensor_cuda_kernelIbfEEvRKNS_10TensorBaseES9_NS_15PhiloxCudaStateEEUliRbSB_SB_SB_RKfSD_SD_SD_E_bSC_jLi1ELi2ELi4ELi512ELi2EEEvNS0_6detail10TensorInfoIT0_T2_EENSG_IT1_SI_EESI_T_: ; @_ZN2at4cuda12_GLOBAL__N_121kernelPointwiseApply2IZNS_6native9templates4cuda28bernoulli_tensor_cuda_kernelIbfEEvRKNS_10TensorBaseES9_NS_15PhiloxCudaStateEEUliRbSB_SB_SB_RKfSD_SD_SD_E_bSC_jLi1ELi2ELi4ELi512ELi2EEEvNS0_6detail10TensorInfoIT0_T2_EENSG_IT1_SI_EESI_T_
; %bb.0:
	s_load_dword s2, s[4:5], 0x1e4
	s_load_dword s33, s[4:5], 0x1b0
	s_add_u32 s0, s4, 0x1d8
	s_addc_u32 s1, s5, 0
	s_waitcnt lgkmcnt(0)
	s_and_b32 s2, s2, 0xffff
	s_mul_i32 s6, s6, s2
	v_add_u32_e32 v1, s6, v0
	v_lshlrev_b32_e32 v0, 2, v1
	v_cmp_gt_u32_e32 vcc, s33, v0
	s_and_saveexec_b64 s[6:7], vcc
	s_cbranch_execz .LBB111_51
; %bb.1:
	s_load_dwordx2 s[12:13], s[4:5], 0x0
	s_load_dword s3, s[4:5], 0x6c
	s_load_dwordx2 s[14:15], s[4:5], 0xd8
	s_load_dword s56, s[4:5], 0xe4
	s_load_dword s6, s[0:1], 0x0
	s_load_dwordx2 s[16:17], s[4:5], 0x1c8
	s_load_dword s7, s[4:5], 0x1d0
	s_load_dwordx2 s[18:19], s[4:5], 0x144
	s_load_dwordx4 s[8:11], s[4:5], 0x1b8
	s_waitcnt lgkmcnt(0)
	v_cvt_f32_u32_e32 v2, s56
	s_mov_b32 s57, 0xcd9e8d57
	s_bitcmp1_b32 s7, 0
	s_cselect_b64 s[22:23], -1, 0
	v_rcp_iflag_f32_e32 v4, v2
	v_mad_u64_u32 v[2:3], s[0:1], v1, s57, 0
	s_sub_i32 s60, 0, s56
	v_mul_f32_e32 v4, 0x4f7ffffe, v4
	v_cvt_u32_f32_e32 v4, v4
	v_mov_b32_e32 v6, v3
	s_mul_i32 s6, s6, s2
	s_lshl_b32 s59, s6, 2
	v_mul_lo_u32 v3, s60, v4
	v_mul_hi_u32 v3, v4, v3
	v_add_u32_e32 v3, v4, v3
	v_add_u32_e32 v4, 2, v0
	v_mul_lo_u32 v26, v0, s3
	v_mul_lo_u32 v28, s3, v4
	v_add_u32_e32 v4, 3, v0
	s_mov_b32 s58, 0
	v_mov_b32_e32 v5, 0
	v_sub_u32_e32 v7, s33, v0
	v_add_u32_e32 v27, s3, v26
	s_mul_i32 s61, s59, s3
	v_mul_lo_u32 v29, s3, v4
	s_mov_b64 s[24:25], 0
	s_mov_b32 s62, 0xd2511f53
	s_mov_b32 s63, 0xf1bbcdc8
                                        ; implicit-def: $sgpr26_sgpr27
                                        ; implicit-def: $sgpr28_sgpr29
                                        ; implicit-def: $sgpr30_sgpr31
                                        ; implicit-def: $sgpr20_sgpr21
                                        ; implicit-def: $sgpr34_sgpr35
                                        ; implicit-def: $sgpr36_sgpr37
                                        ; implicit-def: $sgpr38_sgpr39
                                        ; implicit-def: $sgpr40_sgpr41
	s_branch .LBB111_3
.LBB111_2:                              ;   in Loop: Header=BB111_3 Depth=1
	s_or_b64 exec, exec, s[2:3]
	s_and_b64 s[0:1], exec, s[0:1]
	s_or_b64 s[24:25], s[0:1], s[24:25]
	s_andn2_b64 s[0:1], s[20:21], exec
	s_and_b64 s[2:3], s[40:41], exec
	s_or_b64 s[20:21], s[0:1], s[2:3]
	s_andn2_b64 s[0:1], s[30:31], exec
	s_and_b64 s[2:3], s[38:39], exec
	;; [unrolled: 3-line block ×4, first 2 shown]
	s_or_b64 s[26:27], s[0:1], s[2:3]
	s_andn2_b64 exec, exec, s[24:25]
	s_cbranch_execz .LBB111_47
.LBB111_3:                              ; =>This Inner Loop Header: Depth=1
	v_pk_mov_b32 v[8:9], 0, 0
	v_cmp_lt_i32_e64 s[0:1], 0, v7
	v_pk_mov_b32 v[12:13], v[8:9], v[8:9] op_sel:[0,1]
	s_and_saveexec_b64 s[2:3], s[0:1]
	s_cbranch_execz .LBB111_5
; %bb.4:                                ;   in Loop: Header=BB111_3 Depth=1
	s_waitcnt vmcnt(3)
	v_mul_hi_u32 v4, v3, v0
	v_not_b32_e32 v12, v4
	v_mad_u64_u32 v[10:11], s[4:5], s60, v4, v[0:1]
	v_add_u32_e32 v11, 1, v4
	v_cmp_le_u32_e32 vcc, s56, v10
	v_mad_u64_u32 v[12:13], s[4:5], s56, v12, v[0:1]
	v_cndmask_b32_e32 v4, v4, v11, vcc
	v_cndmask_b32_e32 v10, v10, v12, vcc
	v_add_u32_e32 v11, 1, v4
	v_cmp_le_u32_e32 vcc, s56, v10
	v_cndmask_b32_e32 v12, v4, v11, vcc
	v_mad_u64_u32 v[10:11], s[4:5], s60, v12, v[0:1]
	v_mul_lo_u32 v4, v10, s19
	v_mad_u64_u32 v[12:13], s[4:5], v12, s18, v[4:5]
	v_mov_b32_e32 v13, v5
.LBB111_5:                              ;   in Loop: Header=BB111_3 Depth=1
	s_or_b64 exec, exec, s[2:3]
	v_cmp_lt_i32_e64 s[2:3], 1, v7
	s_and_saveexec_b64 s[4:5], s[2:3]
	s_cbranch_execz .LBB111_7
; %bb.6:                                ;   in Loop: Header=BB111_3 Depth=1
	s_waitcnt vmcnt(3)
	v_add_u32_e32 v4, 1, v0
	v_mul_hi_u32 v8, v4, v3
	v_mul_lo_u32 v9, v8, s56
	v_sub_u32_e32 v9, v4, v9
	v_add_u32_e32 v10, 1, v8
	v_cmp_le_u32_e32 vcc, s56, v9
	v_cndmask_b32_e32 v8, v8, v10, vcc
	v_subrev_u32_e32 v10, s56, v9
	v_cndmask_b32_e32 v9, v9, v10, vcc
	v_add_u32_e32 v10, 1, v8
	v_cmp_le_u32_e32 vcc, s56, v9
	v_cndmask_b32_e32 v8, v8, v10, vcc
	v_mul_lo_u32 v9, v8, s56
	v_sub_u32_e32 v4, v4, v9
	v_mul_lo_u32 v4, v4, s19
	v_mad_u64_u32 v[8:9], s[6:7], v8, s18, v[4:5]
	v_mov_b32_e32 v9, v5
.LBB111_7:                              ;   in Loop: Header=BB111_3 Depth=1
	s_or_b64 exec, exec, s[4:5]
	v_pk_mov_b32 v[10:11], 0, 0
	v_cmp_lt_i32_e64 s[4:5], 2, v7
	v_pk_mov_b32 v[14:15], v[10:11], v[10:11] op_sel:[0,1]
	s_and_saveexec_b64 s[6:7], s[4:5]
	s_cbranch_execz .LBB111_9
; %bb.8:                                ;   in Loop: Header=BB111_3 Depth=1
	s_waitcnt vmcnt(3)
	v_add_u32_e32 v4, 2, v0
	v_mul_hi_u32 v14, v4, v3
	v_mul_lo_u32 v15, v14, s56
	v_sub_u32_e32 v15, v4, v15
	v_add_u32_e32 v16, 1, v14
	v_cmp_le_u32_e32 vcc, s56, v15
	v_cndmask_b32_e32 v14, v14, v16, vcc
	v_subrev_u32_e32 v16, s56, v15
	v_cndmask_b32_e32 v15, v15, v16, vcc
	v_add_u32_e32 v16, 1, v14
	v_cmp_le_u32_e32 vcc, s56, v15
	v_cndmask_b32_e32 v14, v14, v16, vcc
	v_mul_lo_u32 v15, v14, s56
	v_sub_u32_e32 v4, v4, v15
	v_mul_lo_u32 v4, v4, s19
	v_mad_u64_u32 v[14:15], s[42:43], v14, s18, v[4:5]
	v_mov_b32_e32 v15, v5
.LBB111_9:                              ;   in Loop: Header=BB111_3 Depth=1
	s_or_b64 exec, exec, s[6:7]
	v_cmp_lt_i32_e32 vcc, 3, v7
	v_pk_mov_b32 v[16:17], v[10:11], v[10:11] op_sel:[0,1]
	s_and_saveexec_b64 s[6:7], vcc
	s_cbranch_execz .LBB111_11
; %bb.10:                               ;   in Loop: Header=BB111_3 Depth=1
	v_add_u32_e32 v10, 3, v0
	v_mul_hi_u32 v11, v10, v3
	v_mul_lo_u32 v16, v11, s56
	v_sub_u32_e32 v16, v10, v16
	v_add_u32_e32 v17, 1, v11
	v_cmp_le_u32_e32 vcc, s56, v16
	v_cndmask_b32_e32 v11, v11, v17, vcc
	v_subrev_u32_e32 v17, s56, v16
	v_cndmask_b32_e32 v16, v16, v17, vcc
	v_add_u32_e32 v17, 1, v11
	v_cmp_le_u32_e32 vcc, s56, v16
	v_cndmask_b32_e32 v11, v11, v17, vcc
	v_mul_lo_u32 v16, v11, s56
	v_sub_u32_e32 v10, v10, v16
	v_mul_lo_u32 v10, v10, s19
	s_waitcnt vmcnt(3)
	v_add_u32_e32 v4, s58, v29
	v_mad_u64_u32 v[16:17], s[42:43], v11, s18, v[10:11]
	v_mov_b32_e32 v17, v5
	v_pk_mov_b32 v[10:11], v[4:5], v[4:5] op_sel:[0,1]
.LBB111_11:                             ;   in Loop: Header=BB111_3 Depth=1
	s_or_b64 exec, exec, s[6:7]
	v_lshlrev_b64 v[12:13], 2, v[12:13]
	s_waitcnt vmcnt(3)
	v_mov_b32_e32 v4, s15
	v_add_co_u32_e32 v12, vcc, s14, v12
	v_addc_co_u32_e32 v13, vcc, v4, v13, vcc
	v_lshlrev_b64 v[8:9], 2, v[8:9]
	v_add_co_u32_e32 v8, vcc, s14, v8
	v_addc_co_u32_e32 v9, vcc, v4, v9, vcc
	v_lshlrev_b64 v[14:15], 2, v[14:15]
	;; [unrolled: 3-line block ×3, first 2 shown]
	v_add_co_u32_e32 v16, vcc, s14, v16
	v_addc_co_u32_e32 v17, vcc, v4, v17, vcc
	global_load_dword v4, v[12:13], off
	global_load_dword v30, v[8:9], off
	;; [unrolled: 1-line block ×4, first 2 shown]
	s_andn2_b64 vcc, exec, s[22:23]
	v_pk_mov_b32 v[8:9], s[10:11], s[10:11] op_sel:[0,1]
	v_pk_mov_b32 v[12:13], s[8:9], s[8:9] op_sel:[0,1]
	s_cbranch_vccnz .LBB111_13
; %bb.12:                               ;   in Loop: Header=BB111_3 Depth=1
	v_pk_mov_b32 v[8:9], s[10:11], s[10:11] op_sel:[0,1]
	flat_load_dwordx2 v[8:9], v[8:9]
	v_pk_mov_b32 v[12:13], s[8:9], s[8:9] op_sel:[0,1]
	flat_load_dwordx2 v[12:13], v[12:13]
	v_mov_b32_e32 v14, s17
	s_waitcnt vmcnt(0) lgkmcnt(0)
	v_add_co_u32_e32 v8, vcc, s16, v8
	v_addc_co_u32_e32 v9, vcc, v9, v14, vcc
.LBB111_13:                             ;   in Loop: Header=BB111_3 Depth=1
	v_alignbit_b32 v22, v9, v8, 2
	v_lshrrev_b32_e32 v23, 2, v9
	v_xor_b32_e32 v14, v6, v12
	v_and_b32_e32 v33, 3, v8
	v_mad_u64_u32 v[8:9], s[6:7], v22, s62, 0
	v_xor_b32_e32 v14, v14, v23
	v_xor_b32_e32 v9, v9, v13
	v_add_u32_e32 v38, 0xbb67ae85, v13
	v_mad_u64_u32 v[14:15], s[6:7], v14, s62, 0
	v_mad_u64_u32 v[16:17], s[6:7], v9, s57, 0
	v_xor_b32_e32 v15, v38, v15
	v_add_u32_e32 v37, 0x9e3779b9, v12
	v_xor_b32_e32 v9, v2, v17
	v_xor_b32_e32 v15, v15, v8
	v_xor_b32_e32 v9, v9, v37
	v_add_u32_e32 v39, 0x3c6ef372, v12
	v_mad_u64_u32 v[18:19], s[6:7], v15, s57, 0
	v_add_u32_e32 v40, 0x76cf5d0a, v13
	v_mad_u64_u32 v[8:9], s[6:7], v9, s62, 0
	v_xor_b32_e32 v15, v39, v19
	v_xor_b32_e32 v15, v15, v16
	v_xor_b32_e32 v9, v40, v9
	v_xor_b32_e32 v9, v9, v14
	v_add_u32_e32 v42, 0x32370b8f, v13
	v_mad_u64_u32 v[14:15], s[6:7], v15, s62, 0
	v_add_u32_e32 v41, 0xdaa66d2b, v12
	v_mad_u64_u32 v[16:17], s[6:7], v9, s57, 0
	v_xor_b32_e32 v15, v42, v15
	;; [unrolled: 8-line block ×5, first 2 shown]
	v_xor_b32_e32 v15, v15, v16
	v_xor_b32_e32 v9, v48, v9
	;; [unrolled: 1-line block ×3, first 2 shown]
	v_add_u32_e32 v50, 0x1fd5c5a3, v13
	v_mad_u64_u32 v[14:15], s[6:7], v15, s62, 0
	v_xor_b32_e32 v15, v50, v15
	v_xor_b32_e32 v8, v15, v8
	v_add_u32_e32 v49, 0x5384540f, v12
	v_mad_u64_u32 v[20:21], s[6:7], v9, s57, 0
	v_add_co_u32_e32 v35, vcc, s63, v12
	v_mad_u64_u32 v[16:17], s[6:7], v8, s57, 0
	v_xor_b32_e32 v9, v49, v21
	v_xor_b32_e32 v8, v35, v17
	;; [unrolled: 1-line block ×4, first 2 shown]
	v_mad_u64_u32 v[18:19], s[6:7], v9, s62, 0
	v_mad_u64_u32 v[8:9], s[6:7], v8, s62, 0
	v_add_u32_e32 v36, 0x96a522ad, v13
	v_xor_b32_e32 v9, v9, v18
	v_xor_b32_e32 v34, v36, v9
	v_add_co_u32_e32 v9, vcc, 1, v22
	v_cndmask_b32_e64 v18, 0, 1, vcc
	v_addc_co_u32_e32 v24, vcc, 0, v23, vcc
	v_cmp_eq_u32_e32 vcc, 0, v24
	v_cndmask_b32_e32 v18, 0, v18, vcc
	v_add_u32_e32 v22, v18, v1
	v_cmp_eq_u32_e32 vcc, 0, v22
	v_mad_u64_u32 v[20:21], s[6:7], v9, s62, 0
	v_mad_u64_u32 v[22:23], s[6:7], v22, s57, 0
	v_add_u32_e32 v17, 0x8ff34781, v12
	v_cndmask_b32_e32 v18, 0, v18, vcc
	v_xor_b32_e32 v9, v23, v12
	v_xor_b32_e32 v12, v21, v13
	;; [unrolled: 1-line block ×4, first 2 shown]
	v_mad_u64_u32 v[24:25], s[6:7], v18, s57, 0
	v_add_u32_e32 v15, 0xdb3d7428, v13
	v_mad_u64_u32 v[12:13], s[6:7], v9, s62, 0
	v_xor_b32_e32 v9, v37, v25
	v_xor_b32_e32 v9, v9, v22
	v_xor_b32_e32 v13, v38, v13
	v_xor_b32_e32 v13, v13, v20
	v_mad_u64_u32 v[20:21], s[6:7], v9, s62, 0
	v_mad_u64_u32 v[22:23], s[6:7], v13, s57, 0
	v_xor_b32_e32 v13, v40, v21
	v_xor_b32_e32 v9, v39, v23
	v_xor_b32_e32 v18, v13, v12
	v_xor_b32_e32 v9, v9, v24
	v_mad_u64_u32 v[24:25], s[6:7], v18, s57, 0
	;; [unrolled: 6-line block ×7, first 2 shown]
	v_xor_b32_e32 v9, v15, v23
	v_xor_b32_e32 v9, v9, v12
	v_mad_u64_u32 v[24:25], s[6:7], v13, s57, 0
	v_mad_u64_u32 v[12:13], s[6:7], v9, s57, 0
	v_xor_b32_e32 v9, v13, v24
	v_xor_b32_e32 v9, v17, v9
	v_cmp_lt_i32_e32 vcc, 1, v33
                                        ; implicit-def: $vgpr21
	s_and_saveexec_b64 s[6:7], vcc
	s_xor_b64 s[6:7], exec, s[6:7]
	s_cbranch_execz .LBB111_19
; %bb.14:                               ;   in Loop: Header=BB111_3 Depth=1
	v_cmp_lt_i32_e32 vcc, 2, v33
                                        ; implicit-def: $vgpr21
	s_and_saveexec_b64 s[42:43], vcc
	s_xor_b64 s[42:43], exec, s[42:43]
; %bb.15:                               ;   in Loop: Header=BB111_3 Depth=1
	v_xor_b32_e32 v13, v35, v25
	v_xor_b32_e32 v13, v13, v20
	v_mul_hi_u32 v13, v13, s62
	v_xor_b32_e32 v13, v13, v22
	v_xor_b32_e32 v21, v36, v13
                                        ; implicit-def: $vgpr34
; %bb.16:                               ;   in Loop: Header=BB111_3 Depth=1
	s_andn2_saveexec_b64 s[42:43], s[42:43]
; %bb.17:                               ;   in Loop: Header=BB111_3 Depth=1
	v_mov_b32_e32 v21, v12
	v_mov_b32_e32 v12, v9
	;; [unrolled: 1-line block ×4, first 2 shown]
; %bb.18:                               ;   in Loop: Header=BB111_3 Depth=1
	s_or_b64 exec, exec, s[42:43]
                                        ; implicit-def: $vgpr14_vgpr15
                                        ; implicit-def: $vgpr16_vgpr17
                                        ; implicit-def: $vgpr33
                                        ; implicit-def: $vgpr34
                                        ; implicit-def: $vgpr18_vgpr19
                                        ; implicit-def: $vgpr15
                                        ; implicit-def: $vgpr17
.LBB111_19:                             ;   in Loop: Header=BB111_3 Depth=1
	s_andn2_saveexec_b64 s[6:7], s[6:7]
	s_cbranch_execz .LBB111_23
; %bb.20:                               ;   in Loop: Header=BB111_3 Depth=1
	v_xor_b32_e32 v12, v15, v19
	v_xor_b32_e32 v12, v12, v14
	v_mad_u64_u32 v[14:15], s[42:43], v12, s57, 0
	v_xor_b32_e32 v12, v15, v16
	v_xor_b32_e32 v13, v17, v12
	v_cmp_eq_u32_e32 vcc, 1, v33
	v_mov_b32_e32 v21, v8
	v_mov_b32_e32 v12, v34
	;; [unrolled: 1-line block ×3, first 2 shown]
	s_and_saveexec_b64 s[42:43], vcc
; %bb.21:                               ;   in Loop: Header=BB111_3 Depth=1
	v_mov_b32_e32 v21, v9
	v_mov_b32_e32 v12, v8
	v_mov_b32_e32 v15, v34
	v_mov_b32_e32 v13, v14
; %bb.22:                               ;   in Loop: Header=BB111_3 Depth=1
	s_or_b64 exec, exec, s[42:43]
	v_mov_b32_e32 v8, v13
	v_mov_b32_e32 v9, v15
.LBB111_23:                             ;   in Loop: Header=BB111_3 Depth=1
	s_or_b64 exec, exec, s[6:7]
	v_min_i32_e32 v13, 4, v7
	v_cmp_lt_i32_e32 vcc, 2, v13
	s_mov_b64 s[42:43], 0
	s_mov_b64 s[52:53], 0
                                        ; implicit-def: $sgpr6_sgpr7
                                        ; implicit-def: $sgpr44_sgpr45
                                        ; implicit-def: $sgpr46_sgpr47
	s_and_saveexec_b64 s[48:49], vcc
	s_xor_b64 s[48:49], exec, s[48:49]
	s_cbranch_execz .LBB111_33
; %bb.24:                               ;   in Loop: Header=BB111_3 Depth=1
	v_cmp_lt_i32_e32 vcc, 3, v13
	s_mov_b64 s[6:7], -1
                                        ; implicit-def: $sgpr44_sgpr45
                                        ; implicit-def: $sgpr50_sgpr51
	s_and_saveexec_b64 s[46:47], vcc
	s_cbranch_execz .LBB111_28
; %bb.25:                               ;   in Loop: Header=BB111_3 Depth=1
	s_waitcnt vmcnt(0)
	v_cmp_le_f32_e32 vcc, 0, v32
	v_cmp_ge_f32_e64 s[6:7], 1.0, v32
	s_and_b64 s[52:53], vcc, s[6:7]
	s_mov_b64 s[44:45], 0
	s_mov_b64 s[6:7], 0
	s_and_saveexec_b64 s[50:51], s[52:53]
	s_cbranch_execz .LBB111_27
; %bb.26:                               ;   in Loop: Header=BB111_3 Depth=1
	v_cvt_f32_u32_e32 v14, v21
	v_mov_b32_e32 v15, 0x2f800000
	v_mov_b32_e32 v16, s13
	v_add_co_u32_e32 v10, vcc, s12, v10
	v_fmac_f32_e32 v15, 0x2f800000, v14
	v_addc_co_u32_e32 v11, vcc, v16, v11, vcc
	v_cmp_le_f32_e32 vcc, v15, v32
	s_mov_b64 s[6:7], exec
	v_cndmask_b32_e64 v14, 0, 1, vcc
	global_store_byte v[10:11], v14, off
.LBB111_27:                             ;   in Loop: Header=BB111_3 Depth=1
	s_or_b64 exec, exec, s[50:51]
	s_mov_b64 s[50:51], -1
	s_orn2_b64 s[6:7], s[6:7], exec
.LBB111_28:                             ;   in Loop: Header=BB111_3 Depth=1
	s_or_b64 exec, exec, s[46:47]
	s_mov_b64 s[52:53], 0
	s_mov_b64 s[54:55], s[44:45]
	s_and_saveexec_b64 s[46:47], s[6:7]
	s_cbranch_execz .LBB111_32
; %bb.29:                               ;   in Loop: Header=BB111_3 Depth=1
	s_waitcnt vmcnt(1)
	v_cmp_le_f32_e32 vcc, 0, v31
	v_cmp_ge_f32_e64 s[6:7], 1.0, v31
	s_and_b64 s[52:53], vcc, s[6:7]
	s_mov_b64 s[6:7], 0
	s_and_saveexec_b64 s[54:55], s[52:53]
	s_xor_b64 s[52:53], exec, s[54:55]
	s_cbranch_execz .LBB111_31
; %bb.30:                               ;   in Loop: Header=BB111_3 Depth=1
	v_cvt_f32_u32_e32 v10, v12
	v_mov_b32_e32 v11, 0x2f800000
	v_add_u32_e32 v12, s58, v28
	s_mov_b64 s[6:7], exec
	v_fmac_f32_e32 v11, 0x2f800000, v10
	v_cmp_le_f32_e32 vcc, v11, v31
	v_cndmask_b32_e64 v10, 0, v12, s[4:5]
	v_cndmask_b32_e64 v11, 0, 1, vcc
	global_store_byte v10, v11, s[12:13]
.LBB111_31:                             ;   in Loop: Header=BB111_3 Depth=1
	s_or_b64 exec, exec, s[52:53]
	s_andn2_b64 s[54:55], s[44:45], exec
	s_or_b64 s[44:45], s[44:45], exec
	s_andn2_b64 s[50:51], s[50:51], exec
	s_and_b64 s[52:53], s[6:7], exec
.LBB111_32:                             ;   in Loop: Header=BB111_3 Depth=1
	s_or_b64 exec, exec, s[46:47]
	s_and_b64 s[46:47], s[54:55], exec
	s_and_b64 s[44:45], s[44:45], exec
	;; [unrolled: 1-line block ×4, first 2 shown]
.LBB111_33:                             ;   in Loop: Header=BB111_3 Depth=1
	s_andn2_saveexec_b64 s[4:5], s[48:49]
; %bb.34:                               ;   in Loop: Header=BB111_3 Depth=1
	v_cmp_lt_i32_e32 vcc, 1, v13
	s_andn2_b64 s[48:49], s[52:53], exec
	s_and_b64 s[50:51], vcc, exec
	s_mov_b64 s[42:43], exec
	s_andn2_b64 s[46:47], s[46:47], exec
	s_andn2_b64 s[44:45], s[44:45], exec
	;; [unrolled: 1-line block ×3, first 2 shown]
	s_or_b64 s[52:53], s[48:49], s[50:51]
; %bb.35:                               ;   in Loop: Header=BB111_3 Depth=1
	s_or_b64 exec, exec, s[4:5]
	s_mov_b64 s[48:49], 0
	s_mov_b64 s[50:51], 0
	;; [unrolled: 1-line block ×3, first 2 shown]
	s_and_saveexec_b64 s[54:55], s[52:53]
	s_cbranch_execnz .LBB111_38
; %bb.36:                               ;   in Loop: Header=BB111_3 Depth=1
	s_or_b64 exec, exec, s[54:55]
	s_and_saveexec_b64 s[2:3], s[42:43]
	s_cbranch_execnz .LBB111_41
.LBB111_37:                             ;   in Loop: Header=BB111_3 Depth=1
	s_or_b64 exec, exec, s[2:3]
	s_and_saveexec_b64 s[42:43], s[50:51]
	s_cbranch_execnz .LBB111_42
	s_branch .LBB111_45
.LBB111_38:                             ;   in Loop: Header=BB111_3 Depth=1
	s_waitcnt vmcnt(2)
	v_cmp_le_f32_e32 vcc, 0, v30
	v_cmp_ge_f32_e64 s[4:5], 1.0, v30
	s_and_b64 s[4:5], vcc, s[4:5]
	s_and_saveexec_b64 s[52:53], s[4:5]
	s_xor_b64 s[4:5], exec, s[52:53]
	s_cbranch_execz .LBB111_40
; %bb.39:                               ;   in Loop: Header=BB111_3 Depth=1
	v_cvt_f32_u32_e32 v9, v9
	v_mov_b32_e32 v10, 0x2f800000
	v_add_u32_e32 v11, s58, v27
	s_mov_b64 s[50:51], exec
	v_fmac_f32_e32 v10, 0x2f800000, v9
	v_cmp_le_f32_e32 vcc, v10, v30
	v_cndmask_b32_e64 v9, 0, v11, s[2:3]
	v_cndmask_b32_e64 v10, 0, 1, vcc
	global_store_byte v9, v10, s[12:13]
.LBB111_40:                             ;   in Loop: Header=BB111_3 Depth=1
	s_or_b64 exec, exec, s[4:5]
	s_andn2_b64 s[4:5], s[46:47], exec
	s_or_b64 s[46:47], s[46:47], exec
	s_andn2_b64 s[44:45], s[44:45], exec
	s_andn2_b64 s[6:7], s[6:7], exec
	s_and_b64 s[50:51], s[50:51], exec
	s_andn2_b64 s[42:43], s[42:43], exec
	s_or_b64 exec, exec, s[54:55]
	s_and_saveexec_b64 s[2:3], s[42:43]
	s_cbranch_execz .LBB111_37
.LBB111_41:                             ;   in Loop: Header=BB111_3 Depth=1
	v_cmp_eq_u32_e32 vcc, 1, v13
	s_andn2_b64 s[42:43], s[50:51], exec
	s_and_b64 s[50:51], vcc, exec
	s_mov_b64 s[48:49], exec
	s_andn2_b64 s[4:5], s[4:5], exec
	s_andn2_b64 s[46:47], s[46:47], exec
	;; [unrolled: 1-line block ×4, first 2 shown]
	s_or_b64 s[50:51], s[42:43], s[50:51]
	s_or_b64 exec, exec, s[2:3]
	s_and_saveexec_b64 s[42:43], s[50:51]
	s_cbranch_execz .LBB111_45
.LBB111_42:                             ;   in Loop: Header=BB111_3 Depth=1
	s_waitcnt vmcnt(3)
	v_cmp_le_f32_e32 vcc, 0, v4
	v_cmp_ge_f32_e64 s[2:3], 1.0, v4
	s_and_b64 s[52:53], vcc, s[2:3]
	s_mov_b64 s[2:3], 0
	s_and_saveexec_b64 s[50:51], s[52:53]
	s_cbranch_execz .LBB111_44
; %bb.43:                               ;   in Loop: Header=BB111_3 Depth=1
	v_cvt_f32_u32_e32 v8, v8
	v_mov_b32_e32 v9, 0x2f800000
	v_add_u32_e32 v10, s58, v26
	s_mov_b64 s[2:3], exec
	v_fmac_f32_e32 v9, 0x2f800000, v8
	v_cmp_le_f32_e32 vcc, v9, v4
	v_cndmask_b32_e64 v8, 0, v10, s[0:1]
	v_cndmask_b32_e64 v4, 0, 1, vcc
	global_store_byte v8, v4, s[12:13]
.LBB111_44:                             ;   in Loop: Header=BB111_3 Depth=1
	s_or_b64 exec, exec, s[50:51]
	s_andn2_b64 s[0:1], s[48:49], exec
	s_and_b64 s[2:3], s[2:3], exec
	s_or_b64 s[4:5], s[4:5], exec
	s_andn2_b64 s[46:47], s[46:47], exec
	s_andn2_b64 s[44:45], s[44:45], exec
	;; [unrolled: 1-line block ×3, first 2 shown]
	s_or_b64 s[48:49], s[0:1], s[2:3]
.LBB111_45:                             ;   in Loop: Header=BB111_3 Depth=1
	s_or_b64 exec, exec, s[42:43]
	s_andn2_b64 s[2:3], s[40:41], exec
	s_and_b64 s[4:5], s[4:5], exec
	s_or_b64 s[40:41], s[2:3], s[4:5]
	s_andn2_b64 s[2:3], s[38:39], exec
	s_and_b64 s[4:5], s[46:47], exec
	s_or_b64 s[38:39], s[2:3], s[4:5]
	;; [unrolled: 3-line block ×3, first 2 shown]
	s_andn2_b64 s[2:3], s[34:35], exec
	s_and_b64 s[4:5], s[6:7], exec
	s_mov_b64 s[0:1], -1
	s_or_b64 s[34:35], s[2:3], s[4:5]
	s_and_saveexec_b64 s[2:3], s[48:49]
	s_cbranch_execz .LBB111_2
; %bb.46:                               ;   in Loop: Header=BB111_3 Depth=1
	v_add_u32_e32 v0, s59, v0
	v_cmp_le_u32_e32 vcc, s33, v0
	v_subrev_u32_e32 v7, s59, v7
	s_add_i32 s58, s58, s61
	s_andn2_b64 s[40:41], s[40:41], exec
	s_andn2_b64 s[38:39], s[38:39], exec
	;; [unrolled: 1-line block ×4, first 2 shown]
	s_orn2_b64 s[0:1], vcc, exec
	s_branch .LBB111_2
.LBB111_47:
	s_or_b64 exec, exec, s[24:25]
	s_xor_b64 s[6:7], s[30:31], -1
	s_xor_b64 s[8:9], s[28:29], -1
	;; [unrolled: 1-line block ×3, first 2 shown]
	s_mov_b64 s[2:3], 0
	s_and_saveexec_b64 s[4:5], s[0:1]
	s_xor_b64 s[0:1], exec, s[4:5]
	s_cbranch_execnz .LBB111_52
; %bb.48:
	s_andn2_saveexec_b64 s[0:1], s[0:1]
	s_cbranch_execnz .LBB111_60
.LBB111_49:
	s_or_b64 exec, exec, s[0:1]
	s_and_b64 exec, exec, s[2:3]
.LBB111_50:
	; divergent unreachable
.LBB111_51:
	s_endpgm
.LBB111_52:
	s_mov_b64 s[4:5], 0
	s_and_saveexec_b64 s[2:3], s[8:9]
	s_xor_b64 s[2:3], exec, s[2:3]
	s_cbranch_execz .LBB111_58
; %bb.53:
	s_and_saveexec_b64 s[8:9], s[6:7]
	s_xor_b64 s[6:7], exec, s[8:9]
	s_cbranch_execz .LBB111_56
; %bb.54:
	s_and_saveexec_b64 s[8:9], s[20:21]
	s_xor_b64 s[8:9], exec, s[8:9]
	s_cbranch_execnz .LBB111_63
.LBB111_55:
	s_or_b64 exec, exec, s[8:9]
	s_and_b64 s[4:5], s[4:5], exec
.LBB111_56:
	s_andn2_saveexec_b64 s[6:7], s[6:7]
	s_cbranch_execnz .LBB111_62
.LBB111_57:
	s_or_b64 exec, exec, s[6:7]
	s_and_b64 s[4:5], s[4:5], exec
.LBB111_58:
	s_andn2_saveexec_b64 s[2:3], s[2:3]
	s_cbranch_execnz .LBB111_61
.LBB111_59:
	s_or_b64 exec, exec, s[2:3]
	s_and_b64 s[2:3], s[4:5], exec
	s_andn2_saveexec_b64 s[0:1], s[0:1]
	s_cbranch_execz .LBB111_49
.LBB111_60:
	s_or_b64 s[2:3], s[2:3], exec
	s_trap 2
	s_or_b64 exec, exec, s[0:1]
	s_and_b64 exec, exec, s[2:3]
	s_cbranch_execnz .LBB111_50
	s_branch .LBB111_51
.LBB111_61:
	s_or_b64 s[4:5], s[4:5], exec
	s_trap 2
	s_branch .LBB111_59
.LBB111_62:
	s_trap 2
	s_or_b64 s[4:5], s[4:5], exec
	s_branch .LBB111_57
.LBB111_63:
	s_mov_b64 s[4:5], exec
	s_trap 2
	s_branch .LBB111_55
	.section	.rodata,"a",@progbits
	.p2align	6, 0x0
	.amdhsa_kernel _ZN2at4cuda12_GLOBAL__N_121kernelPointwiseApply2IZNS_6native9templates4cuda28bernoulli_tensor_cuda_kernelIbfEEvRKNS_10TensorBaseES9_NS_15PhiloxCudaStateEEUliRbSB_SB_SB_RKfSD_SD_SD_E_bSC_jLi1ELi2ELi4ELi512ELi2EEEvNS0_6detail10TensorInfoIT0_T2_EENSG_IT1_SI_EESI_T_
		.amdhsa_group_segment_fixed_size 0
		.amdhsa_private_segment_fixed_size 0
		.amdhsa_kernarg_size 728
		.amdhsa_user_sgpr_count 6
		.amdhsa_user_sgpr_private_segment_buffer 1
		.amdhsa_user_sgpr_dispatch_ptr 0
		.amdhsa_user_sgpr_queue_ptr 0
		.amdhsa_user_sgpr_kernarg_segment_ptr 1
		.amdhsa_user_sgpr_dispatch_id 0
		.amdhsa_user_sgpr_flat_scratch_init 0
		.amdhsa_user_sgpr_kernarg_preload_length 0
		.amdhsa_user_sgpr_kernarg_preload_offset 0
		.amdhsa_user_sgpr_private_segment_size 0
		.amdhsa_uses_dynamic_stack 0
		.amdhsa_system_sgpr_private_segment_wavefront_offset 0
		.amdhsa_system_sgpr_workgroup_id_x 1
		.amdhsa_system_sgpr_workgroup_id_y 0
		.amdhsa_system_sgpr_workgroup_id_z 0
		.amdhsa_system_sgpr_workgroup_info 0
		.amdhsa_system_vgpr_workitem_id 0
		.amdhsa_next_free_vgpr 51
		.amdhsa_next_free_sgpr 64
		.amdhsa_accum_offset 52
		.amdhsa_reserve_vcc 1
		.amdhsa_reserve_flat_scratch 0
		.amdhsa_float_round_mode_32 0
		.amdhsa_float_round_mode_16_64 0
		.amdhsa_float_denorm_mode_32 3
		.amdhsa_float_denorm_mode_16_64 3
		.amdhsa_dx10_clamp 1
		.amdhsa_ieee_mode 1
		.amdhsa_fp16_overflow 0
		.amdhsa_tg_split 0
		.amdhsa_exception_fp_ieee_invalid_op 0
		.amdhsa_exception_fp_denorm_src 0
		.amdhsa_exception_fp_ieee_div_zero 0
		.amdhsa_exception_fp_ieee_overflow 0
		.amdhsa_exception_fp_ieee_underflow 0
		.amdhsa_exception_fp_ieee_inexact 0
		.amdhsa_exception_int_div_zero 0
	.end_amdhsa_kernel
	.section	.text._ZN2at4cuda12_GLOBAL__N_121kernelPointwiseApply2IZNS_6native9templates4cuda28bernoulli_tensor_cuda_kernelIbfEEvRKNS_10TensorBaseES9_NS_15PhiloxCudaStateEEUliRbSB_SB_SB_RKfSD_SD_SD_E_bSC_jLi1ELi2ELi4ELi512ELi2EEEvNS0_6detail10TensorInfoIT0_T2_EENSG_IT1_SI_EESI_T_,"axG",@progbits,_ZN2at4cuda12_GLOBAL__N_121kernelPointwiseApply2IZNS_6native9templates4cuda28bernoulli_tensor_cuda_kernelIbfEEvRKNS_10TensorBaseES9_NS_15PhiloxCudaStateEEUliRbSB_SB_SB_RKfSD_SD_SD_E_bSC_jLi1ELi2ELi4ELi512ELi2EEEvNS0_6detail10TensorInfoIT0_T2_EENSG_IT1_SI_EESI_T_,comdat
.Lfunc_end111:
	.size	_ZN2at4cuda12_GLOBAL__N_121kernelPointwiseApply2IZNS_6native9templates4cuda28bernoulli_tensor_cuda_kernelIbfEEvRKNS_10TensorBaseES9_NS_15PhiloxCudaStateEEUliRbSB_SB_SB_RKfSD_SD_SD_E_bSC_jLi1ELi2ELi4ELi512ELi2EEEvNS0_6detail10TensorInfoIT0_T2_EENSG_IT1_SI_EESI_T_, .Lfunc_end111-_ZN2at4cuda12_GLOBAL__N_121kernelPointwiseApply2IZNS_6native9templates4cuda28bernoulli_tensor_cuda_kernelIbfEEvRKNS_10TensorBaseES9_NS_15PhiloxCudaStateEEUliRbSB_SB_SB_RKfSD_SD_SD_E_bSC_jLi1ELi2ELi4ELi512ELi2EEEvNS0_6detail10TensorInfoIT0_T2_EENSG_IT1_SI_EESI_T_
                                        ; -- End function
	.section	.AMDGPU.csdata,"",@progbits
; Kernel info:
; codeLenInByte = 2952
; NumSgprs: 68
; NumVgprs: 51
; NumAgprs: 0
; TotalNumVgprs: 51
; ScratchSize: 0
; MemoryBound: 0
; FloatMode: 240
; IeeeMode: 1
; LDSByteSize: 0 bytes/workgroup (compile time only)
; SGPRBlocks: 8
; VGPRBlocks: 6
; NumSGPRsForWavesPerEU: 68
; NumVGPRsForWavesPerEU: 51
; AccumOffset: 52
; Occupancy: 8
; WaveLimiterHint : 1
; COMPUTE_PGM_RSRC2:SCRATCH_EN: 0
; COMPUTE_PGM_RSRC2:USER_SGPR: 6
; COMPUTE_PGM_RSRC2:TRAP_HANDLER: 0
; COMPUTE_PGM_RSRC2:TGID_X_EN: 1
; COMPUTE_PGM_RSRC2:TGID_Y_EN: 0
; COMPUTE_PGM_RSRC2:TGID_Z_EN: 0
; COMPUTE_PGM_RSRC2:TIDIG_COMP_CNT: 0
; COMPUTE_PGM_RSRC3_GFX90A:ACCUM_OFFSET: 12
; COMPUTE_PGM_RSRC3_GFX90A:TG_SPLIT: 0
	.section	.text._ZN2at4cuda12_GLOBAL__N_121kernelPointwiseApply2IZNS_6native9templates4cuda28bernoulli_tensor_cuda_kernelIbfEEvRKNS_10TensorBaseES9_NS_15PhiloxCudaStateEEUliRbSB_SB_SB_RKfSD_SD_SD_E_bSC_jLi1ELin1ELi4ELi512ELi2EEEvNS0_6detail10TensorInfoIT0_T2_EENSG_IT1_SI_EESI_T_,"axG",@progbits,_ZN2at4cuda12_GLOBAL__N_121kernelPointwiseApply2IZNS_6native9templates4cuda28bernoulli_tensor_cuda_kernelIbfEEvRKNS_10TensorBaseES9_NS_15PhiloxCudaStateEEUliRbSB_SB_SB_RKfSD_SD_SD_E_bSC_jLi1ELin1ELi4ELi512ELi2EEEvNS0_6detail10TensorInfoIT0_T2_EENSG_IT1_SI_EESI_T_,comdat
	.globl	_ZN2at4cuda12_GLOBAL__N_121kernelPointwiseApply2IZNS_6native9templates4cuda28bernoulli_tensor_cuda_kernelIbfEEvRKNS_10TensorBaseES9_NS_15PhiloxCudaStateEEUliRbSB_SB_SB_RKfSD_SD_SD_E_bSC_jLi1ELin1ELi4ELi512ELi2EEEvNS0_6detail10TensorInfoIT0_T2_EENSG_IT1_SI_EESI_T_ ; -- Begin function _ZN2at4cuda12_GLOBAL__N_121kernelPointwiseApply2IZNS_6native9templates4cuda28bernoulli_tensor_cuda_kernelIbfEEvRKNS_10TensorBaseES9_NS_15PhiloxCudaStateEEUliRbSB_SB_SB_RKfSD_SD_SD_E_bSC_jLi1ELin1ELi4ELi512ELi2EEEvNS0_6detail10TensorInfoIT0_T2_EENSG_IT1_SI_EESI_T_
	.p2align	8
	.type	_ZN2at4cuda12_GLOBAL__N_121kernelPointwiseApply2IZNS_6native9templates4cuda28bernoulli_tensor_cuda_kernelIbfEEvRKNS_10TensorBaseES9_NS_15PhiloxCudaStateEEUliRbSB_SB_SB_RKfSD_SD_SD_E_bSC_jLi1ELin1ELi4ELi512ELi2EEEvNS0_6detail10TensorInfoIT0_T2_EENSG_IT1_SI_EESI_T_,@function
_ZN2at4cuda12_GLOBAL__N_121kernelPointwiseApply2IZNS_6native9templates4cuda28bernoulli_tensor_cuda_kernelIbfEEvRKNS_10TensorBaseES9_NS_15PhiloxCudaStateEEUliRbSB_SB_SB_RKfSD_SD_SD_E_bSC_jLi1ELin1ELi4ELi512ELi2EEEvNS0_6detail10TensorInfoIT0_T2_EENSG_IT1_SI_EESI_T_: ; @_ZN2at4cuda12_GLOBAL__N_121kernelPointwiseApply2IZNS_6native9templates4cuda28bernoulli_tensor_cuda_kernelIbfEEvRKNS_10TensorBaseES9_NS_15PhiloxCudaStateEEUliRbSB_SB_SB_RKfSD_SD_SD_E_bSC_jLi1ELin1ELi4ELi512ELi2EEEvNS0_6detail10TensorInfoIT0_T2_EENSG_IT1_SI_EESI_T_
; %bb.0:
	s_load_dword s2, s[4:5], 0x1e4
	s_load_dword s33, s[4:5], 0x1b0
	s_add_u32 s0, s4, 0x1d8
	s_addc_u32 s1, s5, 0
	s_waitcnt lgkmcnt(0)
	s_and_b32 s2, s2, 0xffff
	s_mul_i32 s6, s6, s2
	v_add_u32_e32 v5, s6, v0
	v_lshlrev_b32_e32 v24, 2, v5
	v_cmp_gt_u32_e32 vcc, s33, v24
	s_and_saveexec_b64 s[6:7], vcc
	s_cbranch_execz .LBB112_65
; %bb.1:
	s_load_dword s3, s[0:1], 0x0
	s_load_dwordx4 s[12:15], s[4:5], 0x1b8
	s_load_dword s8, s[4:5], 0x1a8
	s_load_dwordx2 s[10:11], s[4:5], 0x0
	s_load_dword s60, s[4:5], 0x6c
	s_waitcnt lgkmcnt(0)
	s_mul_i32 s9, s3, s2
	s_load_dwordx2 s[16:17], s[4:5], 0x1c8
	s_load_dword s2, s[4:5], 0x1d0
	s_add_u32 s6, s4, 0xd8
	s_addc_u32 s7, s5, 0
	s_cmp_gt_i32 s8, 1
	s_mov_b32 s62, 0xcd9e8d57
	s_cselect_b64 s[0:1], -1, 0
	s_waitcnt lgkmcnt(0)
	s_bitcmp1_b32 s2, 0
	v_mad_u64_u32 v[0:1], s[2:3], v5, s62, 0
	s_cselect_b64 s[22:23], -1, 0
	s_add_i32 s2, s8, -1
	s_mov_b32 s3, 0
	s_load_dword s61, s[4:5], 0x144
	s_load_dwordx2 s[18:19], s[4:5], 0xd8
	s_lshl_b32 s63, s9, 2
	s_add_i32 s64, s8, 1
	s_lshl_b64 s[2:3], s[2:3], 2
	s_add_u32 s2, s2, s6
	s_addc_u32 s3, s3, s7
	v_mov_b32_e32 v4, v1
	s_add_u32 s24, s2, 8
	v_cndmask_b32_e64 v1, 0, 1, s[0:1]
	v_mov_b32_e32 v3, 0
	s_addc_u32 s25, s3, 0
	s_mov_b64 s[26:27], 0
	s_mov_b32 s65, 0xd2511f53
	v_cmp_ne_u32_e64 s[0:1], 1, v1
	s_mov_b32 s66, 0xf1bbcdc8
                                        ; implicit-def: $sgpr28_sgpr29
                                        ; implicit-def: $sgpr30_sgpr31
                                        ; implicit-def: $sgpr34_sgpr35
                                        ; implicit-def: $sgpr20_sgpr21
                                        ; implicit-def: $sgpr36_sgpr37
                                        ; implicit-def: $sgpr38_sgpr39
                                        ; implicit-def: $sgpr40_sgpr41
                                        ; implicit-def: $sgpr42_sgpr43
	s_branch .LBB112_3
.LBB112_2:                              ;   in Loop: Header=BB112_3 Depth=1
	s_or_b64 exec, exec, s[4:5]
	s_and_b64 s[2:3], exec, s[2:3]
	s_or_b64 s[26:27], s[2:3], s[26:27]
	s_andn2_b64 s[2:3], s[20:21], exec
	s_and_b64 s[4:5], s[42:43], exec
	s_or_b64 s[20:21], s[2:3], s[4:5]
	s_andn2_b64 s[2:3], s[34:35], exec
	s_and_b64 s[4:5], s[40:41], exec
	;; [unrolled: 3-line block ×4, first 2 shown]
	s_or_b64 s[28:29], s[2:3], s[4:5]
	s_andn2_b64 exec, exec, s[26:27]
	s_cbranch_execz .LBB112_61
.LBB112_3:                              ; =>This Loop Header: Depth=1
                                        ;     Child Loop BB112_6 Depth 2
                                        ;     Child Loop BB112_11 Depth 2
	;; [unrolled: 1-line block ×4, first 2 shown]
	v_sub_u32_e32 v25, s33, v24
	v_cmp_lt_i32_e64 s[2:3], 0, v25
	s_waitcnt vmcnt(3)
	v_mov_b32_e32 v2, 0
	s_and_saveexec_b64 s[4:5], s[2:3]
	s_cbranch_execz .LBB112_8
; %bb.4:                                ;   in Loop: Header=BB112_3 Depth=1
	s_and_b64 vcc, exec, s[0:1]
	v_mov_b32_e32 v6, 0
	v_mov_b32_e32 v1, v24
	s_cbranch_vccnz .LBB112_7
; %bb.5:                                ;   in Loop: Header=BB112_3 Depth=1
	v_mov_b32_e32 v6, 0
	s_mov_b64 s[6:7], s[24:25]
	s_mov_b32 s8, s64
	v_mov_b32_e32 v1, v24
.LBB112_6:                              ;   Parent Loop BB112_3 Depth=1
                                        ; =>  This Inner Loop Header: Depth=2
	s_load_dword s9, s[6:7], 0x0
	s_load_dword s44, s[6:7], 0x64
	v_mov_b32_e32 v2, v1
	s_add_i32 s8, s8, -1
	s_waitcnt lgkmcnt(0)
	v_cvt_f32_u32_e32 v1, s9
	s_sub_i32 s45, 0, s9
	s_add_u32 s6, s6, -4
	s_addc_u32 s7, s7, -1
	v_rcp_iflag_f32_e32 v1, v1
	s_cmp_gt_u32 s8, 2
	v_mul_f32_e32 v1, 0x4f7ffffe, v1
	v_cvt_u32_f32_e32 v1, v1
	v_mul_lo_u32 v7, s45, v1
	v_mul_hi_u32 v7, v1, v7
	v_add_u32_e32 v1, v1, v7
	v_mul_hi_u32 v1, v2, v1
	v_mul_lo_u32 v7, v1, s9
	v_sub_u32_e32 v7, v2, v7
	v_add_u32_e32 v8, 1, v1
	v_cmp_le_u32_e32 vcc, s9, v7
	v_cndmask_b32_e32 v1, v1, v8, vcc
	v_subrev_u32_e32 v8, s9, v7
	v_cndmask_b32_e32 v7, v7, v8, vcc
	v_add_u32_e32 v8, 1, v1
	v_cmp_le_u32_e32 vcc, s9, v7
	v_cndmask_b32_e32 v1, v1, v8, vcc
	v_mul_lo_u32 v7, v1, s9
	v_sub_u32_e32 v2, v2, v7
	v_mad_u64_u32 v[6:7], s[44:45], s44, v2, v[6:7]
	s_cbranch_scc1 .LBB112_6
.LBB112_7:                              ;   in Loop: Header=BB112_3 Depth=1
	s_waitcnt lgkmcnt(0)
	v_mad_u64_u32 v[6:7], s[6:7], s61, v1, v[6:7]
	v_mov_b32_e32 v2, v6
.LBB112_8:                              ;   in Loop: Header=BB112_3 Depth=1
	s_or_b64 exec, exec, s[4:5]
	v_cmp_lt_i32_e64 s[4:5], 1, v25
	v_pk_mov_b32 v[6:7], 0, 0
	s_and_saveexec_b64 s[6:7], s[4:5]
	s_cbranch_execz .LBB112_13
; %bb.9:                                ;   in Loop: Header=BB112_3 Depth=1
	v_or_b32_e32 v1, 1, v24
	s_and_b64 vcc, exec, s[0:1]
	v_mov_b32_e32 v6, 0
	s_cbranch_vccnz .LBB112_12
; %bb.10:                               ;   in Loop: Header=BB112_3 Depth=1
	v_mov_b32_e32 v6, 0
	s_mov_b64 s[8:9], s[24:25]
	s_mov_b32 s44, s64
.LBB112_11:                             ;   Parent Loop BB112_3 Depth=1
                                        ; =>  This Inner Loop Header: Depth=2
	s_load_dword s45, s[8:9], 0x0
	s_load_dword s46, s[8:9], 0x64
	v_mov_b32_e32 v7, v1
	s_add_i32 s44, s44, -1
	s_waitcnt lgkmcnt(0)
	v_cvt_f32_u32_e32 v1, s45
	s_sub_i32 s47, 0, s45
	s_add_u32 s8, s8, -4
	s_addc_u32 s9, s9, -1
	v_rcp_iflag_f32_e32 v1, v1
	s_cmp_gt_u32 s44, 2
	v_mul_f32_e32 v1, 0x4f7ffffe, v1
	v_cvt_u32_f32_e32 v1, v1
	v_mul_lo_u32 v8, s47, v1
	v_mul_hi_u32 v8, v1, v8
	v_add_u32_e32 v1, v1, v8
	v_mul_hi_u32 v1, v7, v1
	v_mul_lo_u32 v8, v1, s45
	v_sub_u32_e32 v8, v7, v8
	v_add_u32_e32 v9, 1, v1
	v_cmp_le_u32_e32 vcc, s45, v8
	v_cndmask_b32_e32 v1, v1, v9, vcc
	v_subrev_u32_e32 v9, s45, v8
	v_cndmask_b32_e32 v8, v8, v9, vcc
	v_add_u32_e32 v9, 1, v1
	v_cmp_le_u32_e32 vcc, s45, v8
	v_cndmask_b32_e32 v1, v1, v9, vcc
	v_mul_lo_u32 v8, v1, s45
	v_sub_u32_e32 v7, v7, v8
	v_mad_u64_u32 v[6:7], s[46:47], s46, v7, v[6:7]
	s_cbranch_scc1 .LBB112_11
.LBB112_12:                             ;   in Loop: Header=BB112_3 Depth=1
	s_waitcnt lgkmcnt(0)
	v_mad_u64_u32 v[6:7], s[8:9], s61, v1, v[6:7]
	v_mov_b32_e32 v7, v3
.LBB112_13:                             ;   in Loop: Header=BB112_3 Depth=1
	s_or_b64 exec, exec, s[6:7]
	v_cmp_lt_i32_e64 s[6:7], 2, v25
	v_pk_mov_b32 v[10:11], 0, 0
	s_and_saveexec_b64 s[8:9], s[6:7]
	s_cbranch_execz .LBB112_18
; %bb.14:                               ;   in Loop: Header=BB112_3 Depth=1
	v_or_b32_e32 v1, 2, v24
	s_and_b64 vcc, exec, s[0:1]
	v_mov_b32_e32 v8, 0
	s_cbranch_vccnz .LBB112_17
; %bb.15:                               ;   in Loop: Header=BB112_3 Depth=1
	v_mov_b32_e32 v8, 0
	s_mov_b64 s[44:45], s[24:25]
	s_mov_b32 s46, s64
.LBB112_16:                             ;   Parent Loop BB112_3 Depth=1
                                        ; =>  This Inner Loop Header: Depth=2
	s_load_dword s47, s[44:45], 0x0
	s_load_dword s48, s[44:45], 0x64
	v_mov_b32_e32 v9, v1
	s_add_i32 s46, s46, -1
	s_waitcnt lgkmcnt(0)
	v_cvt_f32_u32_e32 v1, s47
	s_sub_i32 s49, 0, s47
	s_add_u32 s44, s44, -4
	s_addc_u32 s45, s45, -1
	v_rcp_iflag_f32_e32 v1, v1
	s_cmp_gt_u32 s46, 2
	v_mul_f32_e32 v1, 0x4f7ffffe, v1
	v_cvt_u32_f32_e32 v1, v1
	v_mul_lo_u32 v10, s49, v1
	v_mul_hi_u32 v10, v1, v10
	v_add_u32_e32 v1, v1, v10
	v_mul_hi_u32 v1, v9, v1
	v_mul_lo_u32 v10, v1, s47
	v_sub_u32_e32 v10, v9, v10
	v_add_u32_e32 v11, 1, v1
	v_cmp_le_u32_e32 vcc, s47, v10
	v_cndmask_b32_e32 v1, v1, v11, vcc
	v_subrev_u32_e32 v11, s47, v10
	v_cndmask_b32_e32 v10, v10, v11, vcc
	v_add_u32_e32 v11, 1, v1
	v_cmp_le_u32_e32 vcc, s47, v10
	v_cndmask_b32_e32 v1, v1, v11, vcc
	v_mul_lo_u32 v10, v1, s47
	v_sub_u32_e32 v9, v9, v10
	v_mad_u64_u32 v[8:9], s[48:49], s48, v9, v[8:9]
	s_cbranch_scc1 .LBB112_16
.LBB112_17:                             ;   in Loop: Header=BB112_3 Depth=1
	s_waitcnt lgkmcnt(0)
	v_mad_u64_u32 v[10:11], s[44:45], s61, v1, v[8:9]
	v_mov_b32_e32 v11, v3
.LBB112_18:                             ;   in Loop: Header=BB112_3 Depth=1
	s_or_b64 exec, exec, s[8:9]
	v_mul_lo_u32 v1, v24, s60
	v_add_u32_e32 v26, s60, v1
	v_pk_mov_b32 v[12:13], 0, 0
	v_add_u32_e32 v27, s60, v26
	v_cmp_lt_i32_e32 vcc, 3, v25
	v_pk_mov_b32 v[8:9], v[12:13], v[12:13] op_sel:[0,1]
	s_and_saveexec_b64 s[8:9], vcc
	s_cbranch_execz .LBB112_23
; %bb.19:                               ;   in Loop: Header=BB112_3 Depth=1
	v_or_b32_e32 v14, 3, v24
	s_and_b64 vcc, exec, s[0:1]
	v_mov_b32_e32 v12, 0
	s_cbranch_vccnz .LBB112_22
; %bb.20:                               ;   in Loop: Header=BB112_3 Depth=1
	v_mov_b32_e32 v12, 0
	s_mov_b64 s[44:45], s[24:25]
	s_mov_b32 s46, s64
.LBB112_21:                             ;   Parent Loop BB112_3 Depth=1
                                        ; =>  This Inner Loop Header: Depth=2
	s_load_dword s47, s[44:45], 0x0
	s_load_dword s48, s[44:45], 0x64
	v_mov_b32_e32 v8, v14
	s_add_i32 s46, s46, -1
	s_waitcnt lgkmcnt(0)
	v_cvt_f32_u32_e32 v9, s47
	s_sub_i32 s49, 0, s47
	s_add_u32 s44, s44, -4
	s_addc_u32 s45, s45, -1
	v_rcp_iflag_f32_e32 v9, v9
	s_cmp_gt_u32 s46, 2
	v_mul_f32_e32 v9, 0x4f7ffffe, v9
	v_cvt_u32_f32_e32 v9, v9
	v_mul_lo_u32 v13, s49, v9
	v_mul_hi_u32 v13, v9, v13
	v_add_u32_e32 v9, v9, v13
	v_mul_hi_u32 v9, v8, v9
	v_mul_lo_u32 v13, v9, s47
	v_sub_u32_e32 v13, v8, v13
	v_add_u32_e32 v14, 1, v9
	v_cmp_le_u32_e32 vcc, s47, v13
	v_cndmask_b32_e32 v9, v9, v14, vcc
	v_subrev_u32_e32 v14, s47, v13
	v_cndmask_b32_e32 v13, v13, v14, vcc
	v_add_u32_e32 v14, 1, v9
	v_cmp_le_u32_e32 vcc, s47, v13
	v_cndmask_b32_e32 v14, v9, v14, vcc
	v_mul_lo_u32 v9, v14, s47
	v_sub_u32_e32 v8, v8, v9
	v_mad_u64_u32 v[12:13], s[48:49], s48, v8, v[12:13]
	s_cbranch_scc1 .LBB112_21
.LBB112_22:                             ;   in Loop: Header=BB112_3 Depth=1
	s_waitcnt lgkmcnt(0)
	v_mad_u64_u32 v[12:13], s[44:45], s61, v14, v[12:13]
	v_add_u32_e32 v8, s60, v27
	v_mov_b32_e32 v9, v3
	v_mov_b32_e32 v13, v3
.LBB112_23:                             ;   in Loop: Header=BB112_3 Depth=1
	s_or_b64 exec, exec, s[8:9]
	v_lshlrev_b64 v[14:15], 2, v[2:3]
	s_waitcnt lgkmcnt(0)
	v_mov_b32_e32 v2, s19
	v_add_co_u32_e32 v14, vcc, s18, v14
	v_addc_co_u32_e32 v15, vcc, v2, v15, vcc
	v_lshlrev_b64 v[6:7], 2, v[6:7]
	v_add_co_u32_e32 v6, vcc, s18, v6
	v_addc_co_u32_e32 v7, vcc, v2, v7, vcc
	v_lshlrev_b64 v[10:11], 2, v[10:11]
	;; [unrolled: 3-line block ×3, first 2 shown]
	v_add_co_u32_e32 v12, vcc, s18, v12
	v_addc_co_u32_e32 v13, vcc, v2, v13, vcc
	global_load_dword v2, v[14:15], off
	global_load_dword v28, v[6:7], off
	global_load_dword v29, v[10:11], off
	global_load_dword v30, v[12:13], off
	s_andn2_b64 vcc, exec, s[22:23]
	v_pk_mov_b32 v[6:7], s[14:15], s[14:15] op_sel:[0,1]
	v_pk_mov_b32 v[10:11], s[12:13], s[12:13] op_sel:[0,1]
	s_cbranch_vccnz .LBB112_25
; %bb.24:                               ;   in Loop: Header=BB112_3 Depth=1
	v_pk_mov_b32 v[6:7], s[14:15], s[14:15] op_sel:[0,1]
	flat_load_dwordx2 v[6:7], v[6:7]
	v_pk_mov_b32 v[10:11], s[12:13], s[12:13] op_sel:[0,1]
	flat_load_dwordx2 v[10:11], v[10:11]
	v_mov_b32_e32 v12, s17
	s_waitcnt vmcnt(0) lgkmcnt(0)
	v_add_co_u32_e32 v6, vcc, s16, v6
	v_addc_co_u32_e32 v7, vcc, v7, v12, vcc
.LBB112_25:                             ;   in Loop: Header=BB112_3 Depth=1
	v_alignbit_b32 v20, v7, v6, 2
	v_lshrrev_b32_e32 v21, 2, v7
	v_xor_b32_e32 v12, v4, v10
	v_and_b32_e32 v31, 3, v6
	v_mad_u64_u32 v[6:7], s[8:9], v20, s65, 0
	v_xor_b32_e32 v12, v12, v21
	v_xor_b32_e32 v7, v7, v11
	v_add_u32_e32 v36, 0xbb67ae85, v11
	v_mad_u64_u32 v[12:13], s[8:9], v12, s65, 0
	v_mad_u64_u32 v[14:15], s[8:9], v7, s62, 0
	v_xor_b32_e32 v13, v36, v13
	v_add_u32_e32 v35, 0x9e3779b9, v10
	v_xor_b32_e32 v7, v0, v15
	v_xor_b32_e32 v13, v13, v6
	v_xor_b32_e32 v7, v7, v35
	v_add_u32_e32 v37, 0x3c6ef372, v10
	v_mad_u64_u32 v[16:17], s[8:9], v13, s62, 0
	v_add_u32_e32 v38, 0x76cf5d0a, v11
	v_mad_u64_u32 v[6:7], s[8:9], v7, s65, 0
	v_xor_b32_e32 v13, v37, v17
	v_xor_b32_e32 v13, v13, v14
	v_xor_b32_e32 v7, v38, v7
	v_xor_b32_e32 v7, v7, v12
	v_add_u32_e32 v40, 0x32370b8f, v11
	v_mad_u64_u32 v[12:13], s[8:9], v13, s65, 0
	v_add_u32_e32 v39, 0xdaa66d2b, v10
	v_mad_u64_u32 v[14:15], s[8:9], v7, s62, 0
	v_xor_b32_e32 v13, v40, v13
	;; [unrolled: 8-line block ×5, first 2 shown]
	v_xor_b32_e32 v13, v13, v14
	v_xor_b32_e32 v7, v46, v7
	;; [unrolled: 1-line block ×3, first 2 shown]
	v_add_u32_e32 v48, 0x1fd5c5a3, v11
	v_mad_u64_u32 v[12:13], s[8:9], v13, s65, 0
	v_xor_b32_e32 v13, v48, v13
	v_xor_b32_e32 v6, v13, v6
	v_add_u32_e32 v47, 0x5384540f, v10
	v_mad_u64_u32 v[18:19], s[8:9], v7, s62, 0
	v_add_co_u32_e32 v33, vcc, s66, v10
	v_mad_u64_u32 v[14:15], s[8:9], v6, s62, 0
	v_xor_b32_e32 v7, v47, v19
	v_xor_b32_e32 v6, v33, v15
	;; [unrolled: 1-line block ×4, first 2 shown]
	v_mad_u64_u32 v[16:17], s[8:9], v7, s65, 0
	v_mad_u64_u32 v[6:7], s[8:9], v6, s65, 0
	v_add_u32_e32 v34, 0x96a522ad, v11
	v_xor_b32_e32 v7, v7, v16
	v_xor_b32_e32 v32, v34, v7
	v_add_co_u32_e32 v7, vcc, 1, v20
	v_cndmask_b32_e64 v16, 0, 1, vcc
	v_addc_co_u32_e32 v22, vcc, 0, v21, vcc
	v_cmp_eq_u32_e32 vcc, 0, v22
	v_cndmask_b32_e32 v16, 0, v16, vcc
	v_add_u32_e32 v20, v16, v5
	v_cmp_eq_u32_e32 vcc, 0, v20
	v_mad_u64_u32 v[18:19], s[8:9], v7, s65, 0
	v_mad_u64_u32 v[20:21], s[8:9], v20, s62, 0
	v_add_u32_e32 v15, 0x8ff34781, v10
	v_cndmask_b32_e32 v16, 0, v16, vcc
	v_xor_b32_e32 v7, v21, v10
	v_xor_b32_e32 v10, v19, v11
	;; [unrolled: 1-line block ×4, first 2 shown]
	v_mad_u64_u32 v[22:23], s[8:9], v16, s62, 0
	v_add_u32_e32 v13, 0xdb3d7428, v11
	v_mad_u64_u32 v[10:11], s[8:9], v7, s65, 0
	v_xor_b32_e32 v7, v35, v23
	v_xor_b32_e32 v7, v7, v20
	v_xor_b32_e32 v11, v36, v11
	v_xor_b32_e32 v11, v11, v18
	v_mad_u64_u32 v[18:19], s[8:9], v7, s65, 0
	v_mad_u64_u32 v[20:21], s[8:9], v11, s62, 0
	v_xor_b32_e32 v11, v38, v19
	v_xor_b32_e32 v7, v37, v21
	v_xor_b32_e32 v16, v11, v10
	v_xor_b32_e32 v7, v7, v22
	v_mad_u64_u32 v[22:23], s[8:9], v16, s62, 0
	;; [unrolled: 6-line block ×7, first 2 shown]
	v_xor_b32_e32 v7, v13, v21
	v_xor_b32_e32 v7, v7, v10
	v_mad_u64_u32 v[22:23], s[8:9], v11, s62, 0
	v_mad_u64_u32 v[10:11], s[8:9], v7, s62, 0
	v_xor_b32_e32 v7, v11, v22
	v_xor_b32_e32 v7, v15, v7
	v_cmp_lt_i32_e32 vcc, 1, v31
                                        ; implicit-def: $vgpr19
	s_and_saveexec_b64 s[8:9], vcc
	s_xor_b64 s[8:9], exec, s[8:9]
	s_cbranch_execz .LBB112_31
; %bb.26:                               ;   in Loop: Header=BB112_3 Depth=1
	v_cmp_lt_i32_e32 vcc, 2, v31
                                        ; implicit-def: $vgpr19
	s_and_saveexec_b64 s[44:45], vcc
	s_xor_b64 s[44:45], exec, s[44:45]
; %bb.27:                               ;   in Loop: Header=BB112_3 Depth=1
	v_xor_b32_e32 v11, v33, v23
	v_xor_b32_e32 v11, v11, v18
	v_mul_hi_u32 v11, v11, s65
	v_xor_b32_e32 v11, v11, v20
	v_xor_b32_e32 v19, v34, v11
                                        ; implicit-def: $vgpr32
; %bb.28:                               ;   in Loop: Header=BB112_3 Depth=1
	s_andn2_saveexec_b64 s[44:45], s[44:45]
; %bb.29:                               ;   in Loop: Header=BB112_3 Depth=1
	v_mov_b32_e32 v19, v10
	v_mov_b32_e32 v10, v7
	;; [unrolled: 1-line block ×4, first 2 shown]
; %bb.30:                               ;   in Loop: Header=BB112_3 Depth=1
	s_or_b64 exec, exec, s[44:45]
                                        ; implicit-def: $vgpr12_vgpr13
                                        ; implicit-def: $vgpr14_vgpr15
                                        ; implicit-def: $vgpr31
                                        ; implicit-def: $vgpr32
                                        ; implicit-def: $vgpr16_vgpr17
                                        ; implicit-def: $vgpr13
                                        ; implicit-def: $vgpr15
.LBB112_31:                             ;   in Loop: Header=BB112_3 Depth=1
	s_andn2_saveexec_b64 s[8:9], s[8:9]
	s_cbranch_execz .LBB112_35
; %bb.32:                               ;   in Loop: Header=BB112_3 Depth=1
	v_xor_b32_e32 v10, v13, v17
	v_xor_b32_e32 v10, v10, v12
	v_mad_u64_u32 v[12:13], s[44:45], v10, s62, 0
	v_xor_b32_e32 v10, v13, v14
	v_xor_b32_e32 v11, v15, v10
	v_cmp_eq_u32_e32 vcc, 1, v31
	v_mov_b32_e32 v19, v6
	v_mov_b32_e32 v10, v32
	;; [unrolled: 1-line block ×3, first 2 shown]
	s_and_saveexec_b64 s[44:45], vcc
; %bb.33:                               ;   in Loop: Header=BB112_3 Depth=1
	v_mov_b32_e32 v19, v7
	v_mov_b32_e32 v10, v6
	;; [unrolled: 1-line block ×4, first 2 shown]
; %bb.34:                               ;   in Loop: Header=BB112_3 Depth=1
	s_or_b64 exec, exec, s[44:45]
	v_mov_b32_e32 v6, v11
	v_mov_b32_e32 v7, v13
.LBB112_35:                             ;   in Loop: Header=BB112_3 Depth=1
	s_or_b64 exec, exec, s[8:9]
	v_min_i32_e32 v11, 4, v25
	v_cmp_lt_i32_e32 vcc, 2, v11
	s_mov_b64 s[44:45], 0
	s_mov_b64 s[54:55], 0
	;; [unrolled: 1-line block ×3, first 2 shown]
                                        ; implicit-def: $sgpr46_sgpr47
                                        ; implicit-def: $sgpr48_sgpr49
                                        ; implicit-def: $sgpr50_sgpr51
	s_and_saveexec_b64 s[52:53], vcc
	s_xor_b64 s[52:53], exec, s[52:53]
	s_cbranch_execz .LBB112_47
; %bb.36:                               ;   in Loop: Header=BB112_3 Depth=1
	v_cmp_lt_i32_e32 vcc, 3, v11
	s_mov_b64 s[8:9], -1
	s_mov_b64 s[58:59], 0
                                        ; implicit-def: $sgpr46_sgpr47
                                        ; implicit-def: $sgpr56_sgpr57
	s_and_saveexec_b64 s[48:49], vcc
	s_cbranch_execz .LBB112_42
; %bb.37:                               ;   in Loop: Header=BB112_3 Depth=1
	v_cmp_eq_u32_e32 vcc, 4, v11
	s_mov_b64 s[8:9], 0
	s_mov_b64 s[58:59], -1
                                        ; implicit-def: $sgpr46_sgpr47
                                        ; implicit-def: $sgpr56_sgpr57
	s_and_saveexec_b64 s[50:51], vcc
	s_cbranch_execz .LBB112_41
; %bb.38:                               ;   in Loop: Header=BB112_3 Depth=1
	s_waitcnt vmcnt(0)
	v_cmp_le_f32_e32 vcc, 0, v30
	v_cmp_ge_f32_e64 s[8:9], 1.0, v30
	s_and_b64 s[58:59], vcc, s[8:9]
	s_mov_b64 s[46:47], 0
	s_mov_b64 s[8:9], 0
	s_and_saveexec_b64 s[56:57], s[58:59]
	s_cbranch_execz .LBB112_40
; %bb.39:                               ;   in Loop: Header=BB112_3 Depth=1
	v_cvt_f32_u32_e32 v12, v19
	v_mov_b32_e32 v13, 0x2f800000
	v_mov_b32_e32 v14, s11
	v_add_co_u32_e32 v8, vcc, s10, v8
	v_fmac_f32_e32 v13, 0x2f800000, v12
	v_addc_co_u32_e32 v9, vcc, v14, v9, vcc
	v_cmp_le_f32_e32 vcc, v13, v30
	s_mov_b64 s[8:9], exec
	v_cndmask_b32_e64 v12, 0, 1, vcc
	global_store_byte v[8:9], v12, off
.LBB112_40:                             ;   in Loop: Header=BB112_3 Depth=1
	s_or_b64 exec, exec, s[56:57]
	s_mov_b64 s[56:57], -1
	s_xor_b64 s[58:59], exec, -1
	s_and_b64 s[8:9], s[8:9], exec
.LBB112_41:                             ;   in Loop: Header=BB112_3 Depth=1
	s_or_b64 exec, exec, s[50:51]
	s_and_b64 s[58:59], s[58:59], exec
	s_orn2_b64 s[8:9], s[8:9], exec
.LBB112_42:                             ;   in Loop: Header=BB112_3 Depth=1
	s_or_b64 exec, exec, s[48:49]
	s_mov_b64 s[50:51], s[46:47]
	s_and_saveexec_b64 s[48:49], s[8:9]
	s_cbranch_execz .LBB112_46
; %bb.43:                               ;   in Loop: Header=BB112_3 Depth=1
	s_waitcnt vmcnt(1)
	v_cmp_le_f32_e32 vcc, 0, v29
	v_cmp_ge_f32_e64 s[8:9], 1.0, v29
	s_and_b64 s[50:51], vcc, s[8:9]
	s_mov_b64 s[8:9], 0
	s_and_saveexec_b64 s[54:55], s[50:51]
	s_xor_b64 s[50:51], exec, s[54:55]
	s_cbranch_execz .LBB112_45
; %bb.44:                               ;   in Loop: Header=BB112_3 Depth=1
	v_cvt_f32_u32_e32 v8, v10
	v_mov_b32_e32 v9, 0x2f800000
	v_cndmask_b32_e64 v10, 0, v27, s[6:7]
	s_mov_b64 s[8:9], exec
	v_fmac_f32_e32 v9, 0x2f800000, v8
	v_cmp_le_f32_e32 vcc, v9, v29
	v_cndmask_b32_e64 v8, 0, 1, vcc
	global_store_byte v10, v8, s[10:11]
.LBB112_45:                             ;   in Loop: Header=BB112_3 Depth=1
	s_or_b64 exec, exec, s[50:51]
	s_andn2_b64 s[50:51], s[46:47], exec
	s_or_b64 s[46:47], s[46:47], exec
	s_andn2_b64 s[56:57], s[56:57], exec
	s_and_b64 s[54:55], s[8:9], exec
.LBB112_46:                             ;   in Loop: Header=BB112_3 Depth=1
	s_or_b64 exec, exec, s[48:49]
	s_and_b64 s[50:51], s[50:51], exec
	s_and_b64 s[48:49], s[46:47], exec
	;; [unrolled: 1-line block ×5, first 2 shown]
.LBB112_47:                             ;   in Loop: Header=BB112_3 Depth=1
	s_andn2_saveexec_b64 s[6:7], s[52:53]
; %bb.48:                               ;   in Loop: Header=BB112_3 Depth=1
	v_cmp_lt_i32_e32 vcc, 1, v11
	s_andn2_b64 s[52:53], s[54:55], exec
	s_and_b64 s[54:55], vcc, exec
	s_mov_b64 s[44:45], exec
	s_andn2_b64 s[50:51], s[50:51], exec
	s_andn2_b64 s[48:49], s[48:49], exec
	;; [unrolled: 1-line block ×3, first 2 shown]
	s_or_b64 s[54:55], s[52:53], s[54:55]
; %bb.49:                               ;   in Loop: Header=BB112_3 Depth=1
	s_or_b64 exec, exec, s[6:7]
	s_mov_b64 s[52:53], 0
	s_mov_b64 s[6:7], s[50:51]
	s_and_saveexec_b64 s[56:57], s[54:55]
	s_cbranch_execnz .LBB112_52
; %bb.50:                               ;   in Loop: Header=BB112_3 Depth=1
	s_or_b64 exec, exec, s[56:57]
	s_and_saveexec_b64 s[4:5], s[44:45]
	s_cbranch_execnz .LBB112_55
.LBB112_51:                             ;   in Loop: Header=BB112_3 Depth=1
	s_or_b64 exec, exec, s[4:5]
	s_and_saveexec_b64 s[44:45], s[52:53]
	s_cbranch_execnz .LBB112_56
	s_branch .LBB112_59
.LBB112_52:                             ;   in Loop: Header=BB112_3 Depth=1
	s_waitcnt vmcnt(2)
	v_cmp_le_f32_e32 vcc, 0, v28
	v_cmp_ge_f32_e64 s[6:7], 1.0, v28
	s_and_b64 s[6:7], vcc, s[6:7]
	s_and_saveexec_b64 s[54:55], s[6:7]
	s_xor_b64 s[6:7], exec, s[54:55]
	s_cbranch_execz .LBB112_54
; %bb.53:                               ;   in Loop: Header=BB112_3 Depth=1
	v_cvt_f32_u32_e32 v7, v7
	v_mov_b32_e32 v8, 0x2f800000
	v_cndmask_b32_e64 v9, 0, v26, s[4:5]
	s_mov_b64 s[52:53], exec
	v_fmac_f32_e32 v8, 0x2f800000, v7
	v_cmp_le_f32_e32 vcc, v8, v28
	v_cndmask_b32_e64 v7, 0, 1, vcc
	global_store_byte v9, v7, s[10:11]
.LBB112_54:                             ;   in Loop: Header=BB112_3 Depth=1
	s_or_b64 exec, exec, s[6:7]
	s_andn2_b64 s[6:7], s[50:51], exec
	s_or_b64 s[50:51], s[50:51], exec
	s_andn2_b64 s[48:49], s[48:49], exec
	s_andn2_b64 s[46:47], s[46:47], exec
	s_and_b64 s[52:53], s[52:53], exec
	s_andn2_b64 s[44:45], s[44:45], exec
	s_or_b64 exec, exec, s[56:57]
	s_and_saveexec_b64 s[4:5], s[44:45]
	s_cbranch_execz .LBB112_51
.LBB112_55:                             ;   in Loop: Header=BB112_3 Depth=1
	v_cmp_eq_u32_e32 vcc, 1, v11
	s_andn2_b64 s[44:45], s[52:53], exec
	s_and_b64 s[52:53], vcc, exec
	s_andn2_b64 s[6:7], s[6:7], exec
	s_andn2_b64 s[50:51], s[50:51], exec
	;; [unrolled: 1-line block ×4, first 2 shown]
	s_or_b64 s[8:9], s[8:9], exec
	s_or_b64 s[52:53], s[44:45], s[52:53]
	s_or_b64 exec, exec, s[4:5]
	s_and_saveexec_b64 s[44:45], s[52:53]
	s_cbranch_execz .LBB112_59
.LBB112_56:                             ;   in Loop: Header=BB112_3 Depth=1
	s_waitcnt vmcnt(3)
	v_cmp_le_f32_e32 vcc, 0, v2
	v_cmp_ge_f32_e64 s[4:5], 1.0, v2
	s_and_b64 s[54:55], vcc, s[4:5]
	s_mov_b64 s[4:5], 0
	s_and_saveexec_b64 s[52:53], s[54:55]
	s_cbranch_execz .LBB112_58
; %bb.57:                               ;   in Loop: Header=BB112_3 Depth=1
	v_cvt_f32_u32_e32 v6, v6
	v_mov_b32_e32 v7, 0x2f800000
	s_mov_b64 s[4:5], exec
	v_cndmask_b32_e64 v1, 0, v1, s[2:3]
	v_fmac_f32_e32 v7, 0x2f800000, v6
	v_cmp_le_f32_e32 vcc, v7, v2
	v_cndmask_b32_e64 v2, 0, 1, vcc
	global_store_byte v1, v2, s[10:11]
.LBB112_58:                             ;   in Loop: Header=BB112_3 Depth=1
	s_or_b64 exec, exec, s[52:53]
	s_andn2_b64 s[2:3], s[8:9], exec
	s_and_b64 s[4:5], s[4:5], exec
	s_or_b64 s[6:7], s[6:7], exec
	s_andn2_b64 s[50:51], s[50:51], exec
	s_andn2_b64 s[48:49], s[48:49], exec
	;; [unrolled: 1-line block ×3, first 2 shown]
	s_or_b64 s[8:9], s[2:3], s[4:5]
.LBB112_59:                             ;   in Loop: Header=BB112_3 Depth=1
	s_or_b64 exec, exec, s[44:45]
	s_andn2_b64 s[4:5], s[42:43], exec
	s_and_b64 s[6:7], s[6:7], exec
	s_or_b64 s[42:43], s[4:5], s[6:7]
	s_andn2_b64 s[4:5], s[40:41], exec
	s_and_b64 s[6:7], s[50:51], exec
	s_or_b64 s[40:41], s[4:5], s[6:7]
	;; [unrolled: 3-line block ×3, first 2 shown]
	s_andn2_b64 s[4:5], s[36:37], exec
	s_and_b64 s[6:7], s[46:47], exec
	s_mov_b64 s[2:3], -1
	s_or_b64 s[36:37], s[4:5], s[6:7]
	s_and_saveexec_b64 s[4:5], s[8:9]
	s_cbranch_execz .LBB112_2
; %bb.60:                               ;   in Loop: Header=BB112_3 Depth=1
	v_add_u32_e32 v24, s63, v24
	v_cmp_le_u32_e32 vcc, s33, v24
	s_andn2_b64 s[42:43], s[42:43], exec
	s_andn2_b64 s[40:41], s[40:41], exec
	;; [unrolled: 1-line block ×4, first 2 shown]
	s_orn2_b64 s[2:3], vcc, exec
	s_branch .LBB112_2
.LBB112_61:
	s_or_b64 exec, exec, s[26:27]
	s_xor_b64 s[6:7], s[34:35], -1
	s_xor_b64 s[8:9], s[30:31], -1
	s_xor_b64 s[0:1], s[28:29], -1
	s_mov_b64 s[2:3], 0
	s_and_saveexec_b64 s[4:5], s[0:1]
	s_xor_b64 s[0:1], exec, s[4:5]
	s_cbranch_execnz .LBB112_66
; %bb.62:
	s_andn2_saveexec_b64 s[0:1], s[0:1]
	s_cbranch_execnz .LBB112_74
.LBB112_63:
	s_or_b64 exec, exec, s[0:1]
	s_and_b64 exec, exec, s[2:3]
.LBB112_64:
	; divergent unreachable
.LBB112_65:
	s_endpgm
.LBB112_66:
	s_mov_b64 s[4:5], 0
	s_and_saveexec_b64 s[2:3], s[8:9]
	s_xor_b64 s[2:3], exec, s[2:3]
	s_cbranch_execz .LBB112_72
; %bb.67:
	s_and_saveexec_b64 s[8:9], s[6:7]
	s_xor_b64 s[6:7], exec, s[8:9]
	s_cbranch_execz .LBB112_70
; %bb.68:
	s_and_saveexec_b64 s[8:9], s[20:21]
	s_xor_b64 s[8:9], exec, s[8:9]
	s_cbranch_execnz .LBB112_77
.LBB112_69:
	s_or_b64 exec, exec, s[8:9]
	s_and_b64 s[4:5], s[4:5], exec
.LBB112_70:
	s_andn2_saveexec_b64 s[6:7], s[6:7]
	s_cbranch_execnz .LBB112_76
.LBB112_71:
	s_or_b64 exec, exec, s[6:7]
	s_and_b64 s[4:5], s[4:5], exec
.LBB112_72:
	s_andn2_saveexec_b64 s[2:3], s[2:3]
	s_cbranch_execnz .LBB112_75
.LBB112_73:
	s_or_b64 exec, exec, s[2:3]
	s_and_b64 s[2:3], s[4:5], exec
	s_andn2_saveexec_b64 s[0:1], s[0:1]
	s_cbranch_execz .LBB112_63
.LBB112_74:
	s_or_b64 s[2:3], s[2:3], exec
	s_trap 2
	s_or_b64 exec, exec, s[0:1]
	s_and_b64 exec, exec, s[2:3]
	s_cbranch_execnz .LBB112_64
	s_branch .LBB112_65
.LBB112_75:
	s_or_b64 s[4:5], s[4:5], exec
	s_trap 2
	s_branch .LBB112_73
.LBB112_76:
	s_trap 2
	s_or_b64 s[4:5], s[4:5], exec
	s_branch .LBB112_71
.LBB112_77:
	s_mov_b64 s[4:5], exec
	s_trap 2
	s_branch .LBB112_69
	.section	.rodata,"a",@progbits
	.p2align	6, 0x0
	.amdhsa_kernel _ZN2at4cuda12_GLOBAL__N_121kernelPointwiseApply2IZNS_6native9templates4cuda28bernoulli_tensor_cuda_kernelIbfEEvRKNS_10TensorBaseES9_NS_15PhiloxCudaStateEEUliRbSB_SB_SB_RKfSD_SD_SD_E_bSC_jLi1ELin1ELi4ELi512ELi2EEEvNS0_6detail10TensorInfoIT0_T2_EENSG_IT1_SI_EESI_T_
		.amdhsa_group_segment_fixed_size 0
		.amdhsa_private_segment_fixed_size 0
		.amdhsa_kernarg_size 728
		.amdhsa_user_sgpr_count 6
		.amdhsa_user_sgpr_private_segment_buffer 1
		.amdhsa_user_sgpr_dispatch_ptr 0
		.amdhsa_user_sgpr_queue_ptr 0
		.amdhsa_user_sgpr_kernarg_segment_ptr 1
		.amdhsa_user_sgpr_dispatch_id 0
		.amdhsa_user_sgpr_flat_scratch_init 0
		.amdhsa_user_sgpr_kernarg_preload_length 0
		.amdhsa_user_sgpr_kernarg_preload_offset 0
		.amdhsa_user_sgpr_private_segment_size 0
		.amdhsa_uses_dynamic_stack 0
		.amdhsa_system_sgpr_private_segment_wavefront_offset 0
		.amdhsa_system_sgpr_workgroup_id_x 1
		.amdhsa_system_sgpr_workgroup_id_y 0
		.amdhsa_system_sgpr_workgroup_id_z 0
		.amdhsa_system_sgpr_workgroup_info 0
		.amdhsa_system_vgpr_workitem_id 0
		.amdhsa_next_free_vgpr 49
		.amdhsa_next_free_sgpr 67
		.amdhsa_accum_offset 52
		.amdhsa_reserve_vcc 1
		.amdhsa_reserve_flat_scratch 0
		.amdhsa_float_round_mode_32 0
		.amdhsa_float_round_mode_16_64 0
		.amdhsa_float_denorm_mode_32 3
		.amdhsa_float_denorm_mode_16_64 3
		.amdhsa_dx10_clamp 1
		.amdhsa_ieee_mode 1
		.amdhsa_fp16_overflow 0
		.amdhsa_tg_split 0
		.amdhsa_exception_fp_ieee_invalid_op 0
		.amdhsa_exception_fp_denorm_src 0
		.amdhsa_exception_fp_ieee_div_zero 0
		.amdhsa_exception_fp_ieee_overflow 0
		.amdhsa_exception_fp_ieee_underflow 0
		.amdhsa_exception_fp_ieee_inexact 0
		.amdhsa_exception_int_div_zero 0
	.end_amdhsa_kernel
	.section	.text._ZN2at4cuda12_GLOBAL__N_121kernelPointwiseApply2IZNS_6native9templates4cuda28bernoulli_tensor_cuda_kernelIbfEEvRKNS_10TensorBaseES9_NS_15PhiloxCudaStateEEUliRbSB_SB_SB_RKfSD_SD_SD_E_bSC_jLi1ELin1ELi4ELi512ELi2EEEvNS0_6detail10TensorInfoIT0_T2_EENSG_IT1_SI_EESI_T_,"axG",@progbits,_ZN2at4cuda12_GLOBAL__N_121kernelPointwiseApply2IZNS_6native9templates4cuda28bernoulli_tensor_cuda_kernelIbfEEvRKNS_10TensorBaseES9_NS_15PhiloxCudaStateEEUliRbSB_SB_SB_RKfSD_SD_SD_E_bSC_jLi1ELin1ELi4ELi512ELi2EEEvNS0_6detail10TensorInfoIT0_T2_EENSG_IT1_SI_EESI_T_,comdat
.Lfunc_end112:
	.size	_ZN2at4cuda12_GLOBAL__N_121kernelPointwiseApply2IZNS_6native9templates4cuda28bernoulli_tensor_cuda_kernelIbfEEvRKNS_10TensorBaseES9_NS_15PhiloxCudaStateEEUliRbSB_SB_SB_RKfSD_SD_SD_E_bSC_jLi1ELin1ELi4ELi512ELi2EEEvNS0_6detail10TensorInfoIT0_T2_EENSG_IT1_SI_EESI_T_, .Lfunc_end112-_ZN2at4cuda12_GLOBAL__N_121kernelPointwiseApply2IZNS_6native9templates4cuda28bernoulli_tensor_cuda_kernelIbfEEvRKNS_10TensorBaseES9_NS_15PhiloxCudaStateEEUliRbSB_SB_SB_RKfSD_SD_SD_E_bSC_jLi1ELin1ELi4ELi512ELi2EEEvNS0_6detail10TensorInfoIT0_T2_EENSG_IT1_SI_EESI_T_
                                        ; -- End function
	.section	.AMDGPU.csdata,"",@progbits
; Kernel info:
; codeLenInByte = 3424
; NumSgprs: 71
; NumVgprs: 49
; NumAgprs: 0
; TotalNumVgprs: 49
; ScratchSize: 0
; MemoryBound: 0
; FloatMode: 240
; IeeeMode: 1
; LDSByteSize: 0 bytes/workgroup (compile time only)
; SGPRBlocks: 8
; VGPRBlocks: 6
; NumSGPRsForWavesPerEU: 71
; NumVGPRsForWavesPerEU: 49
; AccumOffset: 52
; Occupancy: 8
; WaveLimiterHint : 1
; COMPUTE_PGM_RSRC2:SCRATCH_EN: 0
; COMPUTE_PGM_RSRC2:USER_SGPR: 6
; COMPUTE_PGM_RSRC2:TRAP_HANDLER: 0
; COMPUTE_PGM_RSRC2:TGID_X_EN: 1
; COMPUTE_PGM_RSRC2:TGID_Y_EN: 0
; COMPUTE_PGM_RSRC2:TGID_Z_EN: 0
; COMPUTE_PGM_RSRC2:TIDIG_COMP_CNT: 0
; COMPUTE_PGM_RSRC3_GFX90A:ACCUM_OFFSET: 12
; COMPUTE_PGM_RSRC3_GFX90A:TG_SPLIT: 0
	.section	.text._ZN2at4cuda12_GLOBAL__N_121kernelPointwiseApply2IZNS_6native9templates4cuda28bernoulli_tensor_cuda_kernelIbfEEvRKNS_10TensorBaseES9_NS_15PhiloxCudaStateEEUliRbSB_SB_SB_RKfSD_SD_SD_E_bSC_jLi2ELi1ELi4ELi512ELi2EEEvNS0_6detail10TensorInfoIT0_T2_EENSG_IT1_SI_EESI_T_,"axG",@progbits,_ZN2at4cuda12_GLOBAL__N_121kernelPointwiseApply2IZNS_6native9templates4cuda28bernoulli_tensor_cuda_kernelIbfEEvRKNS_10TensorBaseES9_NS_15PhiloxCudaStateEEUliRbSB_SB_SB_RKfSD_SD_SD_E_bSC_jLi2ELi1ELi4ELi512ELi2EEEvNS0_6detail10TensorInfoIT0_T2_EENSG_IT1_SI_EESI_T_,comdat
	.globl	_ZN2at4cuda12_GLOBAL__N_121kernelPointwiseApply2IZNS_6native9templates4cuda28bernoulli_tensor_cuda_kernelIbfEEvRKNS_10TensorBaseES9_NS_15PhiloxCudaStateEEUliRbSB_SB_SB_RKfSD_SD_SD_E_bSC_jLi2ELi1ELi4ELi512ELi2EEEvNS0_6detail10TensorInfoIT0_T2_EENSG_IT1_SI_EESI_T_ ; -- Begin function _ZN2at4cuda12_GLOBAL__N_121kernelPointwiseApply2IZNS_6native9templates4cuda28bernoulli_tensor_cuda_kernelIbfEEvRKNS_10TensorBaseES9_NS_15PhiloxCudaStateEEUliRbSB_SB_SB_RKfSD_SD_SD_E_bSC_jLi2ELi1ELi4ELi512ELi2EEEvNS0_6detail10TensorInfoIT0_T2_EENSG_IT1_SI_EESI_T_
	.p2align	8
	.type	_ZN2at4cuda12_GLOBAL__N_121kernelPointwiseApply2IZNS_6native9templates4cuda28bernoulli_tensor_cuda_kernelIbfEEvRKNS_10TensorBaseES9_NS_15PhiloxCudaStateEEUliRbSB_SB_SB_RKfSD_SD_SD_E_bSC_jLi2ELi1ELi4ELi512ELi2EEEvNS0_6detail10TensorInfoIT0_T2_EENSG_IT1_SI_EESI_T_,@function
_ZN2at4cuda12_GLOBAL__N_121kernelPointwiseApply2IZNS_6native9templates4cuda28bernoulli_tensor_cuda_kernelIbfEEvRKNS_10TensorBaseES9_NS_15PhiloxCudaStateEEUliRbSB_SB_SB_RKfSD_SD_SD_E_bSC_jLi2ELi1ELi4ELi512ELi2EEEvNS0_6detail10TensorInfoIT0_T2_EENSG_IT1_SI_EESI_T_: ; @_ZN2at4cuda12_GLOBAL__N_121kernelPointwiseApply2IZNS_6native9templates4cuda28bernoulli_tensor_cuda_kernelIbfEEvRKNS_10TensorBaseES9_NS_15PhiloxCudaStateEEUliRbSB_SB_SB_RKfSD_SD_SD_E_bSC_jLi2ELi1ELi4ELi512ELi2EEEvNS0_6detail10TensorInfoIT0_T2_EENSG_IT1_SI_EESI_T_
; %bb.0:
	s_load_dword s2, s[4:5], 0x1e4
	s_load_dword s33, s[4:5], 0x1b0
	s_add_u32 s0, s4, 0x1d8
	s_addc_u32 s1, s5, 0
	s_waitcnt lgkmcnt(0)
	s_and_b32 s2, s2, 0xffff
	s_mul_i32 s6, s6, s2
	v_add_u32_e32 v1, s6, v0
	v_lshlrev_b32_e32 v0, 2, v1
	v_cmp_gt_u32_e32 vcc, s33, v0
	s_and_saveexec_b64 s[6:7], vcc
	s_cbranch_execz .LBB113_51
; %bb.1:
	s_load_dwordx2 s[12:13], s[4:5], 0x0
	s_load_dword s52, s[4:5], 0xc
	s_load_dwordx2 s[14:15], s[4:5], 0x6c
	s_load_dwordx2 s[16:17], s[4:5], 0xd8
	s_load_dword s3, s[0:1], 0x0
	s_load_dwordx2 s[18:19], s[4:5], 0x1c8
	s_load_dword s6, s[4:5], 0x1d0
	s_load_dword s7, s[4:5], 0x144
	s_load_dwordx4 s[8:11], s[4:5], 0x1b8
	s_waitcnt lgkmcnt(0)
	v_cvt_f32_u32_e32 v2, s52
	s_mov_b32 s53, 0xcd9e8d57
	s_bitcmp1_b32 s6, 0
	s_cselect_b64 s[22:23], -1, 0
	v_rcp_iflag_f32_e32 v4, v2
	v_mad_u64_u32 v[2:3], s[0:1], v1, s53, 0
	s_sub_i32 s56, 0, s52
	v_mul_f32_e32 v4, 0x4f7ffffe, v4
	v_cvt_u32_f32_e32 v4, v4
	v_mov_b32_e32 v6, v3
	s_mul_i32 s3, s3, s2
	s_lshl_b32 s55, s3, 2
	v_mul_lo_u32 v3, s56, v4
	v_mul_hi_u32 v3, v4, v3
	v_add_u32_e32 v3, v4, v3
	v_add_u32_e32 v4, 2, v0
	v_mul_lo_u32 v32, v0, s7
	v_mul_lo_u32 v34, s7, v4
	v_add_u32_e32 v4, 3, v0
	s_mov_b32 s54, 0
	v_mov_b32_e32 v5, 0
	v_sub_u32_e32 v7, s33, v0
	v_add_u32_e32 v33, s7, v32
	s_mul_i32 s57, s55, s7
	v_mul_lo_u32 v35, s7, v4
	s_mov_b64 s[24:25], 0
	s_mov_b32 s58, 0xd2511f53
	s_mov_b32 s59, 0xf1bbcdc8
                                        ; implicit-def: $sgpr26_sgpr27
                                        ; implicit-def: $sgpr28_sgpr29
                                        ; implicit-def: $sgpr30_sgpr31
                                        ; implicit-def: $sgpr20_sgpr21
                                        ; implicit-def: $sgpr34_sgpr35
                                        ; implicit-def: $sgpr36_sgpr37
                                        ; implicit-def: $sgpr38_sgpr39
                                        ; implicit-def: $sgpr40_sgpr41
	s_branch .LBB113_3
.LBB113_2:                              ;   in Loop: Header=BB113_3 Depth=1
	s_or_b64 exec, exec, s[2:3]
	s_and_b64 s[0:1], exec, s[0:1]
	s_or_b64 s[24:25], s[0:1], s[24:25]
	s_andn2_b64 s[0:1], s[20:21], exec
	s_and_b64 s[2:3], s[40:41], exec
	s_or_b64 s[20:21], s[0:1], s[2:3]
	s_andn2_b64 s[0:1], s[30:31], exec
	s_and_b64 s[2:3], s[38:39], exec
	;; [unrolled: 3-line block ×4, first 2 shown]
	s_or_b64 s[26:27], s[0:1], s[2:3]
	s_andn2_b64 exec, exec, s[24:25]
	s_cbranch_execz .LBB113_47
.LBB113_3:                              ; =>This Inner Loop Header: Depth=1
	v_pk_mov_b32 v[10:11], 0, 0
	v_cmp_lt_i32_e32 vcc, 0, v7
	v_pk_mov_b32 v[8:9], v[10:11], v[10:11] op_sel:[0,1]
	s_and_saveexec_b64 s[2:3], vcc
	s_cbranch_execz .LBB113_5
; %bb.4:                                ;   in Loop: Header=BB113_3 Depth=1
	s_waitcnt vmcnt(3)
	v_mul_hi_u32 v4, v3, v0
	v_not_b32_e32 v12, v4
	v_mad_u64_u32 v[8:9], s[0:1], s56, v4, v[0:1]
	v_add_u32_e32 v9, 1, v4
	v_cmp_le_u32_e64 s[0:1], s52, v8
	v_mad_u64_u32 v[12:13], s[4:5], s52, v12, v[0:1]
	v_cndmask_b32_e64 v4, v4, v9, s[0:1]
	v_cndmask_b32_e64 v8, v8, v12, s[0:1]
	v_add_u32_e32 v9, 1, v4
	v_cmp_le_u32_e64 s[0:1], s52, v8
	v_cndmask_b32_e64 v12, v4, v9, s[0:1]
	v_mad_u64_u32 v[8:9], s[0:1], s56, v12, v[0:1]
	v_mul_lo_u32 v4, v8, s15
	v_mad_u64_u32 v[8:9], s[0:1], v12, s14, v[4:5]
	v_mov_b32_e32 v9, v5
.LBB113_5:                              ;   in Loop: Header=BB113_3 Depth=1
	s_or_b64 exec, exec, s[2:3]
	v_cmp_lt_i32_e64 s[0:1], 1, v7
	s_and_saveexec_b64 s[4:5], s[0:1]
	s_cbranch_execz .LBB113_7
; %bb.6:                                ;   in Loop: Header=BB113_3 Depth=1
	s_waitcnt vmcnt(3)
	v_add_u32_e32 v4, 1, v0
	v_mul_hi_u32 v10, v4, v3
	v_mul_lo_u32 v11, v10, s52
	v_sub_u32_e32 v11, v4, v11
	v_add_u32_e32 v12, 1, v10
	v_cmp_le_u32_e64 s[2:3], s52, v11
	v_cndmask_b32_e64 v10, v10, v12, s[2:3]
	v_subrev_u32_e32 v12, s52, v11
	v_cndmask_b32_e64 v11, v11, v12, s[2:3]
	v_add_u32_e32 v12, 1, v10
	v_cmp_le_u32_e64 s[2:3], s52, v11
	v_cndmask_b32_e64 v10, v10, v12, s[2:3]
	v_mul_lo_u32 v11, v10, s52
	v_sub_u32_e32 v4, v4, v11
	v_mul_lo_u32 v4, v4, s15
	v_mad_u64_u32 v[10:11], s[2:3], v10, s14, v[4:5]
	v_mov_b32_e32 v11, v5
.LBB113_7:                              ;   in Loop: Header=BB113_3 Depth=1
	s_or_b64 exec, exec, s[4:5]
	v_pk_mov_b32 v[16:17], 0, 0
	v_cmp_lt_i32_e64 s[2:3], 2, v7
	v_pk_mov_b32 v[14:15], v[16:17], v[16:17] op_sel:[0,1]
	s_and_saveexec_b64 s[6:7], s[2:3]
	s_cbranch_execz .LBB113_9
; %bb.8:                                ;   in Loop: Header=BB113_3 Depth=1
	s_waitcnt vmcnt(3)
	v_add_u32_e32 v4, 2, v0
	v_mul_hi_u32 v12, v4, v3
	v_mul_lo_u32 v13, v12, s52
	v_sub_u32_e32 v13, v4, v13
	v_add_u32_e32 v14, 1, v12
	v_cmp_le_u32_e64 s[4:5], s52, v13
	v_cndmask_b32_e64 v12, v12, v14, s[4:5]
	v_subrev_u32_e32 v14, s52, v13
	v_cndmask_b32_e64 v13, v13, v14, s[4:5]
	v_add_u32_e32 v14, 1, v12
	v_cmp_le_u32_e64 s[4:5], s52, v13
	v_cndmask_b32_e64 v12, v12, v14, s[4:5]
	v_mul_lo_u32 v13, v12, s52
	v_sub_u32_e32 v4, v4, v13
	v_mul_lo_u32 v4, v4, s15
	v_mad_u64_u32 v[14:15], s[4:5], v12, s14, v[4:5]
	v_mov_b32_e32 v15, v5
.LBB113_9:                              ;   in Loop: Header=BB113_3 Depth=1
	s_or_b64 exec, exec, s[6:7]
	v_cmp_lt_i32_e64 s[4:5], 3, v7
	s_and_saveexec_b64 s[42:43], s[4:5]
	s_cbranch_execz .LBB113_11
; %bb.10:                               ;   in Loop: Header=BB113_3 Depth=1
	s_waitcnt vmcnt(3)
	v_add_u32_e32 v4, 3, v0
	v_mul_hi_u32 v12, v4, v3
	v_mul_lo_u32 v13, v12, s52
	v_sub_u32_e32 v13, v4, v13
	v_add_u32_e32 v16, 1, v12
	v_cmp_le_u32_e64 s[6:7], s52, v13
	v_cndmask_b32_e64 v12, v12, v16, s[6:7]
	v_subrev_u32_e32 v16, s52, v13
	v_cndmask_b32_e64 v13, v13, v16, s[6:7]
	v_add_u32_e32 v16, 1, v12
	v_cmp_le_u32_e64 s[6:7], s52, v13
	v_cndmask_b32_e64 v12, v12, v16, s[6:7]
	v_mul_lo_u32 v13, v12, s52
	v_sub_u32_e32 v4, v4, v13
	v_mul_lo_u32 v4, v4, s15
	v_mad_u64_u32 v[16:17], s[6:7], v12, s14, v[4:5]
	v_mov_b32_e32 v17, v5
.LBB113_11:                             ;   in Loop: Header=BB113_3 Depth=1
	s_or_b64 exec, exec, s[42:43]
	s_waitcnt vmcnt(3)
	v_add_u32_e32 v4, s54, v32
	v_cndmask_b32_e32 v4, 0, v4, vcc
	v_add_u32_e32 v18, s54, v33
	v_lshlrev_b64 v[12:13], 2, v[4:5]
	v_mov_b32_e32 v24, s17
	v_add_co_u32_e32 v12, vcc, s16, v12
	v_cndmask_b32_e64 v4, 0, v18, s[0:1]
	v_add_u32_e32 v20, s54, v34
	v_addc_co_u32_e32 v13, vcc, v24, v13, vcc
	v_lshlrev_b64 v[18:19], 2, v[4:5]
	v_add_co_u32_e32 v18, vcc, s16, v18
	v_cndmask_b32_e64 v4, 0, v20, s[2:3]
	v_add_u32_e32 v22, s54, v35
	v_addc_co_u32_e32 v19, vcc, v24, v19, vcc
	v_lshlrev_b64 v[20:21], 2, v[4:5]
	v_add_co_u32_e32 v20, vcc, s16, v20
	v_cndmask_b32_e64 v4, 0, v22, s[4:5]
	v_addc_co_u32_e32 v21, vcc, v24, v21, vcc
	v_lshlrev_b64 v[22:23], 2, v[4:5]
	v_add_co_u32_e32 v22, vcc, s16, v22
	v_addc_co_u32_e32 v23, vcc, v24, v23, vcc
	global_load_dword v4, v[12:13], off
	global_load_dword v36, v[18:19], off
	;; [unrolled: 1-line block ×4, first 2 shown]
	s_andn2_b64 vcc, exec, s[22:23]
	v_pk_mov_b32 v[12:13], s[10:11], s[10:11] op_sel:[0,1]
	v_pk_mov_b32 v[18:19], s[8:9], s[8:9] op_sel:[0,1]
	s_cbranch_vccnz .LBB113_13
; %bb.12:                               ;   in Loop: Header=BB113_3 Depth=1
	v_pk_mov_b32 v[12:13], s[10:11], s[10:11] op_sel:[0,1]
	flat_load_dwordx2 v[12:13], v[12:13]
	v_pk_mov_b32 v[18:19], s[8:9], s[8:9] op_sel:[0,1]
	flat_load_dwordx2 v[18:19], v[18:19]
	v_mov_b32_e32 v20, s19
	s_waitcnt vmcnt(0) lgkmcnt(0)
	v_add_co_u32_e32 v12, vcc, s18, v12
	v_addc_co_u32_e32 v13, vcc, v13, v20, vcc
.LBB113_13:                             ;   in Loop: Header=BB113_3 Depth=1
	v_alignbit_b32 v28, v13, v12, 2
	v_lshrrev_b32_e32 v29, 2, v13
	v_xor_b32_e32 v20, v6, v18
	v_and_b32_e32 v39, 3, v12
	v_mad_u64_u32 v[12:13], s[0:1], v28, s58, 0
	v_xor_b32_e32 v20, v20, v29
	v_xor_b32_e32 v13, v13, v19
	v_add_u32_e32 v44, 0xbb67ae85, v19
	v_mad_u64_u32 v[20:21], s[0:1], v20, s58, 0
	v_mad_u64_u32 v[22:23], s[0:1], v13, s53, 0
	v_xor_b32_e32 v21, v44, v21
	v_add_u32_e32 v43, 0x9e3779b9, v18
	v_xor_b32_e32 v13, v2, v23
	v_xor_b32_e32 v21, v21, v12
	v_xor_b32_e32 v13, v13, v43
	v_add_u32_e32 v45, 0x3c6ef372, v18
	v_mad_u64_u32 v[24:25], s[0:1], v21, s53, 0
	v_add_u32_e32 v46, 0x76cf5d0a, v19
	v_mad_u64_u32 v[12:13], s[0:1], v13, s58, 0
	v_xor_b32_e32 v21, v45, v25
	v_xor_b32_e32 v21, v21, v22
	v_xor_b32_e32 v13, v46, v13
	v_xor_b32_e32 v13, v13, v20
	v_add_u32_e32 v48, 0x32370b8f, v19
	v_mad_u64_u32 v[20:21], s[0:1], v21, s58, 0
	v_add_u32_e32 v47, 0xdaa66d2b, v18
	v_mad_u64_u32 v[22:23], s[0:1], v13, s53, 0
	v_xor_b32_e32 v21, v48, v21
	;; [unrolled: 8-line block ×5, first 2 shown]
	v_xor_b32_e32 v21, v21, v22
	v_xor_b32_e32 v13, v54, v13
	;; [unrolled: 1-line block ×3, first 2 shown]
	v_add_u32_e32 v56, 0x1fd5c5a3, v19
	v_mad_u64_u32 v[20:21], s[0:1], v21, s58, 0
	v_xor_b32_e32 v21, v56, v21
	v_xor_b32_e32 v12, v21, v12
	v_add_u32_e32 v55, 0x5384540f, v18
	v_mad_u64_u32 v[26:27], s[0:1], v13, s53, 0
	v_add_co_u32_e32 v41, vcc, s59, v18
	v_mad_u64_u32 v[22:23], s[0:1], v12, s53, 0
	v_xor_b32_e32 v13, v55, v27
	v_xor_b32_e32 v12, v41, v23
	;; [unrolled: 1-line block ×4, first 2 shown]
	v_mad_u64_u32 v[24:25], s[0:1], v13, s58, 0
	v_mad_u64_u32 v[12:13], s[0:1], v12, s58, 0
	v_add_u32_e32 v42, 0x96a522ad, v19
	v_xor_b32_e32 v13, v13, v24
	v_xor_b32_e32 v40, v42, v13
	v_add_co_u32_e32 v13, vcc, 1, v28
	v_cndmask_b32_e64 v24, 0, 1, vcc
	v_addc_co_u32_e32 v30, vcc, 0, v29, vcc
	v_cmp_eq_u32_e32 vcc, 0, v30
	v_cndmask_b32_e32 v24, 0, v24, vcc
	v_add_u32_e32 v28, v24, v1
	v_cmp_eq_u32_e32 vcc, 0, v28
	v_mad_u64_u32 v[26:27], s[0:1], v13, s58, 0
	v_mad_u64_u32 v[28:29], s[0:1], v28, s53, 0
	v_add_u32_e32 v23, 0x8ff34781, v18
	v_cndmask_b32_e32 v24, 0, v24, vcc
	v_xor_b32_e32 v13, v29, v18
	v_xor_b32_e32 v18, v27, v19
	;; [unrolled: 1-line block ×4, first 2 shown]
	v_mad_u64_u32 v[30:31], s[0:1], v24, s53, 0
	v_add_u32_e32 v21, 0xdb3d7428, v19
	v_mad_u64_u32 v[18:19], s[0:1], v13, s58, 0
	v_xor_b32_e32 v13, v43, v31
	v_xor_b32_e32 v13, v13, v28
	v_xor_b32_e32 v19, v44, v19
	v_xor_b32_e32 v19, v19, v26
	v_mad_u64_u32 v[26:27], s[0:1], v13, s58, 0
	v_mad_u64_u32 v[28:29], s[0:1], v19, s53, 0
	v_xor_b32_e32 v19, v46, v27
	v_xor_b32_e32 v13, v45, v29
	v_xor_b32_e32 v24, v19, v18
	v_xor_b32_e32 v13, v13, v30
	v_mad_u64_u32 v[30:31], s[0:1], v24, s53, 0
	;; [unrolled: 6-line block ×7, first 2 shown]
	v_xor_b32_e32 v13, v21, v29
	v_xor_b32_e32 v13, v13, v18
	v_mad_u64_u32 v[30:31], s[0:1], v19, s53, 0
	v_mad_u64_u32 v[18:19], s[0:1], v13, s53, 0
	v_xor_b32_e32 v13, v19, v30
	v_xor_b32_e32 v13, v23, v13
	v_cmp_lt_i32_e32 vcc, 1, v39
                                        ; implicit-def: $vgpr27
	s_and_saveexec_b64 s[0:1], vcc
	s_xor_b64 s[0:1], exec, s[0:1]
	s_cbranch_execz .LBB113_19
; %bb.14:                               ;   in Loop: Header=BB113_3 Depth=1
	v_cmp_lt_i32_e32 vcc, 2, v39
                                        ; implicit-def: $vgpr27
	s_and_saveexec_b64 s[2:3], vcc
	s_xor_b64 s[2:3], exec, s[2:3]
; %bb.15:                               ;   in Loop: Header=BB113_3 Depth=1
	v_xor_b32_e32 v19, v41, v31
	v_xor_b32_e32 v19, v19, v26
	v_mul_hi_u32 v19, v19, s58
	v_xor_b32_e32 v19, v19, v28
	v_xor_b32_e32 v27, v42, v19
                                        ; implicit-def: $vgpr40
; %bb.16:                               ;   in Loop: Header=BB113_3 Depth=1
	s_andn2_saveexec_b64 s[2:3], s[2:3]
; %bb.17:                               ;   in Loop: Header=BB113_3 Depth=1
	v_mov_b32_e32 v27, v18
	v_mov_b32_e32 v18, v13
	;; [unrolled: 1-line block ×4, first 2 shown]
; %bb.18:                               ;   in Loop: Header=BB113_3 Depth=1
	s_or_b64 exec, exec, s[2:3]
                                        ; implicit-def: $vgpr20_vgpr21
                                        ; implicit-def: $vgpr22_vgpr23
                                        ; implicit-def: $vgpr39
                                        ; implicit-def: $vgpr40
                                        ; implicit-def: $vgpr24_vgpr25
                                        ; implicit-def: $vgpr21
                                        ; implicit-def: $vgpr23
.LBB113_19:                             ;   in Loop: Header=BB113_3 Depth=1
	s_andn2_saveexec_b64 s[0:1], s[0:1]
	s_cbranch_execz .LBB113_23
; %bb.20:                               ;   in Loop: Header=BB113_3 Depth=1
	v_xor_b32_e32 v18, v21, v25
	v_xor_b32_e32 v18, v18, v20
	v_mad_u64_u32 v[20:21], s[2:3], v18, s53, 0
	v_xor_b32_e32 v18, v21, v22
	v_xor_b32_e32 v19, v23, v18
	v_cmp_eq_u32_e32 vcc, 1, v39
	v_mov_b32_e32 v27, v12
	v_mov_b32_e32 v18, v40
	v_mov_b32_e32 v21, v20
	s_and_saveexec_b64 s[2:3], vcc
; %bb.21:                               ;   in Loop: Header=BB113_3 Depth=1
	v_mov_b32_e32 v27, v13
	v_mov_b32_e32 v18, v12
	;; [unrolled: 1-line block ×4, first 2 shown]
; %bb.22:                               ;   in Loop: Header=BB113_3 Depth=1
	s_or_b64 exec, exec, s[2:3]
	v_mov_b32_e32 v12, v19
	v_mov_b32_e32 v13, v21
.LBB113_23:                             ;   in Loop: Header=BB113_3 Depth=1
	s_or_b64 exec, exec, s[0:1]
	v_min_i32_e32 v19, 4, v7
	v_cmp_lt_i32_e32 vcc, 2, v19
	s_mov_b64 s[2:3], 0
	s_mov_b64 s[48:49], 0
                                        ; implicit-def: $sgpr4_sgpr5
                                        ; implicit-def: $sgpr6_sgpr7
                                        ; implicit-def: $sgpr42_sgpr43
	s_and_saveexec_b64 s[0:1], vcc
	s_xor_b64 s[44:45], exec, s[0:1]
	s_cbranch_execz .LBB113_33
; %bb.24:                               ;   in Loop: Header=BB113_3 Depth=1
	v_cmp_lt_i32_e32 vcc, 3, v19
	s_mov_b64 s[42:43], -1
                                        ; implicit-def: $sgpr4_sgpr5
                                        ; implicit-def: $sgpr46_sgpr47
	s_and_saveexec_b64 s[6:7], vcc
	s_cbranch_execz .LBB113_28
; %bb.25:                               ;   in Loop: Header=BB113_3 Depth=1
	s_waitcnt vmcnt(0)
	v_cmp_le_f32_e32 vcc, 0, v38
	v_cmp_ge_f32_e64 s[0:1], 1.0, v38
	s_and_b64 s[46:47], vcc, s[0:1]
	s_mov_b64 s[4:5], 0
	s_mov_b64 s[0:1], 0
	s_and_saveexec_b64 s[42:43], s[46:47]
	s_cbranch_execz .LBB113_27
; %bb.26:                               ;   in Loop: Header=BB113_3 Depth=1
	v_cvt_f32_u32_e32 v20, v27
	v_mov_b32_e32 v21, 0x2f800000
	v_mov_b32_e32 v22, s13
	v_add_co_u32_e32 v16, vcc, s12, v16
	v_fmac_f32_e32 v21, 0x2f800000, v20
	v_addc_co_u32_e32 v17, vcc, v22, v17, vcc
	v_cmp_le_f32_e32 vcc, v21, v38
	s_mov_b64 s[0:1], exec
	v_cndmask_b32_e64 v20, 0, 1, vcc
	global_store_byte v[16:17], v20, off
.LBB113_27:                             ;   in Loop: Header=BB113_3 Depth=1
	s_or_b64 exec, exec, s[42:43]
	s_mov_b64 s[46:47], -1
	s_orn2_b64 s[42:43], s[0:1], exec
.LBB113_28:                             ;   in Loop: Header=BB113_3 Depth=1
	s_or_b64 exec, exec, s[6:7]
	s_mov_b64 s[0:1], 0
	s_mov_b64 s[48:49], s[4:5]
	s_and_saveexec_b64 s[6:7], s[42:43]
	s_cbranch_execz .LBB113_32
; %bb.29:                               ;   in Loop: Header=BB113_3 Depth=1
	s_waitcnt vmcnt(1)
	v_cmp_le_f32_e32 vcc, 0, v37
	v_cmp_ge_f32_e64 s[0:1], 1.0, v37
	s_and_b64 s[42:43], vcc, s[0:1]
	s_mov_b64 s[0:1], 0
	s_and_saveexec_b64 s[48:49], s[42:43]
	s_xor_b64 s[42:43], exec, s[48:49]
	s_cbranch_execz .LBB113_31
; %bb.30:                               ;   in Loop: Header=BB113_3 Depth=1
	v_cvt_f32_u32_e32 v16, v18
	v_mov_b32_e32 v17, 0x2f800000
	v_mov_b32_e32 v18, s13
	v_add_co_u32_e32 v14, vcc, s12, v14
	v_fmac_f32_e32 v17, 0x2f800000, v16
	v_addc_co_u32_e32 v15, vcc, v18, v15, vcc
	v_cmp_le_f32_e32 vcc, v17, v37
	v_cndmask_b32_e64 v16, 0, 1, vcc
	s_mov_b64 s[0:1], exec
	global_store_byte v[14:15], v16, off
.LBB113_31:                             ;   in Loop: Header=BB113_3 Depth=1
	s_or_b64 exec, exec, s[42:43]
	s_andn2_b64 s[48:49], s[4:5], exec
	s_or_b64 s[4:5], s[4:5], exec
	s_andn2_b64 s[46:47], s[46:47], exec
	s_and_b64 s[0:1], s[0:1], exec
.LBB113_32:                             ;   in Loop: Header=BB113_3 Depth=1
	s_or_b64 exec, exec, s[6:7]
	s_and_b64 s[42:43], s[48:49], exec
	s_and_b64 s[6:7], s[4:5], exec
	;; [unrolled: 1-line block ×4, first 2 shown]
.LBB113_33:                             ;   in Loop: Header=BB113_3 Depth=1
	s_andn2_saveexec_b64 s[0:1], s[44:45]
; %bb.34:                               ;   in Loop: Header=BB113_3 Depth=1
	v_cmp_lt_i32_e32 vcc, 1, v19
	s_andn2_b64 s[44:45], s[48:49], exec
	s_and_b64 s[46:47], vcc, exec
	s_mov_b64 s[2:3], exec
	s_andn2_b64 s[42:43], s[42:43], exec
	s_andn2_b64 s[6:7], s[6:7], exec
	;; [unrolled: 1-line block ×3, first 2 shown]
	s_or_b64 s[48:49], s[44:45], s[46:47]
; %bb.35:                               ;   in Loop: Header=BB113_3 Depth=1
	s_or_b64 exec, exec, s[0:1]
	s_mov_b64 s[44:45], 0
	s_mov_b64 s[0:1], 0
	;; [unrolled: 1-line block ×3, first 2 shown]
	s_and_saveexec_b64 s[50:51], s[48:49]
	s_cbranch_execnz .LBB113_38
; %bb.36:                               ;   in Loop: Header=BB113_3 Depth=1
	s_or_b64 exec, exec, s[50:51]
	s_and_saveexec_b64 s[48:49], s[2:3]
	s_cbranch_execnz .LBB113_41
.LBB113_37:                             ;   in Loop: Header=BB113_3 Depth=1
	s_or_b64 exec, exec, s[48:49]
	s_and_saveexec_b64 s[2:3], s[0:1]
	s_cbranch_execnz .LBB113_42
	s_branch .LBB113_45
.LBB113_38:                             ;   in Loop: Header=BB113_3 Depth=1
	s_waitcnt vmcnt(2)
	v_cmp_le_f32_e32 vcc, 0, v36
	v_cmp_ge_f32_e64 s[0:1], 1.0, v36
	s_and_b64 s[46:47], vcc, s[0:1]
	s_mov_b64 s[0:1], 0
	s_and_saveexec_b64 s[48:49], s[46:47]
	s_xor_b64 s[46:47], exec, s[48:49]
	s_cbranch_execz .LBB113_40
; %bb.39:                               ;   in Loop: Header=BB113_3 Depth=1
	v_cvt_f32_u32_e32 v13, v13
	v_mov_b32_e32 v14, 0x2f800000
	v_mov_b32_e32 v15, s13
	v_add_co_u32_e32 v10, vcc, s12, v10
	v_fmac_f32_e32 v14, 0x2f800000, v13
	v_addc_co_u32_e32 v11, vcc, v15, v11, vcc
	v_cmp_le_f32_e32 vcc, v14, v36
	v_cndmask_b32_e64 v13, 0, 1, vcc
	s_mov_b64 s[0:1], exec
	global_store_byte v[10:11], v13, off
.LBB113_40:                             ;   in Loop: Header=BB113_3 Depth=1
	s_or_b64 exec, exec, s[46:47]
	s_andn2_b64 s[46:47], s[42:43], exec
	s_or_b64 s[42:43], s[42:43], exec
	s_andn2_b64 s[6:7], s[6:7], exec
	s_andn2_b64 s[4:5], s[4:5], exec
	s_and_b64 s[0:1], s[0:1], exec
	s_andn2_b64 s[2:3], s[2:3], exec
	s_or_b64 exec, exec, s[50:51]
	s_and_saveexec_b64 s[48:49], s[2:3]
	s_cbranch_execz .LBB113_37
.LBB113_41:                             ;   in Loop: Header=BB113_3 Depth=1
	v_cmp_eq_u32_e32 vcc, 1, v19
	s_andn2_b64 s[0:1], s[0:1], exec
	s_and_b64 s[2:3], vcc, exec
	s_mov_b64 s[44:45], exec
	s_andn2_b64 s[46:47], s[46:47], exec
	s_andn2_b64 s[42:43], s[42:43], exec
	;; [unrolled: 1-line block ×4, first 2 shown]
	s_or_b64 s[0:1], s[0:1], s[2:3]
	s_or_b64 exec, exec, s[48:49]
	s_and_saveexec_b64 s[2:3], s[0:1]
	s_cbranch_execz .LBB113_45
.LBB113_42:                             ;   in Loop: Header=BB113_3 Depth=1
	s_waitcnt vmcnt(3)
	v_cmp_le_f32_e32 vcc, 0, v4
	v_cmp_ge_f32_e64 s[0:1], 1.0, v4
	s_and_b64 s[50:51], vcc, s[0:1]
	s_mov_b64 s[0:1], 0
	s_and_saveexec_b64 s[48:49], s[50:51]
	s_cbranch_execz .LBB113_44
; %bb.43:                               ;   in Loop: Header=BB113_3 Depth=1
	v_cvt_f32_u32_e32 v10, v12
	v_mov_b32_e32 v11, 0x2f800000
	v_mov_b32_e32 v12, s13
	v_add_co_u32_e32 v8, vcc, s12, v8
	v_fmac_f32_e32 v11, 0x2f800000, v10
	v_addc_co_u32_e32 v9, vcc, v12, v9, vcc
	v_cmp_le_f32_e32 vcc, v11, v4
	s_mov_b64 s[0:1], exec
	v_cndmask_b32_e64 v4, 0, 1, vcc
	global_store_byte v[8:9], v4, off
.LBB113_44:                             ;   in Loop: Header=BB113_3 Depth=1
	s_or_b64 exec, exec, s[48:49]
	s_andn2_b64 s[44:45], s[44:45], exec
	s_and_b64 s[0:1], s[0:1], exec
	s_or_b64 s[46:47], s[46:47], exec
	s_andn2_b64 s[42:43], s[42:43], exec
	s_andn2_b64 s[6:7], s[6:7], exec
	;; [unrolled: 1-line block ×3, first 2 shown]
	s_or_b64 s[44:45], s[44:45], s[0:1]
.LBB113_45:                             ;   in Loop: Header=BB113_3 Depth=1
	s_or_b64 exec, exec, s[2:3]
	s_andn2_b64 s[2:3], s[40:41], exec
	s_and_b64 s[40:41], s[46:47], exec
	s_or_b64 s[40:41], s[2:3], s[40:41]
	s_andn2_b64 s[2:3], s[38:39], exec
	s_and_b64 s[38:39], s[42:43], exec
	s_or_b64 s[38:39], s[2:3], s[38:39]
	;; [unrolled: 3-line block ×3, first 2 shown]
	s_andn2_b64 s[2:3], s[34:35], exec
	s_and_b64 s[4:5], s[4:5], exec
	s_mov_b64 s[0:1], -1
	s_or_b64 s[34:35], s[2:3], s[4:5]
	s_and_saveexec_b64 s[2:3], s[44:45]
	s_cbranch_execz .LBB113_2
; %bb.46:                               ;   in Loop: Header=BB113_3 Depth=1
	v_add_u32_e32 v0, s55, v0
	v_cmp_le_u32_e32 vcc, s33, v0
	v_subrev_u32_e32 v7, s55, v7
	s_add_i32 s54, s54, s57
	s_andn2_b64 s[40:41], s[40:41], exec
	s_andn2_b64 s[38:39], s[38:39], exec
	;; [unrolled: 1-line block ×4, first 2 shown]
	s_orn2_b64 s[0:1], vcc, exec
	s_branch .LBB113_2
.LBB113_47:
	s_or_b64 exec, exec, s[24:25]
	s_xor_b64 s[6:7], s[30:31], -1
	s_xor_b64 s[8:9], s[28:29], -1
	;; [unrolled: 1-line block ×3, first 2 shown]
	s_mov_b64 s[2:3], 0
	s_and_saveexec_b64 s[4:5], s[0:1]
	s_xor_b64 s[0:1], exec, s[4:5]
	s_cbranch_execnz .LBB113_52
; %bb.48:
	s_andn2_saveexec_b64 s[0:1], s[0:1]
	s_cbranch_execnz .LBB113_60
.LBB113_49:
	s_or_b64 exec, exec, s[0:1]
	s_and_b64 exec, exec, s[2:3]
.LBB113_50:
	; divergent unreachable
.LBB113_51:
	s_endpgm
.LBB113_52:
	s_mov_b64 s[4:5], 0
	s_and_saveexec_b64 s[2:3], s[8:9]
	s_xor_b64 s[2:3], exec, s[2:3]
	s_cbranch_execz .LBB113_58
; %bb.53:
	s_and_saveexec_b64 s[8:9], s[6:7]
	s_xor_b64 s[6:7], exec, s[8:9]
	s_cbranch_execz .LBB113_56
; %bb.54:
	s_and_saveexec_b64 s[8:9], s[20:21]
	s_xor_b64 s[8:9], exec, s[8:9]
	s_cbranch_execnz .LBB113_63
.LBB113_55:
	s_or_b64 exec, exec, s[8:9]
	s_and_b64 s[4:5], s[4:5], exec
.LBB113_56:
	s_andn2_saveexec_b64 s[6:7], s[6:7]
	s_cbranch_execnz .LBB113_62
.LBB113_57:
	s_or_b64 exec, exec, s[6:7]
	s_and_b64 s[4:5], s[4:5], exec
.LBB113_58:
	s_andn2_saveexec_b64 s[2:3], s[2:3]
	s_cbranch_execnz .LBB113_61
.LBB113_59:
	s_or_b64 exec, exec, s[2:3]
	s_and_b64 s[2:3], s[4:5], exec
	s_andn2_saveexec_b64 s[0:1], s[0:1]
	s_cbranch_execz .LBB113_49
.LBB113_60:
	s_or_b64 s[2:3], s[2:3], exec
	s_trap 2
	s_or_b64 exec, exec, s[0:1]
	s_and_b64 exec, exec, s[2:3]
	s_cbranch_execnz .LBB113_50
	s_branch .LBB113_51
.LBB113_61:
	s_or_b64 s[4:5], s[4:5], exec
	s_trap 2
	s_branch .LBB113_59
.LBB113_62:
	s_trap 2
	s_or_b64 s[4:5], s[4:5], exec
	s_branch .LBB113_57
.LBB113_63:
	s_mov_b64 s[4:5], exec
	s_trap 2
	s_branch .LBB113_55
	.section	.rodata,"a",@progbits
	.p2align	6, 0x0
	.amdhsa_kernel _ZN2at4cuda12_GLOBAL__N_121kernelPointwiseApply2IZNS_6native9templates4cuda28bernoulli_tensor_cuda_kernelIbfEEvRKNS_10TensorBaseES9_NS_15PhiloxCudaStateEEUliRbSB_SB_SB_RKfSD_SD_SD_E_bSC_jLi2ELi1ELi4ELi512ELi2EEEvNS0_6detail10TensorInfoIT0_T2_EENSG_IT1_SI_EESI_T_
		.amdhsa_group_segment_fixed_size 0
		.amdhsa_private_segment_fixed_size 0
		.amdhsa_kernarg_size 728
		.amdhsa_user_sgpr_count 6
		.amdhsa_user_sgpr_private_segment_buffer 1
		.amdhsa_user_sgpr_dispatch_ptr 0
		.amdhsa_user_sgpr_queue_ptr 0
		.amdhsa_user_sgpr_kernarg_segment_ptr 1
		.amdhsa_user_sgpr_dispatch_id 0
		.amdhsa_user_sgpr_flat_scratch_init 0
		.amdhsa_user_sgpr_kernarg_preload_length 0
		.amdhsa_user_sgpr_kernarg_preload_offset 0
		.amdhsa_user_sgpr_private_segment_size 0
		.amdhsa_uses_dynamic_stack 0
		.amdhsa_system_sgpr_private_segment_wavefront_offset 0
		.amdhsa_system_sgpr_workgroup_id_x 1
		.amdhsa_system_sgpr_workgroup_id_y 0
		.amdhsa_system_sgpr_workgroup_id_z 0
		.amdhsa_system_sgpr_workgroup_info 0
		.amdhsa_system_vgpr_workitem_id 0
		.amdhsa_next_free_vgpr 57
		.amdhsa_next_free_sgpr 60
		.amdhsa_accum_offset 60
		.amdhsa_reserve_vcc 1
		.amdhsa_reserve_flat_scratch 0
		.amdhsa_float_round_mode_32 0
		.amdhsa_float_round_mode_16_64 0
		.amdhsa_float_denorm_mode_32 3
		.amdhsa_float_denorm_mode_16_64 3
		.amdhsa_dx10_clamp 1
		.amdhsa_ieee_mode 1
		.amdhsa_fp16_overflow 0
		.amdhsa_tg_split 0
		.amdhsa_exception_fp_ieee_invalid_op 0
		.amdhsa_exception_fp_denorm_src 0
		.amdhsa_exception_fp_ieee_div_zero 0
		.amdhsa_exception_fp_ieee_overflow 0
		.amdhsa_exception_fp_ieee_underflow 0
		.amdhsa_exception_fp_ieee_inexact 0
		.amdhsa_exception_int_div_zero 0
	.end_amdhsa_kernel
	.section	.text._ZN2at4cuda12_GLOBAL__N_121kernelPointwiseApply2IZNS_6native9templates4cuda28bernoulli_tensor_cuda_kernelIbfEEvRKNS_10TensorBaseES9_NS_15PhiloxCudaStateEEUliRbSB_SB_SB_RKfSD_SD_SD_E_bSC_jLi2ELi1ELi4ELi512ELi2EEEvNS0_6detail10TensorInfoIT0_T2_EENSG_IT1_SI_EESI_T_,"axG",@progbits,_ZN2at4cuda12_GLOBAL__N_121kernelPointwiseApply2IZNS_6native9templates4cuda28bernoulli_tensor_cuda_kernelIbfEEvRKNS_10TensorBaseES9_NS_15PhiloxCudaStateEEUliRbSB_SB_SB_RKfSD_SD_SD_E_bSC_jLi2ELi1ELi4ELi512ELi2EEEvNS0_6detail10TensorInfoIT0_T2_EENSG_IT1_SI_EESI_T_,comdat
.Lfunc_end113:
	.size	_ZN2at4cuda12_GLOBAL__N_121kernelPointwiseApply2IZNS_6native9templates4cuda28bernoulli_tensor_cuda_kernelIbfEEvRKNS_10TensorBaseES9_NS_15PhiloxCudaStateEEUliRbSB_SB_SB_RKfSD_SD_SD_E_bSC_jLi2ELi1ELi4ELi512ELi2EEEvNS0_6detail10TensorInfoIT0_T2_EENSG_IT1_SI_EESI_T_, .Lfunc_end113-_ZN2at4cuda12_GLOBAL__N_121kernelPointwiseApply2IZNS_6native9templates4cuda28bernoulli_tensor_cuda_kernelIbfEEvRKNS_10TensorBaseES9_NS_15PhiloxCudaStateEEUliRbSB_SB_SB_RKfSD_SD_SD_E_bSC_jLi2ELi1ELi4ELi512ELi2EEEvNS0_6detail10TensorInfoIT0_T2_EENSG_IT1_SI_EESI_T_
                                        ; -- End function
	.section	.AMDGPU.csdata,"",@progbits
; Kernel info:
; codeLenInByte = 3060
; NumSgprs: 64
; NumVgprs: 57
; NumAgprs: 0
; TotalNumVgprs: 57
; ScratchSize: 0
; MemoryBound: 0
; FloatMode: 240
; IeeeMode: 1
; LDSByteSize: 0 bytes/workgroup (compile time only)
; SGPRBlocks: 7
; VGPRBlocks: 7
; NumSGPRsForWavesPerEU: 64
; NumVGPRsForWavesPerEU: 57
; AccumOffset: 60
; Occupancy: 8
; WaveLimiterHint : 1
; COMPUTE_PGM_RSRC2:SCRATCH_EN: 0
; COMPUTE_PGM_RSRC2:USER_SGPR: 6
; COMPUTE_PGM_RSRC2:TRAP_HANDLER: 0
; COMPUTE_PGM_RSRC2:TGID_X_EN: 1
; COMPUTE_PGM_RSRC2:TGID_Y_EN: 0
; COMPUTE_PGM_RSRC2:TGID_Z_EN: 0
; COMPUTE_PGM_RSRC2:TIDIG_COMP_CNT: 0
; COMPUTE_PGM_RSRC3_GFX90A:ACCUM_OFFSET: 14
; COMPUTE_PGM_RSRC3_GFX90A:TG_SPLIT: 0
	.section	.text._ZN2at4cuda12_GLOBAL__N_121kernelPointwiseApply2IZNS_6native9templates4cuda28bernoulli_tensor_cuda_kernelIbfEEvRKNS_10TensorBaseES9_NS_15PhiloxCudaStateEEUliRbSB_SB_SB_RKfSD_SD_SD_E_bSC_jLi2ELi2ELi4ELi512ELi2EEEvNS0_6detail10TensorInfoIT0_T2_EENSG_IT1_SI_EESI_T_,"axG",@progbits,_ZN2at4cuda12_GLOBAL__N_121kernelPointwiseApply2IZNS_6native9templates4cuda28bernoulli_tensor_cuda_kernelIbfEEvRKNS_10TensorBaseES9_NS_15PhiloxCudaStateEEUliRbSB_SB_SB_RKfSD_SD_SD_E_bSC_jLi2ELi2ELi4ELi512ELi2EEEvNS0_6detail10TensorInfoIT0_T2_EENSG_IT1_SI_EESI_T_,comdat
	.globl	_ZN2at4cuda12_GLOBAL__N_121kernelPointwiseApply2IZNS_6native9templates4cuda28bernoulli_tensor_cuda_kernelIbfEEvRKNS_10TensorBaseES9_NS_15PhiloxCudaStateEEUliRbSB_SB_SB_RKfSD_SD_SD_E_bSC_jLi2ELi2ELi4ELi512ELi2EEEvNS0_6detail10TensorInfoIT0_T2_EENSG_IT1_SI_EESI_T_ ; -- Begin function _ZN2at4cuda12_GLOBAL__N_121kernelPointwiseApply2IZNS_6native9templates4cuda28bernoulli_tensor_cuda_kernelIbfEEvRKNS_10TensorBaseES9_NS_15PhiloxCudaStateEEUliRbSB_SB_SB_RKfSD_SD_SD_E_bSC_jLi2ELi2ELi4ELi512ELi2EEEvNS0_6detail10TensorInfoIT0_T2_EENSG_IT1_SI_EESI_T_
	.p2align	8
	.type	_ZN2at4cuda12_GLOBAL__N_121kernelPointwiseApply2IZNS_6native9templates4cuda28bernoulli_tensor_cuda_kernelIbfEEvRKNS_10TensorBaseES9_NS_15PhiloxCudaStateEEUliRbSB_SB_SB_RKfSD_SD_SD_E_bSC_jLi2ELi2ELi4ELi512ELi2EEEvNS0_6detail10TensorInfoIT0_T2_EENSG_IT1_SI_EESI_T_,@function
_ZN2at4cuda12_GLOBAL__N_121kernelPointwiseApply2IZNS_6native9templates4cuda28bernoulli_tensor_cuda_kernelIbfEEvRKNS_10TensorBaseES9_NS_15PhiloxCudaStateEEUliRbSB_SB_SB_RKfSD_SD_SD_E_bSC_jLi2ELi2ELi4ELi512ELi2EEEvNS0_6detail10TensorInfoIT0_T2_EENSG_IT1_SI_EESI_T_: ; @_ZN2at4cuda12_GLOBAL__N_121kernelPointwiseApply2IZNS_6native9templates4cuda28bernoulli_tensor_cuda_kernelIbfEEvRKNS_10TensorBaseES9_NS_15PhiloxCudaStateEEUliRbSB_SB_SB_RKfSD_SD_SD_E_bSC_jLi2ELi2ELi4ELi512ELi2EEEvNS0_6detail10TensorInfoIT0_T2_EENSG_IT1_SI_EESI_T_
; %bb.0:
	s_load_dword s2, s[4:5], 0x1e4
	s_load_dword s33, s[4:5], 0x1b0
	s_add_u32 s0, s4, 0x1d8
	s_addc_u32 s1, s5, 0
	s_waitcnt lgkmcnt(0)
	s_and_b32 s18, s2, 0xffff
	s_mul_i32 s6, s6, s18
	v_add_u32_e32 v1, s6, v0
	v_lshlrev_b32_e32 v0, 2, v1
	v_cmp_gt_u32_e32 vcc, s33, v0
	s_and_saveexec_b64 s[2:3], vcc
	s_cbranch_execz .LBB114_59
; %bb.1:
	s_load_dwordx2 s[2:3], s[4:5], 0x0
	s_load_dword s54, s[4:5], 0xc
	s_load_dwordx2 s[6:7], s[4:5], 0x6c
	s_load_dwordx2 s[12:13], s[4:5], 0xd8
	s_load_dword s19, s[0:1], 0x0
	s_load_dword s20, s[4:5], 0x1d0
	;; [unrolled: 1-line block ×3, first 2 shown]
	s_load_dwordx2 s[14:15], s[4:5], 0x144
	s_load_dwordx2 s[16:17], s[4:5], 0x1c8
	s_load_dwordx4 s[8:11], s[4:5], 0x1b8
	s_waitcnt lgkmcnt(0)
	v_cvt_f32_u32_e32 v4, s54
	v_cvt_f32_u32_e32 v7, s55
	s_mov_b32 s56, 0xcd9e8d57
	v_mad_u64_u32 v[2:3], s[0:1], v1, s56, 0
	v_rcp_iflag_f32_e32 v4, v4
	v_mov_b32_e32 v6, v3
	s_bitcmp1_b32 s20, 0
	s_cselect_b64 s[4:5], -1, 0
	v_mul_f32_e32 v3, 0x4f7ffffe, v4
	v_rcp_iflag_f32_e32 v4, v7
	v_cvt_u32_f32_e32 v3, v3
	s_sub_i32 s58, 0, s54
	s_sub_i32 s59, 0, s55
	v_mul_f32_e32 v4, 0x4f7ffffe, v4
	v_cvt_u32_f32_e32 v4, v4
	v_mul_lo_u32 v7, s58, v3
	v_mul_hi_u32 v7, v3, v7
	v_add_u32_e32 v3, v3, v7
	v_mul_lo_u32 v7, s59, v4
	s_mul_i32 s19, s19, s18
	v_mul_hi_u32 v7, v4, v7
	v_mov_b32_e32 v5, 0
	s_lshl_b32 s57, s19, 2
	v_add_u32_e32 v7, v4, v7
	v_sub_u32_e32 v32, s33, v0
	s_mov_b64 s[20:21], 0
	s_mov_b32 s60, 0xd2511f53
	s_mov_b32 s61, 0xf1bbcdc8
                                        ; implicit-def: $sgpr22_sgpr23
                                        ; implicit-def: $sgpr24_sgpr25
                                        ; implicit-def: $sgpr26_sgpr27
                                        ; implicit-def: $sgpr18_sgpr19
                                        ; implicit-def: $sgpr28_sgpr29
                                        ; implicit-def: $sgpr30_sgpr31
                                        ; implicit-def: $sgpr34_sgpr35
                                        ; implicit-def: $sgpr36_sgpr37
	s_branch .LBB114_3
.LBB114_2:                              ;   in Loop: Header=BB114_3 Depth=1
	s_or_b64 exec, exec, s[38:39]
	s_and_b64 s[0:1], exec, s[0:1]
	s_or_b64 s[20:21], s[0:1], s[20:21]
	s_andn2_b64 s[0:1], s[18:19], exec
	s_and_b64 s[18:19], s[36:37], exec
	s_or_b64 s[18:19], s[0:1], s[18:19]
	s_andn2_b64 s[0:1], s[26:27], exec
	s_and_b64 s[26:27], s[34:35], exec
	;; [unrolled: 3-line block ×4, first 2 shown]
	s_or_b64 s[22:23], s[0:1], s[22:23]
	s_andn2_b64 exec, exec, s[20:21]
	s_cbranch_execz .LBB114_55
.LBB114_3:                              ; =>This Inner Loop Header: Depth=1
	v_cmp_lt_i32_e32 vcc, 0, v32
	v_mov_b32_e32 v8, 0
	s_and_saveexec_b64 s[38:39], vcc
	s_cbranch_execz .LBB114_5
; %bb.4:                                ;   in Loop: Header=BB114_3 Depth=1
	s_waitcnt vmcnt(3)
	v_mul_hi_u32 v4, v3, v0
	v_not_b32_e32 v10, v4
	s_waitcnt vmcnt(2)
	v_mad_u64_u32 v[8:9], s[0:1], s58, v4, v[0:1]
	v_add_u32_e32 v9, 1, v4
	v_cmp_le_u32_e64 s[0:1], s54, v8
	v_mad_u64_u32 v[10:11], s[40:41], s54, v10, v[0:1]
	v_cndmask_b32_e64 v4, v4, v9, s[0:1]
	v_cndmask_b32_e64 v8, v8, v10, s[0:1]
	v_add_u32_e32 v9, 1, v4
	v_cmp_le_u32_e64 s[0:1], s54, v8
	v_cndmask_b32_e64 v10, v4, v9, s[0:1]
	v_mad_u64_u32 v[8:9], s[0:1], s58, v10, v[0:1]
	v_mul_lo_u32 v4, v8, s7
	v_mad_u64_u32 v[8:9], s[0:1], v10, s6, v[4:5]
.LBB114_5:                              ;   in Loop: Header=BB114_3 Depth=1
	s_or_b64 exec, exec, s[38:39]
	s_waitcnt vmcnt(3)
	v_mov_b32_e32 v4, 0
	s_and_saveexec_b64 s[0:1], vcc
	s_cbranch_execz .LBB114_7
; %bb.6:                                ;   in Loop: Header=BB114_3 Depth=1
	v_mul_hi_u32 v4, v7, v0
	s_waitcnt vmcnt(2)
	v_not_b32_e32 v9, v4
	v_mad_u64_u32 v[10:11], s[38:39], s59, v4, v[0:1]
	v_add_u32_e32 v11, 1, v4
	v_cmp_le_u32_e32 vcc, s55, v10
	v_mad_u64_u32 v[12:13], s[38:39], s55, v9, v[0:1]
	v_cndmask_b32_e32 v4, v4, v11, vcc
	v_cndmask_b32_e32 v9, v10, v12, vcc
	v_add_u32_e32 v10, 1, v4
	v_cmp_le_u32_e32 vcc, s55, v9
	v_cndmask_b32_e32 v9, v4, v10, vcc
	v_mad_u64_u32 v[10:11], s[38:39], s59, v9, v[0:1]
	v_mul_lo_u32 v4, v10, s15
	v_mad_u64_u32 v[10:11], s[38:39], v9, s14, v[4:5]
	v_mov_b32_e32 v4, v10
.LBB114_7:                              ;   in Loop: Header=BB114_3 Depth=1
	s_or_b64 exec, exec, s[0:1]
	v_pk_mov_b32 v[14:15], 0, 0
	s_waitcnt vmcnt(2)
	v_add_u32_e32 v9, 1, v0
	v_cmp_lt_i32_e32 vcc, 1, v32
	v_pk_mov_b32 v[10:11], v[14:15], v[14:15] op_sel:[0,1]
	s_and_saveexec_b64 s[38:39], vcc
	s_cbranch_execz .LBB114_9
; %bb.8:                                ;   in Loop: Header=BB114_3 Depth=1
	v_mul_hi_u32 v10, v9, v3
	v_mul_lo_u32 v11, v10, s54
	v_sub_u32_e32 v11, v9, v11
	v_add_u32_e32 v12, 1, v10
	v_cmp_le_u32_e64 s[0:1], s54, v11
	v_cndmask_b32_e64 v10, v10, v12, s[0:1]
	v_subrev_u32_e32 v12, s54, v11
	v_cndmask_b32_e64 v11, v11, v12, s[0:1]
	v_add_u32_e32 v12, 1, v10
	v_cmp_le_u32_e64 s[0:1], s54, v11
	v_cndmask_b32_e64 v11, v10, v12, s[0:1]
	v_mul_lo_u32 v10, v11, s54
	v_sub_u32_e32 v10, v9, v10
	v_mul_lo_u32 v10, v10, s7
	v_mad_u64_u32 v[10:11], s[0:1], v11, s6, v[10:11]
	v_mov_b32_e32 v11, v5
.LBB114_9:                              ;   in Loop: Header=BB114_3 Depth=1
	s_or_b64 exec, exec, s[38:39]
	s_and_saveexec_b64 s[0:1], vcc
	s_cbranch_execz .LBB114_11
; %bb.10:                               ;   in Loop: Header=BB114_3 Depth=1
	v_mul_hi_u32 v12, v9, v7
	v_mul_lo_u32 v13, v12, s55
	v_sub_u32_e32 v13, v9, v13
	v_add_u32_e32 v14, 1, v12
	v_cmp_le_u32_e32 vcc, s55, v13
	v_cndmask_b32_e32 v12, v12, v14, vcc
	v_subrev_u32_e32 v14, s55, v13
	v_cndmask_b32_e32 v13, v13, v14, vcc
	v_add_u32_e32 v14, 1, v12
	v_cmp_le_u32_e32 vcc, s55, v13
	v_cndmask_b32_e32 v13, v12, v14, vcc
	v_mul_lo_u32 v12, v13, s55
	v_sub_u32_e32 v9, v9, v12
	v_mul_lo_u32 v12, v9, s15
	v_mad_u64_u32 v[14:15], s[38:39], v13, s14, v[12:13]
	v_mov_b32_e32 v15, v5
.LBB114_11:                             ;   in Loop: Header=BB114_3 Depth=1
	s_or_b64 exec, exec, s[0:1]
	v_pk_mov_b32 v[18:19], 0, 0
	v_add_u32_e32 v9, 2, v0
	v_cmp_lt_i32_e32 vcc, 2, v32
	v_pk_mov_b32 v[12:13], v[18:19], v[18:19] op_sel:[0,1]
	s_and_saveexec_b64 s[38:39], vcc
	s_cbranch_execz .LBB114_13
; %bb.12:                               ;   in Loop: Header=BB114_3 Depth=1
	v_mul_hi_u32 v12, v9, v3
	v_mul_lo_u32 v13, v12, s54
	v_sub_u32_e32 v13, v9, v13
	v_add_u32_e32 v16, 1, v12
	v_cmp_le_u32_e64 s[0:1], s54, v13
	v_cndmask_b32_e64 v12, v12, v16, s[0:1]
	v_subrev_u32_e32 v16, s54, v13
	v_cndmask_b32_e64 v13, v13, v16, s[0:1]
	v_add_u32_e32 v16, 1, v12
	v_cmp_le_u32_e64 s[0:1], s54, v13
	v_cndmask_b32_e64 v13, v12, v16, s[0:1]
	v_mul_lo_u32 v12, v13, s54
	v_sub_u32_e32 v12, v9, v12
	v_mul_lo_u32 v12, v12, s7
	v_mad_u64_u32 v[12:13], s[0:1], v13, s6, v[12:13]
	v_mov_b32_e32 v13, v5
.LBB114_13:                             ;   in Loop: Header=BB114_3 Depth=1
	s_or_b64 exec, exec, s[38:39]
	s_and_saveexec_b64 s[0:1], vcc
	s_cbranch_execz .LBB114_15
; %bb.14:                               ;   in Loop: Header=BB114_3 Depth=1
	v_mul_hi_u32 v16, v9, v7
	v_mul_lo_u32 v17, v16, s55
	v_sub_u32_e32 v17, v9, v17
	v_add_u32_e32 v18, 1, v16
	v_cmp_le_u32_e32 vcc, s55, v17
	v_cndmask_b32_e32 v16, v16, v18, vcc
	v_subrev_u32_e32 v18, s55, v17
	v_cndmask_b32_e32 v17, v17, v18, vcc
	v_add_u32_e32 v18, 1, v16
	v_cmp_le_u32_e32 vcc, s55, v17
	v_cndmask_b32_e32 v17, v16, v18, vcc
	v_mul_lo_u32 v16, v17, s55
	v_sub_u32_e32 v9, v9, v16
	v_mul_lo_u32 v16, v9, s15
	v_mad_u64_u32 v[18:19], s[38:39], v17, s14, v[16:17]
	v_mov_b32_e32 v19, v5
.LBB114_15:                             ;   in Loop: Header=BB114_3 Depth=1
	s_or_b64 exec, exec, s[0:1]
	v_pk_mov_b32 v[20:21], 0, 0
	v_add_u32_e32 v9, 3, v0
	v_cmp_lt_i32_e32 vcc, 3, v32
	v_pk_mov_b32 v[16:17], v[20:21], v[20:21] op_sel:[0,1]
	s_and_saveexec_b64 s[38:39], vcc
	s_cbranch_execz .LBB114_17
; %bb.16:                               ;   in Loop: Header=BB114_3 Depth=1
	v_mul_hi_u32 v16, v9, v3
	v_mul_lo_u32 v17, v16, s54
	v_sub_u32_e32 v17, v9, v17
	v_add_u32_e32 v22, 1, v16
	v_cmp_le_u32_e64 s[0:1], s54, v17
	v_cndmask_b32_e64 v16, v16, v22, s[0:1]
	v_subrev_u32_e32 v22, s54, v17
	v_cndmask_b32_e64 v17, v17, v22, s[0:1]
	v_add_u32_e32 v22, 1, v16
	v_cmp_le_u32_e64 s[0:1], s54, v17
	v_cndmask_b32_e64 v17, v16, v22, s[0:1]
	v_mul_lo_u32 v16, v17, s54
	v_sub_u32_e32 v16, v9, v16
	v_mul_lo_u32 v16, v16, s7
	v_mad_u64_u32 v[16:17], s[0:1], v17, s6, v[16:17]
	v_mov_b32_e32 v17, v5
.LBB114_17:                             ;   in Loop: Header=BB114_3 Depth=1
	s_or_b64 exec, exec, s[38:39]
	s_and_saveexec_b64 s[0:1], vcc
	s_cbranch_execz .LBB114_19
; %bb.18:                               ;   in Loop: Header=BB114_3 Depth=1
	v_mul_hi_u32 v20, v9, v7
	v_mul_lo_u32 v21, v20, s55
	v_sub_u32_e32 v21, v9, v21
	v_add_u32_e32 v22, 1, v20
	v_cmp_le_u32_e32 vcc, s55, v21
	v_cndmask_b32_e32 v20, v20, v22, vcc
	v_subrev_u32_e32 v22, s55, v21
	v_cndmask_b32_e32 v21, v21, v22, vcc
	v_add_u32_e32 v22, 1, v20
	v_cmp_le_u32_e32 vcc, s55, v21
	v_cndmask_b32_e32 v21, v20, v22, vcc
	v_mul_lo_u32 v20, v21, s55
	v_sub_u32_e32 v9, v9, v20
	v_mul_lo_u32 v20, v9, s15
	v_mad_u64_u32 v[20:21], s[38:39], v21, s14, v[20:21]
	v_mov_b32_e32 v21, v5
.LBB114_19:                             ;   in Loop: Header=BB114_3 Depth=1
	s_or_b64 exec, exec, s[0:1]
	v_lshlrev_b64 v[22:23], 2, v[4:5]
	v_mov_b32_e32 v4, s13
	v_add_co_u32_e32 v22, vcc, s12, v22
	v_addc_co_u32_e32 v23, vcc, v4, v23, vcc
	v_lshlrev_b64 v[14:15], 2, v[14:15]
	v_add_co_u32_e32 v14, vcc, s12, v14
	v_addc_co_u32_e32 v15, vcc, v4, v15, vcc
	v_lshlrev_b64 v[18:19], 2, v[18:19]
	;; [unrolled: 3-line block ×3, first 2 shown]
	v_add_co_u32_e32 v20, vcc, s12, v20
	v_addc_co_u32_e32 v21, vcc, v4, v21, vcc
	global_load_dword v4, v[22:23], off
	global_load_dword v9, v[14:15], off
	;; [unrolled: 1-line block ×4, first 2 shown]
	s_andn2_b64 vcc, exec, s[4:5]
	v_pk_mov_b32 v[14:15], s[10:11], s[10:11] op_sel:[0,1]
	v_pk_mov_b32 v[18:19], s[8:9], s[8:9] op_sel:[0,1]
	s_cbranch_vccnz .LBB114_21
; %bb.20:                               ;   in Loop: Header=BB114_3 Depth=1
	v_pk_mov_b32 v[14:15], s[10:11], s[10:11] op_sel:[0,1]
	flat_load_dwordx2 v[14:15], v[14:15]
	v_pk_mov_b32 v[18:19], s[8:9], s[8:9] op_sel:[0,1]
	flat_load_dwordx2 v[18:19], v[18:19]
	v_mov_b32_e32 v20, s17
	s_waitcnt vmcnt(0) lgkmcnt(0)
	v_add_co_u32_e32 v14, vcc, s16, v14
	v_addc_co_u32_e32 v15, vcc, v15, v20, vcc
.LBB114_21:                             ;   in Loop: Header=BB114_3 Depth=1
	v_alignbit_b32 v28, v15, v14, 2
	v_lshrrev_b32_e32 v29, 2, v15
	v_xor_b32_e32 v20, v6, v18
	v_and_b32_e32 v35, 3, v14
	v_mad_u64_u32 v[14:15], s[0:1], v28, s60, 0
	v_xor_b32_e32 v20, v20, v29
	v_xor_b32_e32 v15, v15, v19
	v_add_u32_e32 v40, 0xbb67ae85, v19
	v_mad_u64_u32 v[20:21], s[0:1], v20, s60, 0
	v_mad_u64_u32 v[22:23], s[0:1], v15, s56, 0
	v_xor_b32_e32 v21, v40, v21
	v_add_u32_e32 v39, 0x9e3779b9, v18
	v_xor_b32_e32 v15, v2, v23
	v_xor_b32_e32 v21, v21, v14
	v_xor_b32_e32 v15, v15, v39
	v_add_u32_e32 v41, 0x3c6ef372, v18
	v_mad_u64_u32 v[24:25], s[0:1], v21, s56, 0
	v_add_u32_e32 v42, 0x76cf5d0a, v19
	v_mad_u64_u32 v[14:15], s[0:1], v15, s60, 0
	v_xor_b32_e32 v21, v41, v25
	v_xor_b32_e32 v21, v21, v22
	v_xor_b32_e32 v15, v42, v15
	v_xor_b32_e32 v15, v15, v20
	v_add_u32_e32 v44, 0x32370b8f, v19
	v_mad_u64_u32 v[20:21], s[0:1], v21, s60, 0
	v_add_u32_e32 v43, 0xdaa66d2b, v18
	v_mad_u64_u32 v[22:23], s[0:1], v15, s56, 0
	v_xor_b32_e32 v21, v44, v21
	;; [unrolled: 8-line block ×5, first 2 shown]
	v_xor_b32_e32 v21, v21, v22
	v_xor_b32_e32 v15, v50, v15
	;; [unrolled: 1-line block ×3, first 2 shown]
	v_add_u32_e32 v52, 0x1fd5c5a3, v19
	v_mad_u64_u32 v[20:21], s[0:1], v21, s60, 0
	v_xor_b32_e32 v21, v52, v21
	v_xor_b32_e32 v14, v21, v14
	v_add_u32_e32 v51, 0x5384540f, v18
	v_mad_u64_u32 v[26:27], s[0:1], v15, s56, 0
	v_add_co_u32_e32 v37, vcc, s61, v18
	v_mad_u64_u32 v[22:23], s[0:1], v14, s56, 0
	v_xor_b32_e32 v15, v51, v27
	v_xor_b32_e32 v14, v37, v23
	;; [unrolled: 1-line block ×4, first 2 shown]
	v_mad_u64_u32 v[24:25], s[0:1], v15, s60, 0
	v_mad_u64_u32 v[14:15], s[0:1], v14, s60, 0
	v_add_u32_e32 v38, 0x96a522ad, v19
	v_xor_b32_e32 v15, v15, v24
	v_xor_b32_e32 v36, v38, v15
	v_add_co_u32_e32 v15, vcc, 1, v28
	v_cndmask_b32_e64 v24, 0, 1, vcc
	v_addc_co_u32_e32 v30, vcc, 0, v29, vcc
	v_cmp_eq_u32_e32 vcc, 0, v30
	v_cndmask_b32_e32 v24, 0, v24, vcc
	v_add_u32_e32 v28, v24, v1
	v_cmp_eq_u32_e32 vcc, 0, v28
	v_mad_u64_u32 v[26:27], s[0:1], v15, s60, 0
	v_mad_u64_u32 v[28:29], s[0:1], v28, s56, 0
	v_add_u32_e32 v23, 0x8ff34781, v18
	v_cndmask_b32_e32 v24, 0, v24, vcc
	v_xor_b32_e32 v15, v29, v18
	v_xor_b32_e32 v18, v27, v19
	;; [unrolled: 1-line block ×4, first 2 shown]
	v_mad_u64_u32 v[30:31], s[0:1], v24, s56, 0
	v_add_u32_e32 v21, 0xdb3d7428, v19
	v_mad_u64_u32 v[18:19], s[0:1], v15, s60, 0
	v_xor_b32_e32 v15, v39, v31
	v_xor_b32_e32 v15, v15, v28
	v_xor_b32_e32 v19, v40, v19
	v_xor_b32_e32 v19, v19, v26
	v_mad_u64_u32 v[26:27], s[0:1], v15, s60, 0
	v_mad_u64_u32 v[28:29], s[0:1], v19, s56, 0
	v_xor_b32_e32 v19, v42, v27
	v_xor_b32_e32 v15, v41, v29
	v_xor_b32_e32 v24, v19, v18
	v_xor_b32_e32 v15, v15, v30
	v_mad_u64_u32 v[30:31], s[0:1], v24, s56, 0
	;; [unrolled: 6-line block ×7, first 2 shown]
	v_xor_b32_e32 v15, v21, v29
	v_xor_b32_e32 v15, v15, v18
	v_mad_u64_u32 v[30:31], s[0:1], v19, s56, 0
	v_mad_u64_u32 v[18:19], s[0:1], v15, s56, 0
	v_xor_b32_e32 v15, v19, v30
	v_xor_b32_e32 v15, v23, v15
	v_cmp_lt_i32_e32 vcc, 1, v35
                                        ; implicit-def: $vgpr27
	s_and_saveexec_b64 s[0:1], vcc
	s_xor_b64 s[0:1], exec, s[0:1]
	s_cbranch_execz .LBB114_27
; %bb.22:                               ;   in Loop: Header=BB114_3 Depth=1
	v_cmp_lt_i32_e32 vcc, 2, v35
                                        ; implicit-def: $vgpr27
	s_and_saveexec_b64 s[38:39], vcc
	s_xor_b64 s[38:39], exec, s[38:39]
; %bb.23:                               ;   in Loop: Header=BB114_3 Depth=1
	v_xor_b32_e32 v19, v37, v31
	v_xor_b32_e32 v19, v19, v26
	v_mul_hi_u32 v19, v19, s60
	v_xor_b32_e32 v19, v19, v28
	v_xor_b32_e32 v27, v38, v19
                                        ; implicit-def: $vgpr36
; %bb.24:                               ;   in Loop: Header=BB114_3 Depth=1
	s_andn2_saveexec_b64 s[38:39], s[38:39]
; %bb.25:                               ;   in Loop: Header=BB114_3 Depth=1
	v_mov_b32_e32 v27, v18
	v_mov_b32_e32 v18, v15
	;; [unrolled: 1-line block ×4, first 2 shown]
; %bb.26:                               ;   in Loop: Header=BB114_3 Depth=1
	s_or_b64 exec, exec, s[38:39]
                                        ; implicit-def: $vgpr20_vgpr21
                                        ; implicit-def: $vgpr22_vgpr23
                                        ; implicit-def: $vgpr35
                                        ; implicit-def: $vgpr36
                                        ; implicit-def: $vgpr24_vgpr25
                                        ; implicit-def: $vgpr21
                                        ; implicit-def: $vgpr23
.LBB114_27:                             ;   in Loop: Header=BB114_3 Depth=1
	s_andn2_saveexec_b64 s[0:1], s[0:1]
	s_cbranch_execz .LBB114_31
; %bb.28:                               ;   in Loop: Header=BB114_3 Depth=1
	v_xor_b32_e32 v18, v21, v25
	v_xor_b32_e32 v18, v18, v20
	v_mad_u64_u32 v[20:21], s[38:39], v18, s56, 0
	v_xor_b32_e32 v18, v21, v22
	v_xor_b32_e32 v19, v23, v18
	v_cmp_eq_u32_e32 vcc, 1, v35
	v_mov_b32_e32 v27, v14
	v_mov_b32_e32 v18, v36
	;; [unrolled: 1-line block ×3, first 2 shown]
	s_and_saveexec_b64 s[38:39], vcc
; %bb.29:                               ;   in Loop: Header=BB114_3 Depth=1
	v_mov_b32_e32 v27, v15
	v_mov_b32_e32 v18, v14
	;; [unrolled: 1-line block ×4, first 2 shown]
; %bb.30:                               ;   in Loop: Header=BB114_3 Depth=1
	s_or_b64 exec, exec, s[38:39]
	v_mov_b32_e32 v14, v19
	v_mov_b32_e32 v15, v21
.LBB114_31:                             ;   in Loop: Header=BB114_3 Depth=1
	s_or_b64 exec, exec, s[0:1]
	v_min_i32_e32 v19, 4, v32
	v_cmp_lt_i32_e32 vcc, 2, v19
	s_mov_b64 s[38:39], 0
	s_mov_b64 s[50:51], 0
                                        ; implicit-def: $sgpr40_sgpr41
                                        ; implicit-def: $sgpr42_sgpr43
                                        ; implicit-def: $sgpr44_sgpr45
	s_and_saveexec_b64 s[0:1], vcc
	s_xor_b64 s[46:47], exec, s[0:1]
	s_cbranch_execz .LBB114_41
; %bb.32:                               ;   in Loop: Header=BB114_3 Depth=1
	v_cmp_lt_i32_e32 vcc, 3, v19
	s_mov_b64 s[44:45], -1
                                        ; implicit-def: $sgpr40_sgpr41
                                        ; implicit-def: $sgpr48_sgpr49
	s_and_saveexec_b64 s[42:43], vcc
	s_cbranch_execz .LBB114_36
; %bb.33:                               ;   in Loop: Header=BB114_3 Depth=1
	s_waitcnt vmcnt(0)
	v_cmp_le_f32_e32 vcc, 0, v34
	v_cmp_ge_f32_e64 s[0:1], 1.0, v34
	s_and_b64 s[48:49], vcc, s[0:1]
	s_mov_b64 s[40:41], 0
	s_mov_b64 s[0:1], 0
	s_and_saveexec_b64 s[44:45], s[48:49]
	s_cbranch_execz .LBB114_35
; %bb.34:                               ;   in Loop: Header=BB114_3 Depth=1
	v_cvt_f32_u32_e32 v20, v27
	v_mov_b32_e32 v21, 0x2f800000
	v_mov_b32_e32 v22, s3
	v_add_co_u32_e32 v16, vcc, s2, v16
	v_fmac_f32_e32 v21, 0x2f800000, v20
	v_addc_co_u32_e32 v17, vcc, v22, v17, vcc
	v_cmp_le_f32_e32 vcc, v21, v34
	s_mov_b64 s[0:1], exec
	v_cndmask_b32_e64 v20, 0, 1, vcc
	global_store_byte v[16:17], v20, off
.LBB114_35:                             ;   in Loop: Header=BB114_3 Depth=1
	s_or_b64 exec, exec, s[44:45]
	s_mov_b64 s[48:49], -1
	s_orn2_b64 s[44:45], s[0:1], exec
.LBB114_36:                             ;   in Loop: Header=BB114_3 Depth=1
	s_or_b64 exec, exec, s[42:43]
	s_mov_b64 s[0:1], 0
	s_mov_b64 s[50:51], s[40:41]
	s_and_saveexec_b64 s[42:43], s[44:45]
	s_cbranch_execz .LBB114_40
; %bb.37:                               ;   in Loop: Header=BB114_3 Depth=1
	s_waitcnt vmcnt(1)
	v_cmp_le_f32_e32 vcc, 0, v33
	v_cmp_ge_f32_e64 s[0:1], 1.0, v33
	s_and_b64 s[44:45], vcc, s[0:1]
	s_mov_b64 s[0:1], 0
	s_and_saveexec_b64 s[50:51], s[44:45]
	s_xor_b64 s[44:45], exec, s[50:51]
	s_cbranch_execz .LBB114_39
; %bb.38:                               ;   in Loop: Header=BB114_3 Depth=1
	v_cvt_f32_u32_e32 v16, v18
	v_mov_b32_e32 v17, 0x2f800000
	v_mov_b32_e32 v18, s3
	v_add_co_u32_e32 v12, vcc, s2, v12
	v_fmac_f32_e32 v17, 0x2f800000, v16
	v_addc_co_u32_e32 v13, vcc, v18, v13, vcc
	v_cmp_le_f32_e32 vcc, v17, v33
	v_cndmask_b32_e64 v16, 0, 1, vcc
	s_mov_b64 s[0:1], exec
	global_store_byte v[12:13], v16, off
.LBB114_39:                             ;   in Loop: Header=BB114_3 Depth=1
	s_or_b64 exec, exec, s[44:45]
	s_andn2_b64 s[50:51], s[40:41], exec
	s_or_b64 s[40:41], s[40:41], exec
	s_andn2_b64 s[48:49], s[48:49], exec
	s_and_b64 s[0:1], s[0:1], exec
.LBB114_40:                             ;   in Loop: Header=BB114_3 Depth=1
	s_or_b64 exec, exec, s[42:43]
	s_and_b64 s[44:45], s[50:51], exec
	s_and_b64 s[42:43], s[40:41], exec
	;; [unrolled: 1-line block ×4, first 2 shown]
.LBB114_41:                             ;   in Loop: Header=BB114_3 Depth=1
	s_andn2_saveexec_b64 s[0:1], s[46:47]
; %bb.42:                               ;   in Loop: Header=BB114_3 Depth=1
	v_cmp_lt_i32_e32 vcc, 1, v19
	s_andn2_b64 s[46:47], s[50:51], exec
	s_and_b64 s[48:49], vcc, exec
	s_mov_b64 s[38:39], exec
	s_andn2_b64 s[44:45], s[44:45], exec
	s_andn2_b64 s[42:43], s[42:43], exec
	;; [unrolled: 1-line block ×3, first 2 shown]
	s_or_b64 s[50:51], s[46:47], s[48:49]
; %bb.43:                               ;   in Loop: Header=BB114_3 Depth=1
	s_or_b64 exec, exec, s[0:1]
	s_mov_b64 s[46:47], 0
	s_mov_b64 s[0:1], 0
	;; [unrolled: 1-line block ×3, first 2 shown]
	s_and_saveexec_b64 s[52:53], s[50:51]
	s_cbranch_execnz .LBB114_46
; %bb.44:                               ;   in Loop: Header=BB114_3 Depth=1
	s_or_b64 exec, exec, s[52:53]
	s_and_saveexec_b64 s[50:51], s[38:39]
	s_cbranch_execnz .LBB114_49
.LBB114_45:                             ;   in Loop: Header=BB114_3 Depth=1
	s_or_b64 exec, exec, s[50:51]
	s_and_saveexec_b64 s[38:39], s[0:1]
	s_cbranch_execnz .LBB114_50
	s_branch .LBB114_53
.LBB114_46:                             ;   in Loop: Header=BB114_3 Depth=1
	s_waitcnt vmcnt(2)
	v_cmp_le_f32_e32 vcc, 0, v9
	v_cmp_ge_f32_e64 s[0:1], 1.0, v9
	s_and_b64 s[48:49], vcc, s[0:1]
	s_mov_b64 s[0:1], 0
	s_and_saveexec_b64 s[50:51], s[48:49]
	s_xor_b64 s[48:49], exec, s[50:51]
	s_cbranch_execz .LBB114_48
; %bb.47:                               ;   in Loop: Header=BB114_3 Depth=1
	v_cvt_f32_u32_e32 v12, v15
	v_mov_b32_e32 v13, 0x2f800000
	v_mov_b32_e32 v15, s3
	v_add_co_u32_e32 v10, vcc, s2, v10
	v_fmac_f32_e32 v13, 0x2f800000, v12
	v_addc_co_u32_e32 v11, vcc, v15, v11, vcc
	v_cmp_le_f32_e32 vcc, v13, v9
	v_cndmask_b32_e64 v9, 0, 1, vcc
	s_mov_b64 s[0:1], exec
	global_store_byte v[10:11], v9, off
.LBB114_48:                             ;   in Loop: Header=BB114_3 Depth=1
	s_or_b64 exec, exec, s[48:49]
	s_andn2_b64 s[48:49], s[44:45], exec
	s_or_b64 s[44:45], s[44:45], exec
	s_andn2_b64 s[42:43], s[42:43], exec
	s_andn2_b64 s[40:41], s[40:41], exec
	s_and_b64 s[0:1], s[0:1], exec
	s_andn2_b64 s[38:39], s[38:39], exec
	s_or_b64 exec, exec, s[52:53]
	s_and_saveexec_b64 s[50:51], s[38:39]
	s_cbranch_execz .LBB114_45
.LBB114_49:                             ;   in Loop: Header=BB114_3 Depth=1
	v_cmp_eq_u32_e32 vcc, 1, v19
	s_andn2_b64 s[0:1], s[0:1], exec
	s_and_b64 s[38:39], vcc, exec
	s_mov_b64 s[46:47], exec
	s_andn2_b64 s[48:49], s[48:49], exec
	s_andn2_b64 s[44:45], s[44:45], exec
	;; [unrolled: 1-line block ×4, first 2 shown]
	s_or_b64 s[0:1], s[0:1], s[38:39]
	s_or_b64 exec, exec, s[50:51]
	s_and_saveexec_b64 s[38:39], s[0:1]
	s_cbranch_execz .LBB114_53
.LBB114_50:                             ;   in Loop: Header=BB114_3 Depth=1
	s_waitcnt vmcnt(3)
	v_cmp_le_f32_e32 vcc, 0, v4
	v_cmp_ge_f32_e64 s[0:1], 1.0, v4
	s_and_b64 s[52:53], vcc, s[0:1]
	s_mov_b64 s[0:1], 0
	s_and_saveexec_b64 s[50:51], s[52:53]
	s_cbranch_execz .LBB114_52
; %bb.51:                               ;   in Loop: Header=BB114_3 Depth=1
	s_waitcnt vmcnt(2)
	v_cvt_f32_u32_e32 v9, v14
	v_mov_b32_e32 v10, 0x2f800000
	s_mov_b64 s[0:1], exec
	v_fmac_f32_e32 v10, 0x2f800000, v9
	v_cmp_le_f32_e32 vcc, v10, v4
	v_cndmask_b32_e64 v4, 0, 1, vcc
	global_store_byte v8, v4, s[2:3]
.LBB114_52:                             ;   in Loop: Header=BB114_3 Depth=1
	s_or_b64 exec, exec, s[50:51]
	s_andn2_b64 s[46:47], s[46:47], exec
	s_and_b64 s[0:1], s[0:1], exec
	s_or_b64 s[48:49], s[48:49], exec
	s_andn2_b64 s[44:45], s[44:45], exec
	s_andn2_b64 s[42:43], s[42:43], exec
	;; [unrolled: 1-line block ×3, first 2 shown]
	s_or_b64 s[46:47], s[46:47], s[0:1]
.LBB114_53:                             ;   in Loop: Header=BB114_3 Depth=1
	s_or_b64 exec, exec, s[38:39]
	s_andn2_b64 s[36:37], s[36:37], exec
	s_and_b64 s[38:39], s[48:49], exec
	s_or_b64 s[36:37], s[36:37], s[38:39]
	s_andn2_b64 s[34:35], s[34:35], exec
	s_and_b64 s[38:39], s[44:45], exec
	s_or_b64 s[34:35], s[34:35], s[38:39]
	;; [unrolled: 3-line block ×3, first 2 shown]
	s_andn2_b64 s[28:29], s[28:29], exec
	s_and_b64 s[38:39], s[40:41], exec
	s_mov_b64 s[0:1], -1
	s_or_b64 s[28:29], s[28:29], s[38:39]
	s_and_saveexec_b64 s[38:39], s[46:47]
	s_cbranch_execz .LBB114_2
; %bb.54:                               ;   in Loop: Header=BB114_3 Depth=1
	v_add_u32_e32 v0, s57, v0
	v_cmp_le_u32_e32 vcc, s33, v0
	v_subrev_u32_e32 v32, s57, v32
	s_andn2_b64 s[36:37], s[36:37], exec
	s_andn2_b64 s[34:35], s[34:35], exec
	;; [unrolled: 1-line block ×4, first 2 shown]
	s_orn2_b64 s[0:1], vcc, exec
	s_branch .LBB114_2
.LBB114_55:
	s_or_b64 exec, exec, s[20:21]
	s_xor_b64 s[6:7], s[26:27], -1
	s_xor_b64 s[8:9], s[24:25], -1
	;; [unrolled: 1-line block ×3, first 2 shown]
	s_mov_b64 s[2:3], 0
	s_and_saveexec_b64 s[4:5], s[0:1]
	s_xor_b64 s[0:1], exec, s[4:5]
	s_cbranch_execnz .LBB114_60
; %bb.56:
	s_andn2_saveexec_b64 s[0:1], s[0:1]
	s_cbranch_execnz .LBB114_68
.LBB114_57:
	s_or_b64 exec, exec, s[0:1]
	s_and_b64 exec, exec, s[2:3]
.LBB114_58:
	; divergent unreachable
.LBB114_59:
	s_endpgm
.LBB114_60:
	s_mov_b64 s[4:5], 0
	s_and_saveexec_b64 s[2:3], s[8:9]
	s_xor_b64 s[2:3], exec, s[2:3]
	s_cbranch_execz .LBB114_66
; %bb.61:
	s_and_saveexec_b64 s[8:9], s[6:7]
	s_xor_b64 s[6:7], exec, s[8:9]
	s_cbranch_execz .LBB114_64
; %bb.62:
	s_and_saveexec_b64 s[8:9], s[18:19]
	s_xor_b64 s[8:9], exec, s[8:9]
	s_cbranch_execnz .LBB114_71
.LBB114_63:
	s_or_b64 exec, exec, s[8:9]
	s_and_b64 s[4:5], s[4:5], exec
.LBB114_64:
	s_andn2_saveexec_b64 s[6:7], s[6:7]
	s_cbranch_execnz .LBB114_70
.LBB114_65:
	s_or_b64 exec, exec, s[6:7]
	s_and_b64 s[4:5], s[4:5], exec
.LBB114_66:
	s_andn2_saveexec_b64 s[2:3], s[2:3]
	s_cbranch_execnz .LBB114_69
.LBB114_67:
	s_or_b64 exec, exec, s[2:3]
	s_and_b64 s[2:3], s[4:5], exec
	s_andn2_saveexec_b64 s[0:1], s[0:1]
	s_cbranch_execz .LBB114_57
.LBB114_68:
	s_or_b64 s[2:3], s[2:3], exec
	s_trap 2
	s_or_b64 exec, exec, s[0:1]
	s_and_b64 exec, exec, s[2:3]
	s_cbranch_execnz .LBB114_58
	s_branch .LBB114_59
.LBB114_69:
	s_or_b64 s[4:5], s[4:5], exec
	s_trap 2
	s_branch .LBB114_67
.LBB114_70:
	s_trap 2
	s_or_b64 s[4:5], s[4:5], exec
	s_branch .LBB114_65
.LBB114_71:
	s_mov_b64 s[4:5], exec
	s_trap 2
	s_branch .LBB114_63
	.section	.rodata,"a",@progbits
	.p2align	6, 0x0
	.amdhsa_kernel _ZN2at4cuda12_GLOBAL__N_121kernelPointwiseApply2IZNS_6native9templates4cuda28bernoulli_tensor_cuda_kernelIbfEEvRKNS_10TensorBaseES9_NS_15PhiloxCudaStateEEUliRbSB_SB_SB_RKfSD_SD_SD_E_bSC_jLi2ELi2ELi4ELi512ELi2EEEvNS0_6detail10TensorInfoIT0_T2_EENSG_IT1_SI_EESI_T_
		.amdhsa_group_segment_fixed_size 0
		.amdhsa_private_segment_fixed_size 0
		.amdhsa_kernarg_size 728
		.amdhsa_user_sgpr_count 6
		.amdhsa_user_sgpr_private_segment_buffer 1
		.amdhsa_user_sgpr_dispatch_ptr 0
		.amdhsa_user_sgpr_queue_ptr 0
		.amdhsa_user_sgpr_kernarg_segment_ptr 1
		.amdhsa_user_sgpr_dispatch_id 0
		.amdhsa_user_sgpr_flat_scratch_init 0
		.amdhsa_user_sgpr_kernarg_preload_length 0
		.amdhsa_user_sgpr_kernarg_preload_offset 0
		.amdhsa_user_sgpr_private_segment_size 0
		.amdhsa_uses_dynamic_stack 0
		.amdhsa_system_sgpr_private_segment_wavefront_offset 0
		.amdhsa_system_sgpr_workgroup_id_x 1
		.amdhsa_system_sgpr_workgroup_id_y 0
		.amdhsa_system_sgpr_workgroup_id_z 0
		.amdhsa_system_sgpr_workgroup_info 0
		.amdhsa_system_vgpr_workitem_id 0
		.amdhsa_next_free_vgpr 53
		.amdhsa_next_free_sgpr 62
		.amdhsa_accum_offset 56
		.amdhsa_reserve_vcc 1
		.amdhsa_reserve_flat_scratch 0
		.amdhsa_float_round_mode_32 0
		.amdhsa_float_round_mode_16_64 0
		.amdhsa_float_denorm_mode_32 3
		.amdhsa_float_denorm_mode_16_64 3
		.amdhsa_dx10_clamp 1
		.amdhsa_ieee_mode 1
		.amdhsa_fp16_overflow 0
		.amdhsa_tg_split 0
		.amdhsa_exception_fp_ieee_invalid_op 0
		.amdhsa_exception_fp_denorm_src 0
		.amdhsa_exception_fp_ieee_div_zero 0
		.amdhsa_exception_fp_ieee_overflow 0
		.amdhsa_exception_fp_ieee_underflow 0
		.amdhsa_exception_fp_ieee_inexact 0
		.amdhsa_exception_int_div_zero 0
	.end_amdhsa_kernel
	.section	.text._ZN2at4cuda12_GLOBAL__N_121kernelPointwiseApply2IZNS_6native9templates4cuda28bernoulli_tensor_cuda_kernelIbfEEvRKNS_10TensorBaseES9_NS_15PhiloxCudaStateEEUliRbSB_SB_SB_RKfSD_SD_SD_E_bSC_jLi2ELi2ELi4ELi512ELi2EEEvNS0_6detail10TensorInfoIT0_T2_EENSG_IT1_SI_EESI_T_,"axG",@progbits,_ZN2at4cuda12_GLOBAL__N_121kernelPointwiseApply2IZNS_6native9templates4cuda28bernoulli_tensor_cuda_kernelIbfEEvRKNS_10TensorBaseES9_NS_15PhiloxCudaStateEEUliRbSB_SB_SB_RKfSD_SD_SD_E_bSC_jLi2ELi2ELi4ELi512ELi2EEEvNS0_6detail10TensorInfoIT0_T2_EENSG_IT1_SI_EESI_T_,comdat
.Lfunc_end114:
	.size	_ZN2at4cuda12_GLOBAL__N_121kernelPointwiseApply2IZNS_6native9templates4cuda28bernoulli_tensor_cuda_kernelIbfEEvRKNS_10TensorBaseES9_NS_15PhiloxCudaStateEEUliRbSB_SB_SB_RKfSD_SD_SD_E_bSC_jLi2ELi2ELi4ELi512ELi2EEEvNS0_6detail10TensorInfoIT0_T2_EENSG_IT1_SI_EESI_T_, .Lfunc_end114-_ZN2at4cuda12_GLOBAL__N_121kernelPointwiseApply2IZNS_6native9templates4cuda28bernoulli_tensor_cuda_kernelIbfEEvRKNS_10TensorBaseES9_NS_15PhiloxCudaStateEEUliRbSB_SB_SB_RKfSD_SD_SD_E_bSC_jLi2ELi2ELi4ELi512ELi2EEEvNS0_6detail10TensorInfoIT0_T2_EENSG_IT1_SI_EESI_T_
                                        ; -- End function
	.section	.AMDGPU.csdata,"",@progbits
; Kernel info:
; codeLenInByte = 3404
; NumSgprs: 66
; NumVgprs: 53
; NumAgprs: 0
; TotalNumVgprs: 53
; ScratchSize: 0
; MemoryBound: 0
; FloatMode: 240
; IeeeMode: 1
; LDSByteSize: 0 bytes/workgroup (compile time only)
; SGPRBlocks: 8
; VGPRBlocks: 6
; NumSGPRsForWavesPerEU: 66
; NumVGPRsForWavesPerEU: 53
; AccumOffset: 56
; Occupancy: 8
; WaveLimiterHint : 1
; COMPUTE_PGM_RSRC2:SCRATCH_EN: 0
; COMPUTE_PGM_RSRC2:USER_SGPR: 6
; COMPUTE_PGM_RSRC2:TRAP_HANDLER: 0
; COMPUTE_PGM_RSRC2:TGID_X_EN: 1
; COMPUTE_PGM_RSRC2:TGID_Y_EN: 0
; COMPUTE_PGM_RSRC2:TGID_Z_EN: 0
; COMPUTE_PGM_RSRC2:TIDIG_COMP_CNT: 0
; COMPUTE_PGM_RSRC3_GFX90A:ACCUM_OFFSET: 13
; COMPUTE_PGM_RSRC3_GFX90A:TG_SPLIT: 0
	.section	.text._ZN2at4cuda12_GLOBAL__N_121kernelPointwiseApply2IZNS_6native9templates4cuda28bernoulli_tensor_cuda_kernelIbfEEvRKNS_10TensorBaseES9_NS_15PhiloxCudaStateEEUliRbSB_SB_SB_RKfSD_SD_SD_E_bSC_jLi2ELin1ELi4ELi512ELi2EEEvNS0_6detail10TensorInfoIT0_T2_EENSG_IT1_SI_EESI_T_,"axG",@progbits,_ZN2at4cuda12_GLOBAL__N_121kernelPointwiseApply2IZNS_6native9templates4cuda28bernoulli_tensor_cuda_kernelIbfEEvRKNS_10TensorBaseES9_NS_15PhiloxCudaStateEEUliRbSB_SB_SB_RKfSD_SD_SD_E_bSC_jLi2ELin1ELi4ELi512ELi2EEEvNS0_6detail10TensorInfoIT0_T2_EENSG_IT1_SI_EESI_T_,comdat
	.globl	_ZN2at4cuda12_GLOBAL__N_121kernelPointwiseApply2IZNS_6native9templates4cuda28bernoulli_tensor_cuda_kernelIbfEEvRKNS_10TensorBaseES9_NS_15PhiloxCudaStateEEUliRbSB_SB_SB_RKfSD_SD_SD_E_bSC_jLi2ELin1ELi4ELi512ELi2EEEvNS0_6detail10TensorInfoIT0_T2_EENSG_IT1_SI_EESI_T_ ; -- Begin function _ZN2at4cuda12_GLOBAL__N_121kernelPointwiseApply2IZNS_6native9templates4cuda28bernoulli_tensor_cuda_kernelIbfEEvRKNS_10TensorBaseES9_NS_15PhiloxCudaStateEEUliRbSB_SB_SB_RKfSD_SD_SD_E_bSC_jLi2ELin1ELi4ELi512ELi2EEEvNS0_6detail10TensorInfoIT0_T2_EENSG_IT1_SI_EESI_T_
	.p2align	8
	.type	_ZN2at4cuda12_GLOBAL__N_121kernelPointwiseApply2IZNS_6native9templates4cuda28bernoulli_tensor_cuda_kernelIbfEEvRKNS_10TensorBaseES9_NS_15PhiloxCudaStateEEUliRbSB_SB_SB_RKfSD_SD_SD_E_bSC_jLi2ELin1ELi4ELi512ELi2EEEvNS0_6detail10TensorInfoIT0_T2_EENSG_IT1_SI_EESI_T_,@function
_ZN2at4cuda12_GLOBAL__N_121kernelPointwiseApply2IZNS_6native9templates4cuda28bernoulli_tensor_cuda_kernelIbfEEvRKNS_10TensorBaseES9_NS_15PhiloxCudaStateEEUliRbSB_SB_SB_RKfSD_SD_SD_E_bSC_jLi2ELin1ELi4ELi512ELi2EEEvNS0_6detail10TensorInfoIT0_T2_EENSG_IT1_SI_EESI_T_: ; @_ZN2at4cuda12_GLOBAL__N_121kernelPointwiseApply2IZNS_6native9templates4cuda28bernoulli_tensor_cuda_kernelIbfEEvRKNS_10TensorBaseES9_NS_15PhiloxCudaStateEEUliRbSB_SB_SB_RKfSD_SD_SD_E_bSC_jLi2ELin1ELi4ELi512ELi2EEEvNS0_6detail10TensorInfoIT0_T2_EENSG_IT1_SI_EESI_T_
; %bb.0:
	s_load_dword s2, s[4:5], 0x1e4
	s_load_dword s33, s[4:5], 0x1b0
	s_add_u32 s0, s4, 0x1d8
	s_addc_u32 s1, s5, 0
	s_waitcnt lgkmcnt(0)
	s_and_b32 s2, s2, 0xffff
	s_mul_i32 s6, s6, s2
	v_add_u32_e32 v5, s6, v0
	v_lshlrev_b32_e32 v30, 2, v5
	v_cmp_gt_u32_e32 vcc, s33, v30
	s_and_saveexec_b64 s[6:7], vcc
	s_cbranch_execz .LBB115_73
; %bb.1:
	s_load_dword s3, s[0:1], 0x0
	s_load_dwordx2 s[6:7], s[4:5], 0x1c8
	s_load_dwordx4 s[8:11], s[4:5], 0x1b8
	s_load_dword s20, s[4:5], 0x1a8
	s_load_dwordx2 s[12:13], s[4:5], 0x0
	s_load_dword s54, s[4:5], 0xc
	s_waitcnt lgkmcnt(0)
	s_mul_i32 s21, s3, s2
	s_load_dword s2, s[4:5], 0x1d0
	s_load_dword s55, s[4:5], 0x144
	s_add_u32 s18, s4, 0xd8
	s_addc_u32 s19, s5, 0
	v_cvt_f32_u32_e32 v0, s54
	s_cmp_gt_i32 s20, 1
	s_mov_b32 s56, 0xcd9e8d57
	s_cselect_b64 s[0:1], -1, 0
	v_rcp_iflag_f32_e32 v2, v0
	s_waitcnt lgkmcnt(0)
	s_bitcmp1_b32 s2, 0
	v_mad_u64_u32 v[0:1], s[2:3], v5, s56, 0
	v_mul_f32_e32 v2, 0x4f7ffffe, v2
	v_cvt_u32_f32_e32 v2, v2
	s_load_dwordx2 s[14:15], s[4:5], 0x6c
	s_load_dwordx2 s[16:17], s[4:5], 0xd8
	s_cselect_b64 s[4:5], -1, 0
	s_sub_i32 s2, 0, s54
	s_mov_b32 s3, 0
	v_mov_b32_e32 v4, v1
	v_mul_lo_u32 v1, s2, v2
	s_add_i32 s2, s20, -1
	s_lshl_b32 s57, s21, 2
	s_add_i32 s58, s20, 1
	s_lshl_b64 s[2:3], s[2:3], 2
	s_add_u32 s2, s2, s18
	s_addc_u32 s3, s3, s19
	v_mul_hi_u32 v1, v2, v1
	s_add_u32 s20, s2, 8
	v_mov_b32_e32 v3, 0
	v_add_u32_e32 v1, v2, v1
	s_addc_u32 s21, s3, 0
	s_mov_b64 s[22:23], 0
	v_cndmask_b32_e64 v31, 0, 1, s[0:1]
	s_mov_b32 s59, 0xd2511f53
	s_mov_b32 s60, 0xf1bbcdc8
                                        ; implicit-def: $sgpr24_sgpr25
                                        ; implicit-def: $sgpr26_sgpr27
                                        ; implicit-def: $sgpr28_sgpr29
                                        ; implicit-def: $sgpr18_sgpr19
                                        ; implicit-def: $sgpr30_sgpr31
                                        ; implicit-def: $sgpr34_sgpr35
                                        ; implicit-def: $sgpr36_sgpr37
                                        ; implicit-def: $sgpr38_sgpr39
	s_branch .LBB115_3
.LBB115_2:                              ;   in Loop: Header=BB115_3 Depth=1
	s_or_b64 exec, exec, s[2:3]
	s_and_b64 s[0:1], exec, s[0:1]
	s_or_b64 s[22:23], s[0:1], s[22:23]
	s_andn2_b64 s[0:1], s[18:19], exec
	s_and_b64 s[2:3], s[38:39], exec
	s_or_b64 s[18:19], s[0:1], s[2:3]
	s_andn2_b64 s[0:1], s[28:29], exec
	s_and_b64 s[2:3], s[36:37], exec
	;; [unrolled: 3-line block ×4, first 2 shown]
	s_or_b64 s[24:25], s[0:1], s[2:3]
	s_andn2_b64 exec, exec, s[22:23]
	s_cbranch_execz .LBB115_69
.LBB115_3:                              ; =>This Loop Header: Depth=1
                                        ;     Child Loop BB115_8 Depth 2
                                        ;     Child Loop BB115_15 Depth 2
	;; [unrolled: 1-line block ×4, first 2 shown]
	v_sub_u32_e32 v32, s33, v30
	v_cmp_lt_i32_e32 vcc, 0, v32
	v_mov_b32_e32 v6, 0
	s_and_saveexec_b64 s[2:3], vcc
	s_cbranch_execz .LBB115_5
; %bb.4:                                ;   in Loop: Header=BB115_3 Depth=1
	s_waitcnt vmcnt(3)
	v_mul_hi_u32 v2, v30, v1
	v_mul_lo_u32 v6, v2, s54
	v_sub_u32_e32 v6, v30, v6
	s_waitcnt vmcnt(2)
	v_add_u32_e32 v7, 1, v2
	v_cmp_le_u32_e64 s[0:1], s54, v6
	v_cndmask_b32_e64 v2, v2, v7, s[0:1]
	v_subrev_u32_e32 v7, s54, v6
	v_cndmask_b32_e64 v6, v6, v7, s[0:1]
	v_add_u32_e32 v7, 1, v2
	v_cmp_le_u32_e64 s[0:1], s54, v6
	v_cndmask_b32_e64 v6, v2, v7, s[0:1]
	v_mul_lo_u32 v2, v6, s54
	v_sub_u32_e32 v2, v30, v2
	s_waitcnt lgkmcnt(0)
	v_mul_lo_u32 v2, v2, s15
	v_mad_u64_u32 v[6:7], s[0:1], v6, s14, v[2:3]
.LBB115_5:                              ;   in Loop: Header=BB115_3 Depth=1
	s_or_b64 exec, exec, s[2:3]
	s_waitcnt vmcnt(3)
	v_mov_b32_e32 v2, 0
	v_cmp_ne_u32_e64 s[0:1], 1, v31
	s_and_saveexec_b64 s[2:3], vcc
	s_cbranch_execz .LBB115_10
; %bb.6:                                ;   in Loop: Header=BB115_3 Depth=1
	s_and_b64 vcc, exec, s[0:1]
	v_mov_b32_e32 v8, 0
	v_mov_b32_e32 v2, v30
	s_cbranch_vccnz .LBB115_9
; %bb.7:                                ;   in Loop: Header=BB115_3 Depth=1
	v_mov_b32_e32 v8, 0
	s_mov_b64 s[40:41], s[20:21]
	s_mov_b32 s42, s58
	v_mov_b32_e32 v2, v30
.LBB115_8:                              ;   Parent Loop BB115_3 Depth=1
                                        ; =>  This Inner Loop Header: Depth=2
	s_load_dword s43, s[40:41], 0x0
	s_load_dword s44, s[40:41], 0x64
	s_waitcnt vmcnt(2)
	v_mov_b32_e32 v7, v2
	s_add_i32 s42, s42, -1
	s_waitcnt lgkmcnt(0)
	v_cvt_f32_u32_e32 v2, s43
	s_sub_i32 s45, 0, s43
	s_add_u32 s40, s40, -4
	s_addc_u32 s41, s41, -1
	v_rcp_iflag_f32_e32 v2, v2
	s_cmp_gt_u32 s42, 2
	v_mul_f32_e32 v2, 0x4f7ffffe, v2
	v_cvt_u32_f32_e32 v2, v2
	s_waitcnt vmcnt(1)
	v_mul_lo_u32 v9, s45, v2
	v_mul_hi_u32 v9, v2, v9
	v_add_u32_e32 v2, v2, v9
	v_mul_hi_u32 v2, v7, v2
	v_mul_lo_u32 v9, v2, s43
	v_sub_u32_e32 v9, v7, v9
	v_add_u32_e32 v10, 1, v2
	v_cmp_le_u32_e32 vcc, s43, v9
	v_cndmask_b32_e32 v2, v2, v10, vcc
	v_subrev_u32_e32 v10, s43, v9
	v_cndmask_b32_e32 v9, v9, v10, vcc
	v_add_u32_e32 v10, 1, v2
	v_cmp_le_u32_e32 vcc, s43, v9
	v_cndmask_b32_e32 v2, v2, v10, vcc
	v_mul_lo_u32 v9, v2, s43
	v_sub_u32_e32 v7, v7, v9
	v_mad_u64_u32 v[8:9], s[44:45], s44, v7, v[8:9]
	s_cbranch_scc1 .LBB115_8
.LBB115_9:                              ;   in Loop: Header=BB115_3 Depth=1
	s_waitcnt vmcnt(1)
	v_mad_u64_u32 v[8:9], s[40:41], s55, v2, v[8:9]
	v_mov_b32_e32 v2, v8
.LBB115_10:                             ;   in Loop: Header=BB115_3 Depth=1
	s_or_b64 exec, exec, s[2:3]
	s_waitcnt vmcnt(2)
	v_or_b32_e32 v7, 1, v30
	v_cmp_lt_i32_e32 vcc, 1, v32
	v_mov_b32_e32 v12, 0
	v_mov_b32_e32 v8, 0
	s_and_saveexec_b64 s[40:41], vcc
	s_cbranch_execz .LBB115_12
; %bb.11:                               ;   in Loop: Header=BB115_3 Depth=1
	v_mul_hi_u32 v8, v7, v1
	s_waitcnt vmcnt(1)
	v_mul_lo_u32 v9, v8, s54
	v_sub_u32_e32 v9, v7, v9
	v_add_u32_e32 v10, 1, v8
	v_cmp_le_u32_e64 s[2:3], s54, v9
	v_cndmask_b32_e64 v8, v8, v10, s[2:3]
	v_subrev_u32_e32 v10, s54, v9
	v_cndmask_b32_e64 v9, v9, v10, s[2:3]
	v_add_u32_e32 v10, 1, v8
	v_cmp_le_u32_e64 s[2:3], s54, v9
	v_cndmask_b32_e64 v9, v8, v10, s[2:3]
	v_mul_lo_u32 v8, v9, s54
	v_sub_u32_e32 v8, v7, v8
	s_waitcnt lgkmcnt(0)
	v_mul_lo_u32 v8, v8, s15
	v_mad_u64_u32 v[8:9], s[2:3], v9, s14, v[8:9]
.LBB115_12:                             ;   in Loop: Header=BB115_3 Depth=1
	s_or_b64 exec, exec, s[40:41]
	s_and_saveexec_b64 s[2:3], vcc
	s_cbranch_execz .LBB115_17
; %bb.13:                               ;   in Loop: Header=BB115_3 Depth=1
	s_and_b64 vcc, exec, s[0:1]
	v_mov_b32_e32 v10, 0
	s_cbranch_vccnz .LBB115_16
; %bb.14:                               ;   in Loop: Header=BB115_3 Depth=1
	v_mov_b32_e32 v10, 0
	s_mov_b64 s[40:41], s[20:21]
	s_mov_b32 s42, s58
.LBB115_15:                             ;   Parent Loop BB115_3 Depth=1
                                        ; =>  This Inner Loop Header: Depth=2
	s_load_dword s43, s[40:41], 0x0
	s_load_dword s44, s[40:41], 0x64
	s_waitcnt vmcnt(1)
	v_mov_b32_e32 v9, v7
	s_add_i32 s42, s42, -1
	s_waitcnt lgkmcnt(0)
	v_cvt_f32_u32_e32 v7, s43
	s_sub_i32 s45, 0, s43
	s_add_u32 s40, s40, -4
	s_addc_u32 s41, s41, -1
	v_rcp_iflag_f32_e32 v7, v7
	s_cmp_gt_u32 s42, 2
	v_mul_f32_e32 v7, 0x4f7ffffe, v7
	v_cvt_u32_f32_e32 v7, v7
	s_waitcnt vmcnt(0)
	v_mul_lo_u32 v11, s45, v7
	v_mul_hi_u32 v11, v7, v11
	v_add_u32_e32 v7, v7, v11
	v_mul_hi_u32 v7, v9, v7
	v_mul_lo_u32 v11, v7, s43
	v_sub_u32_e32 v11, v9, v11
	v_add_u32_e32 v12, 1, v7
	v_cmp_le_u32_e32 vcc, s43, v11
	v_cndmask_b32_e32 v7, v7, v12, vcc
	v_subrev_u32_e32 v12, s43, v11
	v_cndmask_b32_e32 v11, v11, v12, vcc
	v_add_u32_e32 v12, 1, v7
	v_cmp_le_u32_e32 vcc, s43, v11
	v_cndmask_b32_e32 v7, v7, v12, vcc
	v_mul_lo_u32 v11, v7, s43
	v_sub_u32_e32 v9, v9, v11
	v_mad_u64_u32 v[10:11], s[44:45], s44, v9, v[10:11]
	s_cbranch_scc1 .LBB115_15
.LBB115_16:                             ;   in Loop: Header=BB115_3 Depth=1
	s_waitcnt vmcnt(0)
	v_mad_u64_u32 v[12:13], s[40:41], s55, v7, v[10:11]
.LBB115_17:                             ;   in Loop: Header=BB115_3 Depth=1
	s_or_b64 exec, exec, s[2:3]
	v_or_b32_e32 v7, 2, v30
	v_cmp_lt_i32_e32 vcc, 2, v32
	v_mov_b32_e32 v10, 0
	s_and_saveexec_b64 s[40:41], vcc
	s_cbranch_execz .LBB115_19
; %bb.18:                               ;   in Loop: Header=BB115_3 Depth=1
	s_waitcnt vmcnt(1)
	v_mul_hi_u32 v9, v7, v1
	v_mul_lo_u32 v10, v9, s54
	v_sub_u32_e32 v10, v7, v10
	s_waitcnt vmcnt(0)
	v_add_u32_e32 v11, 1, v9
	v_cmp_le_u32_e64 s[2:3], s54, v10
	v_cndmask_b32_e64 v9, v9, v11, s[2:3]
	v_subrev_u32_e32 v11, s54, v10
	v_cndmask_b32_e64 v10, v10, v11, s[2:3]
	v_add_u32_e32 v11, 1, v9
	v_cmp_le_u32_e64 s[2:3], s54, v10
	v_cndmask_b32_e64 v9, v9, v11, s[2:3]
	v_mul_lo_u32 v10, v9, s54
	v_sub_u32_e32 v10, v7, v10
	s_waitcnt lgkmcnt(0)
	v_mul_lo_u32 v10, v10, s15
	v_mad_u64_u32 v[10:11], s[2:3], v9, s14, v[10:11]
.LBB115_19:                             ;   in Loop: Header=BB115_3 Depth=1
	s_or_b64 exec, exec, s[40:41]
	v_pk_mov_b32 v[16:17], 0, 0
	s_and_saveexec_b64 s[2:3], vcc
	s_cbranch_execz .LBB115_24
; %bb.20:                               ;   in Loop: Header=BB115_3 Depth=1
	s_and_b64 vcc, exec, s[0:1]
	v_mov_b32_e32 v14, 0
	s_cbranch_vccnz .LBB115_23
; %bb.21:                               ;   in Loop: Header=BB115_3 Depth=1
	v_mov_b32_e32 v14, 0
	s_mov_b64 s[40:41], s[20:21]
	s_mov_b32 s42, s58
.LBB115_22:                             ;   Parent Loop BB115_3 Depth=1
                                        ; =>  This Inner Loop Header: Depth=2
	s_load_dword s43, s[40:41], 0x0
	s_load_dword s44, s[40:41], 0x64
	s_waitcnt vmcnt(1)
	v_mov_b32_e32 v9, v7
	s_add_i32 s42, s42, -1
	s_waitcnt lgkmcnt(0)
	v_cvt_f32_u32_e32 v7, s43
	s_sub_i32 s45, 0, s43
	s_add_u32 s40, s40, -4
	s_addc_u32 s41, s41, -1
	v_rcp_iflag_f32_e32 v7, v7
	s_cmp_gt_u32 s42, 2
	v_mul_f32_e32 v7, 0x4f7ffffe, v7
	v_cvt_u32_f32_e32 v7, v7
	s_waitcnt vmcnt(0)
	v_mul_lo_u32 v11, s45, v7
	v_mul_hi_u32 v11, v7, v11
	v_add_u32_e32 v7, v7, v11
	v_mul_hi_u32 v7, v9, v7
	v_mul_lo_u32 v11, v7, s43
	v_sub_u32_e32 v11, v9, v11
	v_add_u32_e32 v13, 1, v7
	v_cmp_le_u32_e32 vcc, s43, v11
	v_cndmask_b32_e32 v7, v7, v13, vcc
	v_subrev_u32_e32 v13, s43, v11
	v_cndmask_b32_e32 v11, v11, v13, vcc
	v_add_u32_e32 v13, 1, v7
	v_cmp_le_u32_e32 vcc, s43, v11
	v_cndmask_b32_e32 v7, v7, v13, vcc
	v_mul_lo_u32 v11, v7, s43
	v_sub_u32_e32 v9, v9, v11
	v_mad_u64_u32 v[14:15], s[44:45], s44, v9, v[14:15]
	s_cbranch_scc1 .LBB115_22
.LBB115_23:                             ;   in Loop: Header=BB115_3 Depth=1
	v_mad_u64_u32 v[16:17], s[40:41], s55, v7, v[14:15]
	v_mov_b32_e32 v17, v3
.LBB115_24:                             ;   in Loop: Header=BB115_3 Depth=1
	s_or_b64 exec, exec, s[2:3]
	v_pk_mov_b32 v[18:19], 0, 0
	v_or_b32_e32 v7, 3, v30
	v_cmp_lt_i32_e32 vcc, 3, v32
	v_pk_mov_b32 v[14:15], v[18:19], v[18:19] op_sel:[0,1]
	s_and_saveexec_b64 s[40:41], vcc
	s_cbranch_execz .LBB115_26
; %bb.25:                               ;   in Loop: Header=BB115_3 Depth=1
	s_waitcnt vmcnt(1)
	v_mul_hi_u32 v9, v7, v1
	s_waitcnt vmcnt(0)
	v_mul_lo_u32 v11, v9, s54
	v_sub_u32_e32 v11, v7, v11
	v_add_u32_e32 v13, 1, v9
	v_cmp_le_u32_e64 s[2:3], s54, v11
	v_cndmask_b32_e64 v9, v9, v13, s[2:3]
	v_subrev_u32_e32 v13, s54, v11
	v_cndmask_b32_e64 v11, v11, v13, s[2:3]
	v_add_u32_e32 v13, 1, v9
	v_cmp_le_u32_e64 s[2:3], s54, v11
	v_cndmask_b32_e64 v9, v9, v13, s[2:3]
	v_mul_lo_u32 v11, v9, s54
	v_sub_u32_e32 v11, v7, v11
	s_waitcnt lgkmcnt(0)
	v_mul_lo_u32 v14, v11, s15
	v_mad_u64_u32 v[14:15], s[2:3], v9, s14, v[14:15]
	v_mov_b32_e32 v15, v3
.LBB115_26:                             ;   in Loop: Header=BB115_3 Depth=1
	s_or_b64 exec, exec, s[40:41]
	s_and_saveexec_b64 s[2:3], vcc
	s_cbranch_execz .LBB115_31
; %bb.27:                               ;   in Loop: Header=BB115_3 Depth=1
	s_and_b64 vcc, exec, s[0:1]
	v_mov_b32_e32 v18, 0
	s_cbranch_vccnz .LBB115_30
; %bb.28:                               ;   in Loop: Header=BB115_3 Depth=1
	v_mov_b32_e32 v18, 0
	s_mov_b64 s[0:1], s[20:21]
	s_mov_b32 s40, s58
.LBB115_29:                             ;   Parent Loop BB115_3 Depth=1
                                        ; =>  This Inner Loop Header: Depth=2
	s_load_dword s41, s[0:1], 0x0
	s_load_dword s42, s[0:1], 0x64
	s_waitcnt vmcnt(1)
	v_mov_b32_e32 v9, v7
	s_add_i32 s40, s40, -1
	s_waitcnt lgkmcnt(0)
	v_cvt_f32_u32_e32 v7, s41
	s_sub_i32 s43, 0, s41
	s_add_u32 s0, s0, -4
	s_addc_u32 s1, s1, -1
	v_rcp_iflag_f32_e32 v7, v7
	s_cmp_gt_u32 s40, 2
	v_mul_f32_e32 v7, 0x4f7ffffe, v7
	v_cvt_u32_f32_e32 v7, v7
	s_waitcnt vmcnt(0)
	v_mul_lo_u32 v11, s43, v7
	v_mul_hi_u32 v11, v7, v11
	v_add_u32_e32 v7, v7, v11
	v_mul_hi_u32 v7, v9, v7
	v_mul_lo_u32 v11, v7, s41
	v_sub_u32_e32 v11, v9, v11
	v_add_u32_e32 v13, 1, v7
	v_cmp_le_u32_e32 vcc, s41, v11
	v_cndmask_b32_e32 v7, v7, v13, vcc
	v_subrev_u32_e32 v13, s41, v11
	v_cndmask_b32_e32 v11, v11, v13, vcc
	v_add_u32_e32 v13, 1, v7
	v_cmp_le_u32_e32 vcc, s41, v11
	v_cndmask_b32_e32 v7, v7, v13, vcc
	v_mul_lo_u32 v11, v7, s41
	v_sub_u32_e32 v9, v9, v11
	v_mad_u64_u32 v[18:19], s[42:43], s42, v9, v[18:19]
	s_cbranch_scc1 .LBB115_29
.LBB115_30:                             ;   in Loop: Header=BB115_3 Depth=1
	v_mad_u64_u32 v[18:19], s[0:1], s55, v7, v[18:19]
	v_mov_b32_e32 v19, v3
.LBB115_31:                             ;   in Loop: Header=BB115_3 Depth=1
	s_or_b64 exec, exec, s[2:3]
	v_lshlrev_b64 v[20:21], 2, v[2:3]
	s_waitcnt lgkmcnt(0)
	v_mov_b32_e32 v2, s17
	v_add_co_u32_e32 v20, vcc, s16, v20
	v_mov_b32_e32 v13, v3
	v_addc_co_u32_e32 v21, vcc, v2, v21, vcc
	v_lshlrev_b64 v[12:13], 2, v[12:13]
	v_add_co_u32_e32 v12, vcc, s16, v12
	v_addc_co_u32_e32 v13, vcc, v2, v13, vcc
	v_lshlrev_b64 v[16:17], 2, v[16:17]
	v_add_co_u32_e32 v16, vcc, s16, v16
	;; [unrolled: 3-line block ×3, first 2 shown]
	v_addc_co_u32_e32 v19, vcc, v2, v19, vcc
	global_load_dword v2, v[20:21], off
	global_load_dword v7, v[12:13], off
	;; [unrolled: 1-line block ×4, first 2 shown]
	s_andn2_b64 vcc, exec, s[4:5]
	v_pk_mov_b32 v[12:13], s[10:11], s[10:11] op_sel:[0,1]
	v_pk_mov_b32 v[16:17], s[8:9], s[8:9] op_sel:[0,1]
	s_cbranch_vccnz .LBB115_33
; %bb.32:                               ;   in Loop: Header=BB115_3 Depth=1
	v_pk_mov_b32 v[12:13], s[10:11], s[10:11] op_sel:[0,1]
	flat_load_dwordx2 v[12:13], v[12:13]
	v_pk_mov_b32 v[16:17], s[8:9], s[8:9] op_sel:[0,1]
	flat_load_dwordx2 v[16:17], v[16:17]
	v_mov_b32_e32 v18, s7
	s_waitcnt vmcnt(0) lgkmcnt(0)
	v_add_co_u32_e32 v12, vcc, s6, v12
	v_addc_co_u32_e32 v13, vcc, v13, v18, vcc
.LBB115_33:                             ;   in Loop: Header=BB115_3 Depth=1
	v_alignbit_b32 v26, v13, v12, 2
	v_lshrrev_b32_e32 v27, 2, v13
	v_xor_b32_e32 v18, v4, v16
	v_and_b32_e32 v33, 3, v12
	v_mad_u64_u32 v[12:13], s[0:1], v26, s59, 0
	v_xor_b32_e32 v18, v18, v27
	v_xor_b32_e32 v13, v13, v17
	v_add_u32_e32 v38, 0xbb67ae85, v17
	v_mad_u64_u32 v[18:19], s[0:1], v18, s59, 0
	v_mad_u64_u32 v[20:21], s[0:1], v13, s56, 0
	v_xor_b32_e32 v19, v38, v19
	v_add_u32_e32 v37, 0x9e3779b9, v16
	v_xor_b32_e32 v13, v0, v21
	v_xor_b32_e32 v19, v19, v12
	v_xor_b32_e32 v13, v13, v37
	v_add_u32_e32 v39, 0x3c6ef372, v16
	v_mad_u64_u32 v[22:23], s[0:1], v19, s56, 0
	v_add_u32_e32 v40, 0x76cf5d0a, v17
	v_mad_u64_u32 v[12:13], s[0:1], v13, s59, 0
	v_xor_b32_e32 v19, v39, v23
	v_xor_b32_e32 v19, v19, v20
	v_xor_b32_e32 v13, v40, v13
	v_xor_b32_e32 v13, v13, v18
	v_add_u32_e32 v42, 0x32370b8f, v17
	v_mad_u64_u32 v[18:19], s[0:1], v19, s59, 0
	v_add_u32_e32 v41, 0xdaa66d2b, v16
	v_mad_u64_u32 v[20:21], s[0:1], v13, s56, 0
	v_xor_b32_e32 v19, v42, v19
	;; [unrolled: 8-line block ×5, first 2 shown]
	v_xor_b32_e32 v19, v19, v20
	v_xor_b32_e32 v13, v48, v13
	;; [unrolled: 1-line block ×3, first 2 shown]
	v_add_u32_e32 v50, 0x1fd5c5a3, v17
	v_mad_u64_u32 v[18:19], s[0:1], v19, s59, 0
	v_xor_b32_e32 v19, v50, v19
	v_xor_b32_e32 v12, v19, v12
	v_add_u32_e32 v49, 0x5384540f, v16
	v_mad_u64_u32 v[24:25], s[0:1], v13, s56, 0
	v_add_co_u32_e32 v35, vcc, s60, v16
	v_mad_u64_u32 v[20:21], s[0:1], v12, s56, 0
	v_xor_b32_e32 v13, v49, v25
	v_xor_b32_e32 v12, v35, v21
	;; [unrolled: 1-line block ×4, first 2 shown]
	v_mad_u64_u32 v[22:23], s[0:1], v13, s59, 0
	v_mad_u64_u32 v[12:13], s[0:1], v12, s59, 0
	v_add_u32_e32 v36, 0x96a522ad, v17
	v_xor_b32_e32 v13, v13, v22
	v_xor_b32_e32 v34, v36, v13
	v_add_co_u32_e32 v13, vcc, 1, v26
	v_cndmask_b32_e64 v22, 0, 1, vcc
	v_addc_co_u32_e32 v28, vcc, 0, v27, vcc
	v_cmp_eq_u32_e32 vcc, 0, v28
	v_cndmask_b32_e32 v22, 0, v22, vcc
	v_add_u32_e32 v26, v22, v5
	v_cmp_eq_u32_e32 vcc, 0, v26
	v_mad_u64_u32 v[24:25], s[0:1], v13, s59, 0
	v_mad_u64_u32 v[26:27], s[0:1], v26, s56, 0
	v_add_u32_e32 v21, 0x8ff34781, v16
	v_cndmask_b32_e32 v22, 0, v22, vcc
	v_xor_b32_e32 v13, v27, v16
	v_xor_b32_e32 v16, v25, v17
	v_xor_b32_e32 v22, v22, v16
	v_xor_b32_e32 v13, v28, v13
	v_mad_u64_u32 v[28:29], s[0:1], v22, s56, 0
	v_add_u32_e32 v19, 0xdb3d7428, v17
	v_mad_u64_u32 v[16:17], s[0:1], v13, s59, 0
	v_xor_b32_e32 v13, v37, v29
	v_xor_b32_e32 v13, v13, v26
	v_xor_b32_e32 v17, v38, v17
	v_xor_b32_e32 v17, v17, v24
	v_mad_u64_u32 v[24:25], s[0:1], v13, s59, 0
	v_mad_u64_u32 v[26:27], s[0:1], v17, s56, 0
	v_xor_b32_e32 v17, v40, v25
	v_xor_b32_e32 v13, v39, v27
	v_xor_b32_e32 v22, v17, v16
	v_xor_b32_e32 v13, v13, v28
	v_mad_u64_u32 v[28:29], s[0:1], v22, s56, 0
	;; [unrolled: 6-line block ×7, first 2 shown]
	v_xor_b32_e32 v13, v19, v27
	v_xor_b32_e32 v13, v13, v16
	v_mad_u64_u32 v[28:29], s[0:1], v17, s56, 0
	v_mad_u64_u32 v[16:17], s[0:1], v13, s56, 0
	v_xor_b32_e32 v13, v17, v28
	v_xor_b32_e32 v13, v21, v13
	v_cmp_lt_i32_e32 vcc, 1, v33
                                        ; implicit-def: $vgpr25
	s_and_saveexec_b64 s[0:1], vcc
	s_xor_b64 s[0:1], exec, s[0:1]
	s_cbranch_execz .LBB115_39
; %bb.34:                               ;   in Loop: Header=BB115_3 Depth=1
	v_cmp_lt_i32_e32 vcc, 2, v33
                                        ; implicit-def: $vgpr25
	s_and_saveexec_b64 s[2:3], vcc
	s_xor_b64 s[2:3], exec, s[2:3]
; %bb.35:                               ;   in Loop: Header=BB115_3 Depth=1
	v_xor_b32_e32 v17, v35, v29
	v_xor_b32_e32 v17, v17, v24
	v_mul_hi_u32 v17, v17, s59
	v_xor_b32_e32 v17, v17, v26
	v_xor_b32_e32 v25, v36, v17
                                        ; implicit-def: $vgpr34
; %bb.36:                               ;   in Loop: Header=BB115_3 Depth=1
	s_andn2_saveexec_b64 s[2:3], s[2:3]
; %bb.37:                               ;   in Loop: Header=BB115_3 Depth=1
	v_mov_b32_e32 v25, v16
	v_mov_b32_e32 v16, v13
	;; [unrolled: 1-line block ×4, first 2 shown]
; %bb.38:                               ;   in Loop: Header=BB115_3 Depth=1
	s_or_b64 exec, exec, s[2:3]
                                        ; implicit-def: $vgpr18_vgpr19
                                        ; implicit-def: $vgpr20_vgpr21
                                        ; implicit-def: $vgpr33
                                        ; implicit-def: $vgpr34
                                        ; implicit-def: $vgpr22_vgpr23
                                        ; implicit-def: $vgpr19
                                        ; implicit-def: $vgpr21
.LBB115_39:                             ;   in Loop: Header=BB115_3 Depth=1
	s_andn2_saveexec_b64 s[0:1], s[0:1]
	s_cbranch_execz .LBB115_43
; %bb.40:                               ;   in Loop: Header=BB115_3 Depth=1
	v_xor_b32_e32 v16, v19, v23
	v_xor_b32_e32 v16, v16, v18
	v_mad_u64_u32 v[18:19], s[2:3], v16, s56, 0
	v_xor_b32_e32 v16, v19, v20
	v_xor_b32_e32 v17, v21, v16
	v_cmp_eq_u32_e32 vcc, 1, v33
	v_mov_b32_e32 v25, v12
	v_mov_b32_e32 v16, v34
	;; [unrolled: 1-line block ×3, first 2 shown]
	s_and_saveexec_b64 s[2:3], vcc
; %bb.41:                               ;   in Loop: Header=BB115_3 Depth=1
	v_mov_b32_e32 v25, v13
	v_mov_b32_e32 v16, v12
	;; [unrolled: 1-line block ×4, first 2 shown]
; %bb.42:                               ;   in Loop: Header=BB115_3 Depth=1
	s_or_b64 exec, exec, s[2:3]
	v_mov_b32_e32 v12, v17
	v_mov_b32_e32 v13, v19
.LBB115_43:                             ;   in Loop: Header=BB115_3 Depth=1
	s_or_b64 exec, exec, s[0:1]
	v_min_i32_e32 v17, 4, v32
	v_cmp_lt_i32_e32 vcc, 2, v17
	s_mov_b64 s[2:3], 0
	s_mov_b64 s[50:51], 0
	;; [unrolled: 1-line block ×3, first 2 shown]
                                        ; implicit-def: $sgpr42_sgpr43
                                        ; implicit-def: $sgpr44_sgpr45
                                        ; implicit-def: $sgpr46_sgpr47
	s_and_saveexec_b64 s[0:1], vcc
	s_xor_b64 s[48:49], exec, s[0:1]
	s_cbranch_execz .LBB115_55
; %bb.44:                               ;   in Loop: Header=BB115_3 Depth=1
	v_cmp_lt_i32_e32 vcc, 3, v17
	s_mov_b64 s[0:1], -1
	s_mov_b64 s[52:53], 0
                                        ; implicit-def: $sgpr40_sgpr41
                                        ; implicit-def: $sgpr42_sgpr43
	s_and_saveexec_b64 s[44:45], vcc
	s_cbranch_execz .LBB115_50
; %bb.45:                               ;   in Loop: Header=BB115_3 Depth=1
	v_cmp_eq_u32_e32 vcc, 4, v17
	s_mov_b64 s[0:1], 0
	s_mov_b64 s[52:53], -1
                                        ; implicit-def: $sgpr40_sgpr41
                                        ; implicit-def: $sgpr42_sgpr43
	s_and_saveexec_b64 s[46:47], vcc
	s_cbranch_execz .LBB115_49
; %bb.46:                               ;   in Loop: Header=BB115_3 Depth=1
	s_waitcnt vmcnt(0)
	v_cmp_le_f32_e32 vcc, 0, v11
	v_cmp_ge_f32_e64 s[0:1], 1.0, v11
	s_and_b64 s[52:53], vcc, s[0:1]
	s_mov_b64 s[40:41], 0
	s_mov_b64 s[0:1], 0
	s_and_saveexec_b64 s[42:43], s[52:53]
	s_cbranch_execz .LBB115_48
; %bb.47:                               ;   in Loop: Header=BB115_3 Depth=1
	v_cvt_f32_u32_e32 v18, v25
	v_mov_b32_e32 v19, 0x2f800000
	v_mov_b32_e32 v20, s13
	v_add_co_u32_e32 v14, vcc, s12, v14
	v_fmac_f32_e32 v19, 0x2f800000, v18
	v_addc_co_u32_e32 v15, vcc, v20, v15, vcc
	v_cmp_le_f32_e32 vcc, v19, v11
	s_mov_b64 s[0:1], exec
	v_cndmask_b32_e64 v11, 0, 1, vcc
	global_store_byte v[14:15], v11, off
.LBB115_48:                             ;   in Loop: Header=BB115_3 Depth=1
	s_or_b64 exec, exec, s[42:43]
	s_mov_b64 s[42:43], -1
	s_xor_b64 s[52:53], exec, -1
	s_and_b64 s[0:1], s[0:1], exec
.LBB115_49:                             ;   in Loop: Header=BB115_3 Depth=1
	s_or_b64 exec, exec, s[46:47]
	s_and_b64 s[52:53], s[52:53], exec
	s_orn2_b64 s[0:1], s[0:1], exec
.LBB115_50:                             ;   in Loop: Header=BB115_3 Depth=1
	s_or_b64 exec, exec, s[44:45]
	s_mov_b64 s[46:47], s[40:41]
	s_and_saveexec_b64 s[44:45], s[0:1]
	s_cbranch_execz .LBB115_54
; %bb.51:                               ;   in Loop: Header=BB115_3 Depth=1
	s_waitcnt vmcnt(1)
	v_cmp_le_f32_e32 vcc, 0, v9
	v_cmp_ge_f32_e64 s[0:1], 1.0, v9
	s_and_b64 s[46:47], vcc, s[0:1]
	s_mov_b64 s[0:1], 0
	s_and_saveexec_b64 s[50:51], s[46:47]
	s_xor_b64 s[46:47], exec, s[50:51]
	s_cbranch_execz .LBB115_53
; %bb.52:                               ;   in Loop: Header=BB115_3 Depth=1
	s_waitcnt vmcnt(0)
	v_cvt_f32_u32_e32 v11, v16
	v_mov_b32_e32 v14, 0x2f800000
	s_mov_b64 s[0:1], exec
	v_fmac_f32_e32 v14, 0x2f800000, v11
	v_cmp_le_f32_e32 vcc, v14, v9
	v_cndmask_b32_e64 v9, 0, 1, vcc
	global_store_byte v10, v9, s[12:13]
.LBB115_53:                             ;   in Loop: Header=BB115_3 Depth=1
	s_or_b64 exec, exec, s[46:47]
	s_andn2_b64 s[46:47], s[40:41], exec
	s_or_b64 s[40:41], s[40:41], exec
	s_andn2_b64 s[42:43], s[42:43], exec
	s_and_b64 s[50:51], s[0:1], exec
.LBB115_54:                             ;   in Loop: Header=BB115_3 Depth=1
	s_or_b64 exec, exec, s[44:45]
	s_and_b64 s[46:47], s[46:47], exec
	s_and_b64 s[44:45], s[40:41], exec
	s_and_b64 s[42:43], s[42:43], exec
	s_and_b64 s[40:41], s[52:53], exec
	s_and_b64 s[50:51], s[50:51], exec
.LBB115_55:                             ;   in Loop: Header=BB115_3 Depth=1
	s_andn2_saveexec_b64 s[0:1], s[48:49]
; %bb.56:                               ;   in Loop: Header=BB115_3 Depth=1
	v_cmp_lt_i32_e32 vcc, 1, v17
	s_andn2_b64 s[48:49], s[50:51], exec
	s_and_b64 s[50:51], vcc, exec
	s_mov_b64 s[2:3], exec
	s_andn2_b64 s[46:47], s[46:47], exec
	s_andn2_b64 s[44:45], s[44:45], exec
	;; [unrolled: 1-line block ×3, first 2 shown]
	s_or_b64 s[50:51], s[48:49], s[50:51]
; %bb.57:                               ;   in Loop: Header=BB115_3 Depth=1
	s_or_b64 exec, exec, s[0:1]
	s_mov_b64 s[0:1], 0
	s_mov_b64 s[48:49], s[46:47]
	s_and_saveexec_b64 s[52:53], s[50:51]
	s_cbranch_execnz .LBB115_60
; %bb.58:                               ;   in Loop: Header=BB115_3 Depth=1
	s_or_b64 exec, exec, s[52:53]
	s_and_saveexec_b64 s[50:51], s[2:3]
	s_cbranch_execnz .LBB115_63
.LBB115_59:                             ;   in Loop: Header=BB115_3 Depth=1
	s_or_b64 exec, exec, s[50:51]
	s_and_saveexec_b64 s[2:3], s[0:1]
	s_cbranch_execnz .LBB115_64
	s_branch .LBB115_67
.LBB115_60:                             ;   in Loop: Header=BB115_3 Depth=1
	s_waitcnt vmcnt(2)
	v_cmp_le_f32_e32 vcc, 0, v7
	v_cmp_ge_f32_e64 s[0:1], 1.0, v7
	s_and_b64 s[48:49], vcc, s[0:1]
	s_mov_b64 s[0:1], 0
	s_and_saveexec_b64 s[50:51], s[48:49]
	s_xor_b64 s[48:49], exec, s[50:51]
	s_cbranch_execz .LBB115_62
; %bb.61:                               ;   in Loop: Header=BB115_3 Depth=1
	s_waitcnt vmcnt(1)
	v_cvt_f32_u32_e32 v9, v13
	v_mov_b32_e32 v10, 0x2f800000
	s_mov_b64 s[0:1], exec
	v_fmac_f32_e32 v10, 0x2f800000, v9
	v_cmp_le_f32_e32 vcc, v10, v7
	v_cndmask_b32_e64 v7, 0, 1, vcc
	global_store_byte v8, v7, s[12:13]
.LBB115_62:                             ;   in Loop: Header=BB115_3 Depth=1
	s_or_b64 exec, exec, s[48:49]
	s_andn2_b64 s[48:49], s[46:47], exec
	s_or_b64 s[46:47], s[46:47], exec
	s_andn2_b64 s[44:45], s[44:45], exec
	s_andn2_b64 s[42:43], s[42:43], exec
	s_and_b64 s[0:1], s[0:1], exec
	s_andn2_b64 s[2:3], s[2:3], exec
	s_or_b64 exec, exec, s[52:53]
	s_and_saveexec_b64 s[50:51], s[2:3]
	s_cbranch_execz .LBB115_59
.LBB115_63:                             ;   in Loop: Header=BB115_3 Depth=1
	v_cmp_eq_u32_e32 vcc, 1, v17
	s_andn2_b64 s[0:1], s[0:1], exec
	s_and_b64 s[2:3], vcc, exec
	s_andn2_b64 s[48:49], s[48:49], exec
	s_andn2_b64 s[46:47], s[46:47], exec
	;; [unrolled: 1-line block ×4, first 2 shown]
	s_or_b64 s[40:41], s[40:41], exec
	s_or_b64 s[0:1], s[0:1], s[2:3]
	s_or_b64 exec, exec, s[50:51]
	s_and_saveexec_b64 s[2:3], s[0:1]
	s_cbranch_execz .LBB115_67
.LBB115_64:                             ;   in Loop: Header=BB115_3 Depth=1
	s_waitcnt vmcnt(3)
	v_cmp_le_f32_e32 vcc, 0, v2
	v_cmp_ge_f32_e64 s[0:1], 1.0, v2
	s_and_b64 s[52:53], vcc, s[0:1]
	s_mov_b64 s[0:1], 0
	s_and_saveexec_b64 s[50:51], s[52:53]
	s_cbranch_execz .LBB115_66
; %bb.65:                               ;   in Loop: Header=BB115_3 Depth=1
	s_waitcnt vmcnt(2)
	v_cvt_f32_u32_e32 v7, v12
	v_mov_b32_e32 v8, 0x2f800000
	s_mov_b64 s[0:1], exec
	v_fmac_f32_e32 v8, 0x2f800000, v7
	v_cmp_le_f32_e32 vcc, v8, v2
	v_cndmask_b32_e64 v2, 0, 1, vcc
	global_store_byte v6, v2, s[12:13]
.LBB115_66:                             ;   in Loop: Header=BB115_3 Depth=1
	s_or_b64 exec, exec, s[50:51]
	s_andn2_b64 s[40:41], s[40:41], exec
	s_and_b64 s[0:1], s[0:1], exec
	s_or_b64 s[48:49], s[48:49], exec
	s_andn2_b64 s[46:47], s[46:47], exec
	s_andn2_b64 s[44:45], s[44:45], exec
	;; [unrolled: 1-line block ×3, first 2 shown]
	s_or_b64 s[40:41], s[40:41], s[0:1]
.LBB115_67:                             ;   in Loop: Header=BB115_3 Depth=1
	s_or_b64 exec, exec, s[2:3]
	s_andn2_b64 s[2:3], s[38:39], exec
	s_and_b64 s[38:39], s[48:49], exec
	s_or_b64 s[38:39], s[2:3], s[38:39]
	s_andn2_b64 s[2:3], s[36:37], exec
	s_and_b64 s[36:37], s[46:47], exec
	s_or_b64 s[36:37], s[2:3], s[36:37]
	;; [unrolled: 3-line block ×3, first 2 shown]
	s_andn2_b64 s[2:3], s[30:31], exec
	s_and_b64 s[30:31], s[42:43], exec
	s_mov_b64 s[0:1], -1
	s_or_b64 s[30:31], s[2:3], s[30:31]
	s_and_saveexec_b64 s[2:3], s[40:41]
	s_cbranch_execz .LBB115_2
; %bb.68:                               ;   in Loop: Header=BB115_3 Depth=1
	v_add_u32_e32 v30, s57, v30
	v_cmp_le_u32_e32 vcc, s33, v30
	s_andn2_b64 s[38:39], s[38:39], exec
	s_andn2_b64 s[36:37], s[36:37], exec
	;; [unrolled: 1-line block ×4, first 2 shown]
	s_orn2_b64 s[0:1], vcc, exec
	s_branch .LBB115_2
.LBB115_69:
	s_or_b64 exec, exec, s[22:23]
	s_xor_b64 s[6:7], s[28:29], -1
	s_xor_b64 s[8:9], s[26:27], -1
	;; [unrolled: 1-line block ×3, first 2 shown]
	s_mov_b64 s[2:3], 0
	s_and_saveexec_b64 s[4:5], s[0:1]
	s_xor_b64 s[0:1], exec, s[4:5]
	s_cbranch_execnz .LBB115_74
; %bb.70:
	s_andn2_saveexec_b64 s[0:1], s[0:1]
	s_cbranch_execnz .LBB115_82
.LBB115_71:
	s_or_b64 exec, exec, s[0:1]
	s_and_b64 exec, exec, s[2:3]
.LBB115_72:
	; divergent unreachable
.LBB115_73:
	s_endpgm
.LBB115_74:
	s_mov_b64 s[4:5], 0
	s_and_saveexec_b64 s[2:3], s[8:9]
	s_xor_b64 s[2:3], exec, s[2:3]
	s_cbranch_execz .LBB115_80
; %bb.75:
	s_and_saveexec_b64 s[8:9], s[6:7]
	s_xor_b64 s[6:7], exec, s[8:9]
	s_cbranch_execz .LBB115_78
; %bb.76:
	s_and_saveexec_b64 s[8:9], s[18:19]
	s_xor_b64 s[8:9], exec, s[8:9]
	s_cbranch_execnz .LBB115_85
.LBB115_77:
	s_or_b64 exec, exec, s[8:9]
	s_and_b64 s[4:5], s[4:5], exec
.LBB115_78:
	s_andn2_saveexec_b64 s[6:7], s[6:7]
	s_cbranch_execnz .LBB115_84
.LBB115_79:
	s_or_b64 exec, exec, s[6:7]
	s_and_b64 s[4:5], s[4:5], exec
.LBB115_80:
	s_andn2_saveexec_b64 s[2:3], s[2:3]
	s_cbranch_execnz .LBB115_83
.LBB115_81:
	s_or_b64 exec, exec, s[2:3]
	s_and_b64 s[2:3], s[4:5], exec
	s_andn2_saveexec_b64 s[0:1], s[0:1]
	s_cbranch_execz .LBB115_71
.LBB115_82:
	s_or_b64 s[2:3], s[2:3], exec
	s_trap 2
	s_or_b64 exec, exec, s[0:1]
	s_and_b64 exec, exec, s[2:3]
	s_cbranch_execnz .LBB115_72
	s_branch .LBB115_73
.LBB115_83:
	s_or_b64 s[4:5], s[4:5], exec
	s_trap 2
	s_branch .LBB115_81
.LBB115_84:
	s_trap 2
	s_or_b64 s[4:5], s[4:5], exec
	s_branch .LBB115_79
.LBB115_85:
	s_mov_b64 s[4:5], exec
	s_trap 2
	s_branch .LBB115_77
	.section	.rodata,"a",@progbits
	.p2align	6, 0x0
	.amdhsa_kernel _ZN2at4cuda12_GLOBAL__N_121kernelPointwiseApply2IZNS_6native9templates4cuda28bernoulli_tensor_cuda_kernelIbfEEvRKNS_10TensorBaseES9_NS_15PhiloxCudaStateEEUliRbSB_SB_SB_RKfSD_SD_SD_E_bSC_jLi2ELin1ELi4ELi512ELi2EEEvNS0_6detail10TensorInfoIT0_T2_EENSG_IT1_SI_EESI_T_
		.amdhsa_group_segment_fixed_size 0
		.amdhsa_private_segment_fixed_size 0
		.amdhsa_kernarg_size 728
		.amdhsa_user_sgpr_count 6
		.amdhsa_user_sgpr_private_segment_buffer 1
		.amdhsa_user_sgpr_dispatch_ptr 0
		.amdhsa_user_sgpr_queue_ptr 0
		.amdhsa_user_sgpr_kernarg_segment_ptr 1
		.amdhsa_user_sgpr_dispatch_id 0
		.amdhsa_user_sgpr_flat_scratch_init 0
		.amdhsa_user_sgpr_kernarg_preload_length 0
		.amdhsa_user_sgpr_kernarg_preload_offset 0
		.amdhsa_user_sgpr_private_segment_size 0
		.amdhsa_uses_dynamic_stack 0
		.amdhsa_system_sgpr_private_segment_wavefront_offset 0
		.amdhsa_system_sgpr_workgroup_id_x 1
		.amdhsa_system_sgpr_workgroup_id_y 0
		.amdhsa_system_sgpr_workgroup_id_z 0
		.amdhsa_system_sgpr_workgroup_info 0
		.amdhsa_system_vgpr_workitem_id 0
		.amdhsa_next_free_vgpr 51
		.amdhsa_next_free_sgpr 61
		.amdhsa_accum_offset 52
		.amdhsa_reserve_vcc 1
		.amdhsa_reserve_flat_scratch 0
		.amdhsa_float_round_mode_32 0
		.amdhsa_float_round_mode_16_64 0
		.amdhsa_float_denorm_mode_32 3
		.amdhsa_float_denorm_mode_16_64 3
		.amdhsa_dx10_clamp 1
		.amdhsa_ieee_mode 1
		.amdhsa_fp16_overflow 0
		.amdhsa_tg_split 0
		.amdhsa_exception_fp_ieee_invalid_op 0
		.amdhsa_exception_fp_denorm_src 0
		.amdhsa_exception_fp_ieee_div_zero 0
		.amdhsa_exception_fp_ieee_overflow 0
		.amdhsa_exception_fp_ieee_underflow 0
		.amdhsa_exception_fp_ieee_inexact 0
		.amdhsa_exception_int_div_zero 0
	.end_amdhsa_kernel
	.section	.text._ZN2at4cuda12_GLOBAL__N_121kernelPointwiseApply2IZNS_6native9templates4cuda28bernoulli_tensor_cuda_kernelIbfEEvRKNS_10TensorBaseES9_NS_15PhiloxCudaStateEEUliRbSB_SB_SB_RKfSD_SD_SD_E_bSC_jLi2ELin1ELi4ELi512ELi2EEEvNS0_6detail10TensorInfoIT0_T2_EENSG_IT1_SI_EESI_T_,"axG",@progbits,_ZN2at4cuda12_GLOBAL__N_121kernelPointwiseApply2IZNS_6native9templates4cuda28bernoulli_tensor_cuda_kernelIbfEEvRKNS_10TensorBaseES9_NS_15PhiloxCudaStateEEUliRbSB_SB_SB_RKfSD_SD_SD_E_bSC_jLi2ELin1ELi4ELi512ELi2EEEvNS0_6detail10TensorInfoIT0_T2_EENSG_IT1_SI_EESI_T_,comdat
.Lfunc_end115:
	.size	_ZN2at4cuda12_GLOBAL__N_121kernelPointwiseApply2IZNS_6native9templates4cuda28bernoulli_tensor_cuda_kernelIbfEEvRKNS_10TensorBaseES9_NS_15PhiloxCudaStateEEUliRbSB_SB_SB_RKfSD_SD_SD_E_bSC_jLi2ELin1ELi4ELi512ELi2EEEvNS0_6detail10TensorInfoIT0_T2_EENSG_IT1_SI_EESI_T_, .Lfunc_end115-_ZN2at4cuda12_GLOBAL__N_121kernelPointwiseApply2IZNS_6native9templates4cuda28bernoulli_tensor_cuda_kernelIbfEEvRKNS_10TensorBaseES9_NS_15PhiloxCudaStateEEUliRbSB_SB_SB_RKfSD_SD_SD_E_bSC_jLi2ELin1ELi4ELi512ELi2EEEvNS0_6detail10TensorInfoIT0_T2_EENSG_IT1_SI_EESI_T_
                                        ; -- End function
	.section	.AMDGPU.csdata,"",@progbits
; Kernel info:
; codeLenInByte = 3964
; NumSgprs: 65
; NumVgprs: 51
; NumAgprs: 0
; TotalNumVgprs: 51
; ScratchSize: 0
; MemoryBound: 0
; FloatMode: 240
; IeeeMode: 1
; LDSByteSize: 0 bytes/workgroup (compile time only)
; SGPRBlocks: 8
; VGPRBlocks: 6
; NumSGPRsForWavesPerEU: 65
; NumVGPRsForWavesPerEU: 51
; AccumOffset: 52
; Occupancy: 8
; WaveLimiterHint : 1
; COMPUTE_PGM_RSRC2:SCRATCH_EN: 0
; COMPUTE_PGM_RSRC2:USER_SGPR: 6
; COMPUTE_PGM_RSRC2:TRAP_HANDLER: 0
; COMPUTE_PGM_RSRC2:TGID_X_EN: 1
; COMPUTE_PGM_RSRC2:TGID_Y_EN: 0
; COMPUTE_PGM_RSRC2:TGID_Z_EN: 0
; COMPUTE_PGM_RSRC2:TIDIG_COMP_CNT: 0
; COMPUTE_PGM_RSRC3_GFX90A:ACCUM_OFFSET: 12
; COMPUTE_PGM_RSRC3_GFX90A:TG_SPLIT: 0
	.section	.text._ZN2at4cuda12_GLOBAL__N_121kernelPointwiseApply2IZNS_6native9templates4cuda28bernoulli_tensor_cuda_kernelIbfEEvRKNS_10TensorBaseES9_NS_15PhiloxCudaStateEEUliRbSB_SB_SB_RKfSD_SD_SD_E_bSC_jLin1ELi1ELi4ELi512ELi2EEEvNS0_6detail10TensorInfoIT0_T2_EENSG_IT1_SI_EESI_T_,"axG",@progbits,_ZN2at4cuda12_GLOBAL__N_121kernelPointwiseApply2IZNS_6native9templates4cuda28bernoulli_tensor_cuda_kernelIbfEEvRKNS_10TensorBaseES9_NS_15PhiloxCudaStateEEUliRbSB_SB_SB_RKfSD_SD_SD_E_bSC_jLin1ELi1ELi4ELi512ELi2EEEvNS0_6detail10TensorInfoIT0_T2_EENSG_IT1_SI_EESI_T_,comdat
	.globl	_ZN2at4cuda12_GLOBAL__N_121kernelPointwiseApply2IZNS_6native9templates4cuda28bernoulli_tensor_cuda_kernelIbfEEvRKNS_10TensorBaseES9_NS_15PhiloxCudaStateEEUliRbSB_SB_SB_RKfSD_SD_SD_E_bSC_jLin1ELi1ELi4ELi512ELi2EEEvNS0_6detail10TensorInfoIT0_T2_EENSG_IT1_SI_EESI_T_ ; -- Begin function _ZN2at4cuda12_GLOBAL__N_121kernelPointwiseApply2IZNS_6native9templates4cuda28bernoulli_tensor_cuda_kernelIbfEEvRKNS_10TensorBaseES9_NS_15PhiloxCudaStateEEUliRbSB_SB_SB_RKfSD_SD_SD_E_bSC_jLin1ELi1ELi4ELi512ELi2EEEvNS0_6detail10TensorInfoIT0_T2_EENSG_IT1_SI_EESI_T_
	.p2align	8
	.type	_ZN2at4cuda12_GLOBAL__N_121kernelPointwiseApply2IZNS_6native9templates4cuda28bernoulli_tensor_cuda_kernelIbfEEvRKNS_10TensorBaseES9_NS_15PhiloxCudaStateEEUliRbSB_SB_SB_RKfSD_SD_SD_E_bSC_jLin1ELi1ELi4ELi512ELi2EEEvNS0_6detail10TensorInfoIT0_T2_EENSG_IT1_SI_EESI_T_,@function
_ZN2at4cuda12_GLOBAL__N_121kernelPointwiseApply2IZNS_6native9templates4cuda28bernoulli_tensor_cuda_kernelIbfEEvRKNS_10TensorBaseES9_NS_15PhiloxCudaStateEEUliRbSB_SB_SB_RKfSD_SD_SD_E_bSC_jLin1ELi1ELi4ELi512ELi2EEEvNS0_6detail10TensorInfoIT0_T2_EENSG_IT1_SI_EESI_T_: ; @_ZN2at4cuda12_GLOBAL__N_121kernelPointwiseApply2IZNS_6native9templates4cuda28bernoulli_tensor_cuda_kernelIbfEEvRKNS_10TensorBaseES9_NS_15PhiloxCudaStateEEUliRbSB_SB_SB_RKfSD_SD_SD_E_bSC_jLin1ELi1ELi4ELi512ELi2EEEvNS0_6detail10TensorInfoIT0_T2_EENSG_IT1_SI_EESI_T_
; %bb.0:
	s_load_dword s2, s[4:5], 0x1e4
	s_load_dword s33, s[4:5], 0x1b0
	s_add_u32 s0, s4, 0x1d8
	s_addc_u32 s1, s5, 0
	s_waitcnt lgkmcnt(0)
	s_and_b32 s2, s2, 0xffff
	s_mul_i32 s6, s6, s2
	v_add_u32_e32 v5, s6, v0
	v_lshlrev_b32_e32 v30, 2, v5
	v_cmp_gt_u32_e32 vcc, s33, v30
	s_and_saveexec_b64 s[6:7], vcc
	s_cbranch_execz .LBB116_65
; %bb.1:
	s_load_dword s3, s[0:1], 0x0
	s_load_dword s54, s[4:5], 0x144
	s_load_dwordx4 s[12:15], s[4:5], 0x1b8
	s_load_dwordx2 s[10:11], s[4:5], 0xd8
	s_load_dword s6, s[4:5], 0xd0
	s_waitcnt lgkmcnt(0)
	s_mul_i32 s7, s3, s2
	s_load_dwordx2 s[16:17], s[4:5], 0x1c8
	s_load_dword s2, s[4:5], 0x1d0
	s_load_dword s55, s[4:5], 0x6c
	s_mov_b32 s56, 0xcd9e8d57
	s_load_dwordx2 s[20:21], s[4:5], 0x0
	s_cmp_gt_i32 s6, 1
	s_cselect_b64 s[0:1], -1, 0
	s_waitcnt lgkmcnt(0)
	s_bitcmp1_b32 s2, 0
	v_mad_u64_u32 v[0:1], s[2:3], v5, s56, 0
	s_cselect_b64 s[22:23], -1, 0
	s_add_i32 s2, s6, -1
	s_mov_b32 s3, 0
	s_lshl_b32 s57, s7, 2
	s_add_i32 s58, s6, 1
	s_lshl_b64 s[2:3], s[2:3], 2
	s_add_u32 s2, s2, s4
	s_addc_u32 s3, s3, s5
	v_mov_b32_e32 v4, v1
	s_add_u32 s24, s2, 8
	v_cndmask_b32_e64 v1, 0, 1, s[0:1]
	v_mov_b32_e32 v3, 0
	s_addc_u32 s25, s3, 0
	s_mov_b64 s[26:27], 0
	s_mov_b32 s59, 0xd2511f53
	v_cmp_ne_u32_e64 s[0:1], 1, v1
	s_mov_b32 s60, 0xf1bbcdc8
                                        ; implicit-def: $sgpr28_sgpr29
                                        ; implicit-def: $sgpr30_sgpr31
                                        ; implicit-def: $sgpr34_sgpr35
                                        ; implicit-def: $sgpr18_sgpr19
                                        ; implicit-def: $sgpr36_sgpr37
                                        ; implicit-def: $sgpr38_sgpr39
                                        ; implicit-def: $sgpr40_sgpr41
                                        ; implicit-def: $sgpr42_sgpr43
	s_branch .LBB116_3
.LBB116_2:                              ;   in Loop: Header=BB116_3 Depth=1
	s_or_b64 exec, exec, s[4:5]
	s_and_b64 s[2:3], exec, s[2:3]
	s_or_b64 s[26:27], s[2:3], s[26:27]
	s_andn2_b64 s[2:3], s[18:19], exec
	s_and_b64 s[4:5], s[42:43], exec
	s_or_b64 s[18:19], s[2:3], s[4:5]
	s_andn2_b64 s[2:3], s[34:35], exec
	s_and_b64 s[4:5], s[40:41], exec
	;; [unrolled: 3-line block ×4, first 2 shown]
	s_or_b64 s[28:29], s[2:3], s[4:5]
	s_andn2_b64 exec, exec, s[26:27]
	s_cbranch_execz .LBB116_61
.LBB116_3:                              ; =>This Loop Header: Depth=1
                                        ;     Child Loop BB116_6 Depth 2
                                        ;     Child Loop BB116_11 Depth 2
	;; [unrolled: 1-line block ×4, first 2 shown]
	v_sub_u32_e32 v1, s33, v30
	v_cmp_lt_i32_e64 s[2:3], 0, v1
	v_mov_b32_e32 v6, 0
	s_and_saveexec_b64 s[4:5], s[2:3]
	s_cbranch_execz .LBB116_8
; %bb.4:                                ;   in Loop: Header=BB116_3 Depth=1
	s_and_b64 vcc, exec, s[0:1]
	v_mov_b32_e32 v6, 0
	s_waitcnt vmcnt(3)
	v_mov_b32_e32 v2, v30
	s_cbranch_vccnz .LBB116_7
; %bb.5:                                ;   in Loop: Header=BB116_3 Depth=1
	v_mov_b32_e32 v6, 0
	s_mov_b64 s[6:7], s[24:25]
	s_mov_b32 s8, s58
	v_mov_b32_e32 v2, v30
.LBB116_6:                              ;   Parent Loop BB116_3 Depth=1
                                        ; =>  This Inner Loop Header: Depth=2
	s_load_dword s9, s[6:7], 0x0
	s_load_dword s44, s[6:7], 0x64
	s_waitcnt vmcnt(2)
	v_mov_b32_e32 v7, v2
	s_add_i32 s8, s8, -1
	s_waitcnt lgkmcnt(0)
	v_cvt_f32_u32_e32 v2, s9
	s_sub_i32 s45, 0, s9
	s_add_u32 s6, s6, -4
	s_addc_u32 s7, s7, -1
	v_rcp_iflag_f32_e32 v2, v2
	s_cmp_gt_u32 s8, 2
	v_mul_f32_e32 v2, 0x4f7ffffe, v2
	v_cvt_u32_f32_e32 v2, v2
	v_mul_lo_u32 v8, s45, v2
	v_mul_hi_u32 v8, v2, v8
	v_add_u32_e32 v2, v2, v8
	v_mul_hi_u32 v2, v7, v2
	v_mul_lo_u32 v8, v2, s9
	v_sub_u32_e32 v8, v7, v8
	v_add_u32_e32 v9, 1, v2
	v_cmp_le_u32_e32 vcc, s9, v8
	v_cndmask_b32_e32 v2, v2, v9, vcc
	v_subrev_u32_e32 v9, s9, v8
	v_cndmask_b32_e32 v8, v8, v9, vcc
	v_add_u32_e32 v9, 1, v2
	v_cmp_le_u32_e32 vcc, s9, v8
	v_cndmask_b32_e32 v2, v2, v9, vcc
	v_mul_lo_u32 v8, v2, s9
	v_sub_u32_e32 v7, v7, v8
	v_mad_u64_u32 v[6:7], s[44:45], s44, v7, v[6:7]
	s_cbranch_scc1 .LBB116_6
.LBB116_7:                              ;   in Loop: Header=BB116_3 Depth=1
	s_waitcnt vmcnt(2)
	v_mad_u64_u32 v[6:7], s[6:7], s55, v2, v[6:7]
.LBB116_8:                              ;   in Loop: Header=BB116_3 Depth=1
	s_or_b64 exec, exec, s[4:5]
	v_cmp_lt_i32_e64 s[4:5], 1, v1
	v_pk_mov_b32 v[8:9], 0, 0
	s_and_saveexec_b64 s[6:7], s[4:5]
	s_cbranch_execz .LBB116_13
; %bb.9:                                ;   in Loop: Header=BB116_3 Depth=1
	s_waitcnt vmcnt(3)
	v_or_b32_e32 v2, 1, v30
	s_and_b64 vcc, exec, s[0:1]
	v_mov_b32_e32 v8, 0
	s_cbranch_vccnz .LBB116_12
; %bb.10:                               ;   in Loop: Header=BB116_3 Depth=1
	v_mov_b32_e32 v8, 0
	s_mov_b64 s[8:9], s[24:25]
	s_mov_b32 s44, s58
.LBB116_11:                             ;   Parent Loop BB116_3 Depth=1
                                        ; =>  This Inner Loop Header: Depth=2
	s_load_dword s45, s[8:9], 0x0
	s_load_dword s46, s[8:9], 0x64
	s_waitcnt vmcnt(2)
	v_mov_b32_e32 v7, v2
	s_add_i32 s44, s44, -1
	s_waitcnt lgkmcnt(0)
	v_cvt_f32_u32_e32 v2, s45
	s_sub_i32 s47, 0, s45
	s_add_u32 s8, s8, -4
	s_addc_u32 s9, s9, -1
	v_rcp_iflag_f32_e32 v2, v2
	s_cmp_gt_u32 s44, 2
	v_mul_f32_e32 v2, 0x4f7ffffe, v2
	v_cvt_u32_f32_e32 v2, v2
	v_mul_lo_u32 v9, s47, v2
	v_mul_hi_u32 v9, v2, v9
	v_add_u32_e32 v2, v2, v9
	v_mul_hi_u32 v2, v7, v2
	v_mul_lo_u32 v9, v2, s45
	v_sub_u32_e32 v9, v7, v9
	v_add_u32_e32 v10, 1, v2
	v_cmp_le_u32_e32 vcc, s45, v9
	v_cndmask_b32_e32 v2, v2, v10, vcc
	v_subrev_u32_e32 v10, s45, v9
	v_cndmask_b32_e32 v9, v9, v10, vcc
	v_add_u32_e32 v10, 1, v2
	v_cmp_le_u32_e32 vcc, s45, v9
	v_cndmask_b32_e32 v2, v2, v10, vcc
	v_mul_lo_u32 v9, v2, s45
	v_sub_u32_e32 v7, v7, v9
	v_mad_u64_u32 v[8:9], s[46:47], s46, v7, v[8:9]
	s_cbranch_scc1 .LBB116_11
.LBB116_12:                             ;   in Loop: Header=BB116_3 Depth=1
	v_mad_u64_u32 v[8:9], s[8:9], s55, v2, v[8:9]
	v_mov_b32_e32 v9, v3
.LBB116_13:                             ;   in Loop: Header=BB116_3 Depth=1
	s_or_b64 exec, exec, s[6:7]
	v_cmp_lt_i32_e64 s[6:7], 2, v1
	v_pk_mov_b32 v[10:11], 0, 0
	s_and_saveexec_b64 s[8:9], s[6:7]
	s_cbranch_execz .LBB116_18
; %bb.14:                               ;   in Loop: Header=BB116_3 Depth=1
	s_waitcnt vmcnt(3)
	v_or_b32_e32 v2, 2, v30
	s_and_b64 vcc, exec, s[0:1]
	v_mov_b32_e32 v10, 0
	s_cbranch_vccnz .LBB116_17
; %bb.15:                               ;   in Loop: Header=BB116_3 Depth=1
	v_mov_b32_e32 v10, 0
	s_mov_b64 s[44:45], s[24:25]
	s_mov_b32 s46, s58
.LBB116_16:                             ;   Parent Loop BB116_3 Depth=1
                                        ; =>  This Inner Loop Header: Depth=2
	s_load_dword s47, s[44:45], 0x0
	s_load_dword s48, s[44:45], 0x64
	s_waitcnt vmcnt(2)
	v_mov_b32_e32 v7, v2
	s_add_i32 s46, s46, -1
	s_waitcnt lgkmcnt(0)
	v_cvt_f32_u32_e32 v2, s47
	s_sub_i32 s49, 0, s47
	s_add_u32 s44, s44, -4
	s_addc_u32 s45, s45, -1
	v_rcp_iflag_f32_e32 v2, v2
	s_cmp_gt_u32 s46, 2
	v_mul_f32_e32 v2, 0x4f7ffffe, v2
	v_cvt_u32_f32_e32 v2, v2
	v_mul_lo_u32 v11, s49, v2
	v_mul_hi_u32 v11, v2, v11
	v_add_u32_e32 v2, v2, v11
	v_mul_hi_u32 v2, v7, v2
	v_mul_lo_u32 v11, v2, s47
	v_sub_u32_e32 v11, v7, v11
	v_add_u32_e32 v12, 1, v2
	v_cmp_le_u32_e32 vcc, s47, v11
	v_cndmask_b32_e32 v2, v2, v12, vcc
	v_subrev_u32_e32 v12, s47, v11
	v_cndmask_b32_e32 v11, v11, v12, vcc
	v_add_u32_e32 v12, 1, v2
	v_cmp_le_u32_e32 vcc, s47, v11
	v_cndmask_b32_e32 v2, v2, v12, vcc
	v_mul_lo_u32 v11, v2, s47
	v_sub_u32_e32 v7, v7, v11
	v_mad_u64_u32 v[10:11], s[48:49], s48, v7, v[10:11]
	s_cbranch_scc1 .LBB116_16
.LBB116_17:                             ;   in Loop: Header=BB116_3 Depth=1
	v_mad_u64_u32 v[10:11], s[44:45], s55, v2, v[10:11]
	v_mov_b32_e32 v11, v3
.LBB116_18:                             ;   in Loop: Header=BB116_3 Depth=1
	s_or_b64 exec, exec, s[8:9]
	v_cmp_lt_i32_e64 s[8:9], 3, v1
	v_pk_mov_b32 v[14:15], 0, 0
	s_and_saveexec_b64 s[44:45], s[8:9]
	s_cbranch_execz .LBB116_23
; %bb.19:                               ;   in Loop: Header=BB116_3 Depth=1
	s_waitcnt vmcnt(3)
	v_or_b32_e32 v2, 3, v30
	s_and_b64 vcc, exec, s[0:1]
	v_mov_b32_e32 v12, 0
	s_cbranch_vccnz .LBB116_22
; %bb.20:                               ;   in Loop: Header=BB116_3 Depth=1
	v_mov_b32_e32 v12, 0
	s_mov_b64 s[46:47], s[24:25]
	s_mov_b32 s48, s58
.LBB116_21:                             ;   Parent Loop BB116_3 Depth=1
                                        ; =>  This Inner Loop Header: Depth=2
	s_load_dword s49, s[46:47], 0x0
	s_load_dword s50, s[46:47], 0x64
	s_waitcnt vmcnt(2)
	v_mov_b32_e32 v7, v2
	s_add_i32 s48, s48, -1
	s_waitcnt lgkmcnt(0)
	v_cvt_f32_u32_e32 v2, s49
	s_sub_i32 s51, 0, s49
	s_add_u32 s46, s46, -4
	s_addc_u32 s47, s47, -1
	v_rcp_iflag_f32_e32 v2, v2
	s_cmp_gt_u32 s48, 2
	v_mul_f32_e32 v2, 0x4f7ffffe, v2
	v_cvt_u32_f32_e32 v2, v2
	v_mul_lo_u32 v13, s51, v2
	v_mul_hi_u32 v13, v2, v13
	v_add_u32_e32 v2, v2, v13
	v_mul_hi_u32 v2, v7, v2
	v_mul_lo_u32 v13, v2, s49
	v_sub_u32_e32 v13, v7, v13
	v_add_u32_e32 v14, 1, v2
	v_cmp_le_u32_e32 vcc, s49, v13
	v_cndmask_b32_e32 v2, v2, v14, vcc
	v_subrev_u32_e32 v14, s49, v13
	v_cndmask_b32_e32 v13, v13, v14, vcc
	v_add_u32_e32 v14, 1, v2
	v_cmp_le_u32_e32 vcc, s49, v13
	v_cndmask_b32_e32 v2, v2, v14, vcc
	v_mul_lo_u32 v13, v2, s49
	v_sub_u32_e32 v7, v7, v13
	v_mad_u64_u32 v[12:13], s[50:51], s50, v7, v[12:13]
	s_cbranch_scc1 .LBB116_21
.LBB116_22:                             ;   in Loop: Header=BB116_3 Depth=1
	v_mad_u64_u32 v[14:15], s[46:47], s55, v2, v[12:13]
	v_mov_b32_e32 v15, v3
.LBB116_23:                             ;   in Loop: Header=BB116_3 Depth=1
	s_or_b64 exec, exec, s[44:45]
	s_waitcnt vmcnt(3)
	v_mul_lo_u32 v2, v30, s54
	s_waitcnt vmcnt(2)
	v_add_u32_e32 v7, s54, v2
	v_cndmask_b32_e64 v2, 0, v2, s[2:3]
	v_lshlrev_b64 v[12:13], 2, v[2:3]
	v_mov_b32_e32 v22, s11
	v_add_co_u32_e32 v12, vcc, s10, v12
	v_cndmask_b32_e64 v2, 0, v7, s[4:5]
	v_add_u32_e32 v18, s54, v7
	v_addc_co_u32_e32 v13, vcc, v22, v13, vcc
	v_lshlrev_b64 v[16:17], 2, v[2:3]
	v_add_co_u32_e32 v16, vcc, s10, v16
	v_cndmask_b32_e64 v2, 0, v18, s[6:7]
	v_add_u32_e32 v20, s54, v18
	v_addc_co_u32_e32 v17, vcc, v22, v17, vcc
	v_lshlrev_b64 v[18:19], 2, v[2:3]
	v_add_co_u32_e32 v18, vcc, s10, v18
	v_cndmask_b32_e64 v2, 0, v20, s[8:9]
	v_addc_co_u32_e32 v19, vcc, v22, v19, vcc
	v_lshlrev_b64 v[20:21], 2, v[2:3]
	v_add_co_u32_e32 v20, vcc, s10, v20
	v_addc_co_u32_e32 v21, vcc, v22, v21, vcc
	global_load_dword v2, v[12:13], off
	global_load_dword v7, v[16:17], off
	;; [unrolled: 1-line block ×4, first 2 shown]
	s_andn2_b64 vcc, exec, s[22:23]
	v_pk_mov_b32 v[12:13], s[14:15], s[14:15] op_sel:[0,1]
	v_pk_mov_b32 v[16:17], s[12:13], s[12:13] op_sel:[0,1]
	s_cbranch_vccnz .LBB116_25
; %bb.24:                               ;   in Loop: Header=BB116_3 Depth=1
	v_pk_mov_b32 v[12:13], s[14:15], s[14:15] op_sel:[0,1]
	flat_load_dwordx2 v[12:13], v[12:13]
	v_pk_mov_b32 v[16:17], s[12:13], s[12:13] op_sel:[0,1]
	flat_load_dwordx2 v[16:17], v[16:17]
	v_mov_b32_e32 v18, s17
	s_waitcnt vmcnt(0) lgkmcnt(0)
	v_add_co_u32_e32 v12, vcc, s16, v12
	v_addc_co_u32_e32 v13, vcc, v13, v18, vcc
.LBB116_25:                             ;   in Loop: Header=BB116_3 Depth=1
	v_alignbit_b32 v26, v13, v12, 2
	v_lshrrev_b32_e32 v27, 2, v13
	v_xor_b32_e32 v18, v4, v16
	v_and_b32_e32 v33, 3, v12
	v_mad_u64_u32 v[12:13], s[2:3], v26, s59, 0
	v_xor_b32_e32 v18, v18, v27
	v_xor_b32_e32 v13, v13, v17
	v_add_u32_e32 v38, 0xbb67ae85, v17
	v_mad_u64_u32 v[18:19], s[2:3], v18, s59, 0
	v_mad_u64_u32 v[20:21], s[2:3], v13, s56, 0
	v_xor_b32_e32 v19, v38, v19
	v_add_u32_e32 v37, 0x9e3779b9, v16
	v_xor_b32_e32 v13, v0, v21
	v_xor_b32_e32 v19, v19, v12
	v_xor_b32_e32 v13, v13, v37
	v_add_u32_e32 v39, 0x3c6ef372, v16
	v_mad_u64_u32 v[22:23], s[2:3], v19, s56, 0
	v_add_u32_e32 v40, 0x76cf5d0a, v17
	v_mad_u64_u32 v[12:13], s[2:3], v13, s59, 0
	v_xor_b32_e32 v19, v39, v23
	v_xor_b32_e32 v19, v19, v20
	v_xor_b32_e32 v13, v40, v13
	v_xor_b32_e32 v13, v13, v18
	v_add_u32_e32 v42, 0x32370b8f, v17
	v_mad_u64_u32 v[18:19], s[2:3], v19, s59, 0
	v_add_u32_e32 v41, 0xdaa66d2b, v16
	v_mad_u64_u32 v[20:21], s[2:3], v13, s56, 0
	v_xor_b32_e32 v19, v42, v19
	;; [unrolled: 8-line block ×5, first 2 shown]
	v_xor_b32_e32 v19, v19, v20
	v_xor_b32_e32 v13, v48, v13
	v_xor_b32_e32 v13, v13, v18
	v_add_u32_e32 v50, 0x1fd5c5a3, v17
	v_mad_u64_u32 v[18:19], s[2:3], v19, s59, 0
	v_xor_b32_e32 v19, v50, v19
	v_xor_b32_e32 v12, v19, v12
	v_add_u32_e32 v49, 0x5384540f, v16
	v_mad_u64_u32 v[24:25], s[2:3], v13, s56, 0
	v_add_co_u32_e32 v35, vcc, s60, v16
	v_mad_u64_u32 v[20:21], s[2:3], v12, s56, 0
	v_xor_b32_e32 v13, v49, v25
	v_xor_b32_e32 v12, v35, v21
	;; [unrolled: 1-line block ×4, first 2 shown]
	v_mad_u64_u32 v[22:23], s[2:3], v13, s59, 0
	v_mad_u64_u32 v[12:13], s[2:3], v12, s59, 0
	v_add_u32_e32 v36, 0x96a522ad, v17
	v_xor_b32_e32 v13, v13, v22
	v_xor_b32_e32 v34, v36, v13
	v_add_co_u32_e32 v13, vcc, 1, v26
	v_cndmask_b32_e64 v22, 0, 1, vcc
	v_addc_co_u32_e32 v28, vcc, 0, v27, vcc
	v_cmp_eq_u32_e32 vcc, 0, v28
	v_cndmask_b32_e32 v22, 0, v22, vcc
	v_add_u32_e32 v26, v22, v5
	v_cmp_eq_u32_e32 vcc, 0, v26
	v_mad_u64_u32 v[24:25], s[2:3], v13, s59, 0
	v_mad_u64_u32 v[26:27], s[2:3], v26, s56, 0
	v_add_u32_e32 v21, 0x8ff34781, v16
	v_cndmask_b32_e32 v22, 0, v22, vcc
	v_xor_b32_e32 v13, v27, v16
	v_xor_b32_e32 v16, v25, v17
	;; [unrolled: 1-line block ×4, first 2 shown]
	v_mad_u64_u32 v[28:29], s[2:3], v22, s56, 0
	v_add_u32_e32 v19, 0xdb3d7428, v17
	v_mad_u64_u32 v[16:17], s[2:3], v13, s59, 0
	v_xor_b32_e32 v13, v37, v29
	v_xor_b32_e32 v13, v13, v26
	v_xor_b32_e32 v17, v38, v17
	v_xor_b32_e32 v17, v17, v24
	v_mad_u64_u32 v[24:25], s[2:3], v13, s59, 0
	v_mad_u64_u32 v[26:27], s[2:3], v17, s56, 0
	v_xor_b32_e32 v17, v40, v25
	v_xor_b32_e32 v13, v39, v27
	v_xor_b32_e32 v22, v17, v16
	v_xor_b32_e32 v13, v13, v28
	v_mad_u64_u32 v[28:29], s[2:3], v22, s56, 0
	;; [unrolled: 6-line block ×7, first 2 shown]
	v_xor_b32_e32 v13, v19, v27
	v_xor_b32_e32 v13, v13, v16
	v_mad_u64_u32 v[28:29], s[2:3], v17, s56, 0
	v_mad_u64_u32 v[16:17], s[2:3], v13, s56, 0
	v_xor_b32_e32 v13, v17, v28
	v_xor_b32_e32 v13, v21, v13
	v_cmp_lt_i32_e32 vcc, 1, v33
                                        ; implicit-def: $vgpr17
	s_and_saveexec_b64 s[2:3], vcc
	s_xor_b64 s[2:3], exec, s[2:3]
	s_cbranch_execz .LBB116_31
; %bb.26:                               ;   in Loop: Header=BB116_3 Depth=1
	v_cmp_lt_i32_e32 vcc, 2, v33
                                        ; implicit-def: $vgpr17
	s_and_saveexec_b64 s[4:5], vcc
	s_xor_b64 s[4:5], exec, s[4:5]
; %bb.27:                               ;   in Loop: Header=BB116_3 Depth=1
	v_xor_b32_e32 v17, v35, v29
	v_xor_b32_e32 v17, v17, v24
	v_mul_hi_u32 v17, v17, s59
	v_xor_b32_e32 v17, v17, v26
	v_xor_b32_e32 v17, v36, v17
                                        ; implicit-def: $vgpr34
; %bb.28:                               ;   in Loop: Header=BB116_3 Depth=1
	s_andn2_saveexec_b64 s[4:5], s[4:5]
; %bb.29:                               ;   in Loop: Header=BB116_3 Depth=1
	v_mov_b32_e32 v17, v16
	v_mov_b32_e32 v16, v13
	;; [unrolled: 1-line block ×4, first 2 shown]
; %bb.30:                               ;   in Loop: Header=BB116_3 Depth=1
	s_or_b64 exec, exec, s[4:5]
                                        ; implicit-def: $vgpr18_vgpr19
                                        ; implicit-def: $vgpr20_vgpr21
                                        ; implicit-def: $vgpr33
                                        ; implicit-def: $vgpr34
                                        ; implicit-def: $vgpr22_vgpr23
                                        ; implicit-def: $vgpr19
                                        ; implicit-def: $vgpr21
.LBB116_31:                             ;   in Loop: Header=BB116_3 Depth=1
	s_andn2_saveexec_b64 s[2:3], s[2:3]
	s_cbranch_execz .LBB116_35
; %bb.32:                               ;   in Loop: Header=BB116_3 Depth=1
	v_xor_b32_e32 v16, v19, v23
	v_xor_b32_e32 v16, v16, v18
	v_mad_u64_u32 v[18:19], s[4:5], v16, s56, 0
	v_xor_b32_e32 v16, v19, v20
	v_xor_b32_e32 v19, v21, v16
	v_cmp_eq_u32_e32 vcc, 1, v33
	v_mov_b32_e32 v17, v12
	v_mov_b32_e32 v16, v34
	;; [unrolled: 1-line block ×3, first 2 shown]
	s_and_saveexec_b64 s[4:5], vcc
; %bb.33:                               ;   in Loop: Header=BB116_3 Depth=1
	v_mov_b32_e32 v17, v13
	v_mov_b32_e32 v16, v12
	;; [unrolled: 1-line block ×4, first 2 shown]
; %bb.34:                               ;   in Loop: Header=BB116_3 Depth=1
	s_or_b64 exec, exec, s[4:5]
	v_mov_b32_e32 v12, v19
	v_mov_b32_e32 v13, v20
.LBB116_35:                             ;   in Loop: Header=BB116_3 Depth=1
	s_or_b64 exec, exec, s[2:3]
	v_min_i32_e32 v1, 4, v1
	v_cmp_lt_i32_e32 vcc, 2, v1
	s_mov_b64 s[4:5], 0
	s_mov_b64 s[50:51], 0
	;; [unrolled: 1-line block ×3, first 2 shown]
                                        ; implicit-def: $sgpr8_sgpr9
                                        ; implicit-def: $sgpr44_sgpr45
                                        ; implicit-def: $sgpr46_sgpr47
	s_and_saveexec_b64 s[2:3], vcc
	s_xor_b64 s[48:49], exec, s[2:3]
	s_cbranch_execz .LBB116_47
; %bb.36:                               ;   in Loop: Header=BB116_3 Depth=1
	v_cmp_lt_i32_e32 vcc, 3, v1
	s_mov_b64 s[2:3], -1
	s_mov_b64 s[52:53], 0
                                        ; implicit-def: $sgpr6_sgpr7
                                        ; implicit-def: $sgpr8_sgpr9
	s_and_saveexec_b64 s[44:45], vcc
	s_cbranch_execz .LBB116_42
; %bb.37:                               ;   in Loop: Header=BB116_3 Depth=1
	v_cmp_eq_u32_e32 vcc, 4, v1
	s_mov_b64 s[2:3], 0
	s_mov_b64 s[52:53], -1
                                        ; implicit-def: $sgpr6_sgpr7
                                        ; implicit-def: $sgpr8_sgpr9
	s_and_saveexec_b64 s[46:47], vcc
	s_cbranch_execz .LBB116_41
; %bb.38:                               ;   in Loop: Header=BB116_3 Depth=1
	s_waitcnt vmcnt(0)
	v_cmp_le_f32_e32 vcc, 0, v32
	v_cmp_ge_f32_e64 s[2:3], 1.0, v32
	s_and_b64 s[52:53], vcc, s[2:3]
	s_mov_b64 s[6:7], 0
	s_mov_b64 s[2:3], 0
	s_and_saveexec_b64 s[8:9], s[52:53]
	s_cbranch_execz .LBB116_40
; %bb.39:                               ;   in Loop: Header=BB116_3 Depth=1
	v_cvt_f32_u32_e32 v17, v17
	v_mov_b32_e32 v18, 0x2f800000
	v_mov_b32_e32 v19, s21
	v_add_co_u32_e32 v14, vcc, s20, v14
	v_fmac_f32_e32 v18, 0x2f800000, v17
	v_addc_co_u32_e32 v15, vcc, v19, v15, vcc
	v_cmp_le_f32_e32 vcc, v18, v32
	s_mov_b64 s[2:3], exec
	v_cndmask_b32_e64 v17, 0, 1, vcc
	global_store_byte v[14:15], v17, off
.LBB116_40:                             ;   in Loop: Header=BB116_3 Depth=1
	s_or_b64 exec, exec, s[8:9]
	s_mov_b64 s[8:9], -1
	s_xor_b64 s[52:53], exec, -1
	s_and_b64 s[2:3], s[2:3], exec
.LBB116_41:                             ;   in Loop: Header=BB116_3 Depth=1
	s_or_b64 exec, exec, s[46:47]
	s_and_b64 s[52:53], s[52:53], exec
	s_orn2_b64 s[2:3], s[2:3], exec
.LBB116_42:                             ;   in Loop: Header=BB116_3 Depth=1
	s_or_b64 exec, exec, s[44:45]
	s_mov_b64 s[46:47], s[6:7]
	s_and_saveexec_b64 s[44:45], s[2:3]
	s_cbranch_execz .LBB116_46
; %bb.43:                               ;   in Loop: Header=BB116_3 Depth=1
	s_waitcnt vmcnt(1)
	v_cmp_le_f32_e32 vcc, 0, v31
	v_cmp_ge_f32_e64 s[2:3], 1.0, v31
	s_and_b64 s[46:47], vcc, s[2:3]
	s_mov_b64 s[2:3], 0
	s_and_saveexec_b64 s[50:51], s[46:47]
	s_xor_b64 s[46:47], exec, s[50:51]
	s_cbranch_execz .LBB116_45
; %bb.44:                               ;   in Loop: Header=BB116_3 Depth=1
	v_cvt_f32_u32_e32 v14, v16
	v_mov_b32_e32 v15, 0x2f800000
	v_mov_b32_e32 v16, s21
	v_add_co_u32_e32 v10, vcc, s20, v10
	v_fmac_f32_e32 v15, 0x2f800000, v14
	v_addc_co_u32_e32 v11, vcc, v16, v11, vcc
	v_cmp_le_f32_e32 vcc, v15, v31
	v_cndmask_b32_e64 v14, 0, 1, vcc
	s_mov_b64 s[2:3], exec
	global_store_byte v[10:11], v14, off
.LBB116_45:                             ;   in Loop: Header=BB116_3 Depth=1
	s_or_b64 exec, exec, s[46:47]
	s_andn2_b64 s[46:47], s[6:7], exec
	s_or_b64 s[6:7], s[6:7], exec
	s_andn2_b64 s[8:9], s[8:9], exec
	s_and_b64 s[50:51], s[2:3], exec
.LBB116_46:                             ;   in Loop: Header=BB116_3 Depth=1
	s_or_b64 exec, exec, s[44:45]
	s_and_b64 s[46:47], s[46:47], exec
	s_and_b64 s[44:45], s[6:7], exec
	;; [unrolled: 1-line block ×5, first 2 shown]
.LBB116_47:                             ;   in Loop: Header=BB116_3 Depth=1
	s_andn2_saveexec_b64 s[2:3], s[48:49]
; %bb.48:                               ;   in Loop: Header=BB116_3 Depth=1
	v_cmp_lt_i32_e32 vcc, 1, v1
	s_andn2_b64 s[48:49], s[50:51], exec
	s_and_b64 s[50:51], vcc, exec
	s_mov_b64 s[4:5], exec
	s_andn2_b64 s[46:47], s[46:47], exec
	s_andn2_b64 s[44:45], s[44:45], exec
	;; [unrolled: 1-line block ×3, first 2 shown]
	s_or_b64 s[50:51], s[48:49], s[50:51]
; %bb.49:                               ;   in Loop: Header=BB116_3 Depth=1
	s_or_b64 exec, exec, s[2:3]
	s_mov_b64 s[2:3], 0
	s_mov_b64 s[48:49], s[46:47]
	s_and_saveexec_b64 s[52:53], s[50:51]
	s_cbranch_execnz .LBB116_52
; %bb.50:                               ;   in Loop: Header=BB116_3 Depth=1
	s_or_b64 exec, exec, s[52:53]
	s_and_saveexec_b64 s[50:51], s[4:5]
	s_cbranch_execnz .LBB116_55
.LBB116_51:                             ;   in Loop: Header=BB116_3 Depth=1
	s_or_b64 exec, exec, s[50:51]
	s_and_saveexec_b64 s[4:5], s[2:3]
	s_cbranch_execnz .LBB116_56
	s_branch .LBB116_59
.LBB116_52:                             ;   in Loop: Header=BB116_3 Depth=1
	s_waitcnt vmcnt(2)
	v_cmp_le_f32_e32 vcc, 0, v7
	v_cmp_ge_f32_e64 s[2:3], 1.0, v7
	s_and_b64 s[48:49], vcc, s[2:3]
	s_mov_b64 s[2:3], 0
	s_and_saveexec_b64 s[50:51], s[48:49]
	s_xor_b64 s[48:49], exec, s[50:51]
	s_cbranch_execz .LBB116_54
; %bb.53:                               ;   in Loop: Header=BB116_3 Depth=1
	v_cvt_f32_u32_e32 v10, v13
	v_mov_b32_e32 v11, 0x2f800000
	v_mov_b32_e32 v13, s21
	v_add_co_u32_e32 v8, vcc, s20, v8
	v_fmac_f32_e32 v11, 0x2f800000, v10
	v_addc_co_u32_e32 v9, vcc, v13, v9, vcc
	v_cmp_le_f32_e32 vcc, v11, v7
	v_cndmask_b32_e64 v7, 0, 1, vcc
	s_mov_b64 s[2:3], exec
	global_store_byte v[8:9], v7, off
.LBB116_54:                             ;   in Loop: Header=BB116_3 Depth=1
	s_or_b64 exec, exec, s[48:49]
	s_andn2_b64 s[48:49], s[46:47], exec
	s_or_b64 s[46:47], s[46:47], exec
	s_andn2_b64 s[44:45], s[44:45], exec
	s_andn2_b64 s[8:9], s[8:9], exec
	s_and_b64 s[2:3], s[2:3], exec
	s_andn2_b64 s[4:5], s[4:5], exec
	s_or_b64 exec, exec, s[52:53]
	s_and_saveexec_b64 s[50:51], s[4:5]
	s_cbranch_execz .LBB116_51
.LBB116_55:                             ;   in Loop: Header=BB116_3 Depth=1
	v_cmp_eq_u32_e32 vcc, 1, v1
	s_andn2_b64 s[2:3], s[2:3], exec
	s_and_b64 s[4:5], vcc, exec
	s_andn2_b64 s[48:49], s[48:49], exec
	s_andn2_b64 s[46:47], s[46:47], exec
	;; [unrolled: 1-line block ×4, first 2 shown]
	s_or_b64 s[6:7], s[6:7], exec
	s_or_b64 s[2:3], s[2:3], s[4:5]
	s_or_b64 exec, exec, s[50:51]
	s_and_saveexec_b64 s[4:5], s[2:3]
	s_cbranch_execz .LBB116_59
.LBB116_56:                             ;   in Loop: Header=BB116_3 Depth=1
	s_waitcnt vmcnt(3)
	v_cmp_le_f32_e32 vcc, 0, v2
	v_cmp_ge_f32_e64 s[2:3], 1.0, v2
	s_and_b64 s[52:53], vcc, s[2:3]
	s_mov_b64 s[2:3], 0
	s_and_saveexec_b64 s[50:51], s[52:53]
	s_cbranch_execz .LBB116_58
; %bb.57:                               ;   in Loop: Header=BB116_3 Depth=1
	v_cvt_f32_u32_e32 v1, v12
	s_waitcnt vmcnt(2)
	v_mov_b32_e32 v7, 0x2f800000
	s_mov_b64 s[2:3], exec
	v_fmac_f32_e32 v7, 0x2f800000, v1
	v_cmp_le_f32_e32 vcc, v7, v2
	v_cndmask_b32_e64 v1, 0, 1, vcc
	global_store_byte v6, v1, s[20:21]
.LBB116_58:                             ;   in Loop: Header=BB116_3 Depth=1
	s_or_b64 exec, exec, s[50:51]
	s_andn2_b64 s[6:7], s[6:7], exec
	s_and_b64 s[2:3], s[2:3], exec
	s_or_b64 s[48:49], s[48:49], exec
	s_andn2_b64 s[46:47], s[46:47], exec
	s_andn2_b64 s[44:45], s[44:45], exec
	;; [unrolled: 1-line block ×3, first 2 shown]
	s_or_b64 s[6:7], s[6:7], s[2:3]
.LBB116_59:                             ;   in Loop: Header=BB116_3 Depth=1
	s_or_b64 exec, exec, s[4:5]
	s_andn2_b64 s[4:5], s[42:43], exec
	s_and_b64 s[42:43], s[48:49], exec
	s_or_b64 s[42:43], s[4:5], s[42:43]
	s_andn2_b64 s[4:5], s[40:41], exec
	s_and_b64 s[40:41], s[46:47], exec
	s_or_b64 s[40:41], s[4:5], s[40:41]
	;; [unrolled: 3-line block ×3, first 2 shown]
	s_andn2_b64 s[4:5], s[36:37], exec
	s_and_b64 s[8:9], s[8:9], exec
	s_mov_b64 s[2:3], -1
	s_or_b64 s[36:37], s[4:5], s[8:9]
	s_and_saveexec_b64 s[4:5], s[6:7]
	s_cbranch_execz .LBB116_2
; %bb.60:                               ;   in Loop: Header=BB116_3 Depth=1
	v_add_u32_e32 v30, s57, v30
	v_cmp_le_u32_e32 vcc, s33, v30
	s_andn2_b64 s[42:43], s[42:43], exec
	s_andn2_b64 s[40:41], s[40:41], exec
	;; [unrolled: 1-line block ×4, first 2 shown]
	s_orn2_b64 s[2:3], vcc, exec
	s_branch .LBB116_2
.LBB116_61:
	s_or_b64 exec, exec, s[26:27]
	s_xor_b64 s[6:7], s[34:35], -1
	s_xor_b64 s[8:9], s[30:31], -1
	s_xor_b64 s[0:1], s[28:29], -1
	s_mov_b64 s[2:3], 0
	s_and_saveexec_b64 s[4:5], s[0:1]
	s_xor_b64 s[0:1], exec, s[4:5]
	s_cbranch_execnz .LBB116_66
; %bb.62:
	s_andn2_saveexec_b64 s[0:1], s[0:1]
	s_cbranch_execnz .LBB116_74
.LBB116_63:
	s_or_b64 exec, exec, s[0:1]
	s_and_b64 exec, exec, s[2:3]
.LBB116_64:
	; divergent unreachable
.LBB116_65:
	s_endpgm
.LBB116_66:
	s_mov_b64 s[4:5], 0
	s_and_saveexec_b64 s[2:3], s[8:9]
	s_xor_b64 s[2:3], exec, s[2:3]
	s_cbranch_execz .LBB116_72
; %bb.67:
	s_and_saveexec_b64 s[8:9], s[6:7]
	s_xor_b64 s[6:7], exec, s[8:9]
	s_cbranch_execz .LBB116_70
; %bb.68:
	s_and_saveexec_b64 s[8:9], s[18:19]
	s_xor_b64 s[8:9], exec, s[8:9]
	s_cbranch_execnz .LBB116_77
.LBB116_69:
	s_or_b64 exec, exec, s[8:9]
	s_and_b64 s[4:5], s[4:5], exec
.LBB116_70:
	s_andn2_saveexec_b64 s[6:7], s[6:7]
	s_cbranch_execnz .LBB116_76
.LBB116_71:
	s_or_b64 exec, exec, s[6:7]
	s_and_b64 s[4:5], s[4:5], exec
.LBB116_72:
	s_andn2_saveexec_b64 s[2:3], s[2:3]
	s_cbranch_execnz .LBB116_75
.LBB116_73:
	s_or_b64 exec, exec, s[2:3]
	s_and_b64 s[2:3], s[4:5], exec
	s_andn2_saveexec_b64 s[0:1], s[0:1]
	s_cbranch_execz .LBB116_63
.LBB116_74:
	s_or_b64 s[2:3], s[2:3], exec
	s_trap 2
	s_or_b64 exec, exec, s[0:1]
	s_and_b64 exec, exec, s[2:3]
	s_cbranch_execnz .LBB116_64
	s_branch .LBB116_65
.LBB116_75:
	s_or_b64 s[4:5], s[4:5], exec
	s_trap 2
	s_branch .LBB116_73
.LBB116_76:
	s_trap 2
	s_or_b64 s[4:5], s[4:5], exec
	s_branch .LBB116_71
.LBB116_77:
	s_mov_b64 s[4:5], exec
	s_trap 2
	s_branch .LBB116_69
	.section	.rodata,"a",@progbits
	.p2align	6, 0x0
	.amdhsa_kernel _ZN2at4cuda12_GLOBAL__N_121kernelPointwiseApply2IZNS_6native9templates4cuda28bernoulli_tensor_cuda_kernelIbfEEvRKNS_10TensorBaseES9_NS_15PhiloxCudaStateEEUliRbSB_SB_SB_RKfSD_SD_SD_E_bSC_jLin1ELi1ELi4ELi512ELi2EEEvNS0_6detail10TensorInfoIT0_T2_EENSG_IT1_SI_EESI_T_
		.amdhsa_group_segment_fixed_size 0
		.amdhsa_private_segment_fixed_size 0
		.amdhsa_kernarg_size 728
		.amdhsa_user_sgpr_count 6
		.amdhsa_user_sgpr_private_segment_buffer 1
		.amdhsa_user_sgpr_dispatch_ptr 0
		.amdhsa_user_sgpr_queue_ptr 0
		.amdhsa_user_sgpr_kernarg_segment_ptr 1
		.amdhsa_user_sgpr_dispatch_id 0
		.amdhsa_user_sgpr_flat_scratch_init 0
		.amdhsa_user_sgpr_kernarg_preload_length 0
		.amdhsa_user_sgpr_kernarg_preload_offset 0
		.amdhsa_user_sgpr_private_segment_size 0
		.amdhsa_uses_dynamic_stack 0
		.amdhsa_system_sgpr_private_segment_wavefront_offset 0
		.amdhsa_system_sgpr_workgroup_id_x 1
		.amdhsa_system_sgpr_workgroup_id_y 0
		.amdhsa_system_sgpr_workgroup_id_z 0
		.amdhsa_system_sgpr_workgroup_info 0
		.amdhsa_system_vgpr_workitem_id 0
		.amdhsa_next_free_vgpr 51
		.amdhsa_next_free_sgpr 61
		.amdhsa_accum_offset 52
		.amdhsa_reserve_vcc 1
		.amdhsa_reserve_flat_scratch 0
		.amdhsa_float_round_mode_32 0
		.amdhsa_float_round_mode_16_64 0
		.amdhsa_float_denorm_mode_32 3
		.amdhsa_float_denorm_mode_16_64 3
		.amdhsa_dx10_clamp 1
		.amdhsa_ieee_mode 1
		.amdhsa_fp16_overflow 0
		.amdhsa_tg_split 0
		.amdhsa_exception_fp_ieee_invalid_op 0
		.amdhsa_exception_fp_denorm_src 0
		.amdhsa_exception_fp_ieee_div_zero 0
		.amdhsa_exception_fp_ieee_overflow 0
		.amdhsa_exception_fp_ieee_underflow 0
		.amdhsa_exception_fp_ieee_inexact 0
		.amdhsa_exception_int_div_zero 0
	.end_amdhsa_kernel
	.section	.text._ZN2at4cuda12_GLOBAL__N_121kernelPointwiseApply2IZNS_6native9templates4cuda28bernoulli_tensor_cuda_kernelIbfEEvRKNS_10TensorBaseES9_NS_15PhiloxCudaStateEEUliRbSB_SB_SB_RKfSD_SD_SD_E_bSC_jLin1ELi1ELi4ELi512ELi2EEEvNS0_6detail10TensorInfoIT0_T2_EENSG_IT1_SI_EESI_T_,"axG",@progbits,_ZN2at4cuda12_GLOBAL__N_121kernelPointwiseApply2IZNS_6native9templates4cuda28bernoulli_tensor_cuda_kernelIbfEEvRKNS_10TensorBaseES9_NS_15PhiloxCudaStateEEUliRbSB_SB_SB_RKfSD_SD_SD_E_bSC_jLin1ELi1ELi4ELi512ELi2EEEvNS0_6detail10TensorInfoIT0_T2_EENSG_IT1_SI_EESI_T_,comdat
.Lfunc_end116:
	.size	_ZN2at4cuda12_GLOBAL__N_121kernelPointwiseApply2IZNS_6native9templates4cuda28bernoulli_tensor_cuda_kernelIbfEEvRKNS_10TensorBaseES9_NS_15PhiloxCudaStateEEUliRbSB_SB_SB_RKfSD_SD_SD_E_bSC_jLin1ELi1ELi4ELi512ELi2EEEvNS0_6detail10TensorInfoIT0_T2_EENSG_IT1_SI_EESI_T_, .Lfunc_end116-_ZN2at4cuda12_GLOBAL__N_121kernelPointwiseApply2IZNS_6native9templates4cuda28bernoulli_tensor_cuda_kernelIbfEEvRKNS_10TensorBaseES9_NS_15PhiloxCudaStateEEUliRbSB_SB_SB_RKfSD_SD_SD_E_bSC_jLin1ELi1ELi4ELi512ELi2EEEvNS0_6detail10TensorInfoIT0_T2_EENSG_IT1_SI_EESI_T_
                                        ; -- End function
	.section	.AMDGPU.csdata,"",@progbits
; Kernel info:
; codeLenInByte = 3460
; NumSgprs: 65
; NumVgprs: 51
; NumAgprs: 0
; TotalNumVgprs: 51
; ScratchSize: 0
; MemoryBound: 0
; FloatMode: 240
; IeeeMode: 1
; LDSByteSize: 0 bytes/workgroup (compile time only)
; SGPRBlocks: 8
; VGPRBlocks: 6
; NumSGPRsForWavesPerEU: 65
; NumVGPRsForWavesPerEU: 51
; AccumOffset: 52
; Occupancy: 8
; WaveLimiterHint : 1
; COMPUTE_PGM_RSRC2:SCRATCH_EN: 0
; COMPUTE_PGM_RSRC2:USER_SGPR: 6
; COMPUTE_PGM_RSRC2:TRAP_HANDLER: 0
; COMPUTE_PGM_RSRC2:TGID_X_EN: 1
; COMPUTE_PGM_RSRC2:TGID_Y_EN: 0
; COMPUTE_PGM_RSRC2:TGID_Z_EN: 0
; COMPUTE_PGM_RSRC2:TIDIG_COMP_CNT: 0
; COMPUTE_PGM_RSRC3_GFX90A:ACCUM_OFFSET: 12
; COMPUTE_PGM_RSRC3_GFX90A:TG_SPLIT: 0
	.section	.text._ZN2at4cuda12_GLOBAL__N_121kernelPointwiseApply2IZNS_6native9templates4cuda28bernoulli_tensor_cuda_kernelIbfEEvRKNS_10TensorBaseES9_NS_15PhiloxCudaStateEEUliRbSB_SB_SB_RKfSD_SD_SD_E_bSC_jLin1ELi2ELi4ELi512ELi2EEEvNS0_6detail10TensorInfoIT0_T2_EENSG_IT1_SI_EESI_T_,"axG",@progbits,_ZN2at4cuda12_GLOBAL__N_121kernelPointwiseApply2IZNS_6native9templates4cuda28bernoulli_tensor_cuda_kernelIbfEEvRKNS_10TensorBaseES9_NS_15PhiloxCudaStateEEUliRbSB_SB_SB_RKfSD_SD_SD_E_bSC_jLin1ELi2ELi4ELi512ELi2EEEvNS0_6detail10TensorInfoIT0_T2_EENSG_IT1_SI_EESI_T_,comdat
	.globl	_ZN2at4cuda12_GLOBAL__N_121kernelPointwiseApply2IZNS_6native9templates4cuda28bernoulli_tensor_cuda_kernelIbfEEvRKNS_10TensorBaseES9_NS_15PhiloxCudaStateEEUliRbSB_SB_SB_RKfSD_SD_SD_E_bSC_jLin1ELi2ELi4ELi512ELi2EEEvNS0_6detail10TensorInfoIT0_T2_EENSG_IT1_SI_EESI_T_ ; -- Begin function _ZN2at4cuda12_GLOBAL__N_121kernelPointwiseApply2IZNS_6native9templates4cuda28bernoulli_tensor_cuda_kernelIbfEEvRKNS_10TensorBaseES9_NS_15PhiloxCudaStateEEUliRbSB_SB_SB_RKfSD_SD_SD_E_bSC_jLin1ELi2ELi4ELi512ELi2EEEvNS0_6detail10TensorInfoIT0_T2_EENSG_IT1_SI_EESI_T_
	.p2align	8
	.type	_ZN2at4cuda12_GLOBAL__N_121kernelPointwiseApply2IZNS_6native9templates4cuda28bernoulli_tensor_cuda_kernelIbfEEvRKNS_10TensorBaseES9_NS_15PhiloxCudaStateEEUliRbSB_SB_SB_RKfSD_SD_SD_E_bSC_jLin1ELi2ELi4ELi512ELi2EEEvNS0_6detail10TensorInfoIT0_T2_EENSG_IT1_SI_EESI_T_,@function
_ZN2at4cuda12_GLOBAL__N_121kernelPointwiseApply2IZNS_6native9templates4cuda28bernoulli_tensor_cuda_kernelIbfEEvRKNS_10TensorBaseES9_NS_15PhiloxCudaStateEEUliRbSB_SB_SB_RKfSD_SD_SD_E_bSC_jLin1ELi2ELi4ELi512ELi2EEEvNS0_6detail10TensorInfoIT0_T2_EENSG_IT1_SI_EESI_T_: ; @_ZN2at4cuda12_GLOBAL__N_121kernelPointwiseApply2IZNS_6native9templates4cuda28bernoulli_tensor_cuda_kernelIbfEEvRKNS_10TensorBaseES9_NS_15PhiloxCudaStateEEUliRbSB_SB_SB_RKfSD_SD_SD_E_bSC_jLin1ELi2ELi4ELi512ELi2EEEvNS0_6detail10TensorInfoIT0_T2_EENSG_IT1_SI_EESI_T_
; %bb.0:
	s_load_dword s2, s[4:5], 0x1e4
	s_load_dword s33, s[4:5], 0x1b0
	s_add_u32 s0, s4, 0x1d8
	s_addc_u32 s1, s5, 0
	s_waitcnt lgkmcnt(0)
	s_and_b32 s2, s2, 0xffff
	s_mul_i32 s6, s6, s2
	v_add_u32_e32 v5, s6, v0
	v_lshlrev_b32_e32 v30, 2, v5
	v_cmp_gt_u32_e32 vcc, s33, v30
	s_and_saveexec_b64 s[6:7], vcc
	s_cbranch_execz .LBB117_73
; %bb.1:
	s_load_dword s56, s[4:5], 0xe4
	s_load_dwordx2 s[6:7], s[4:5], 0x144
	s_load_dword s3, s[0:1], 0x0
	s_load_dwordx2 s[12:13], s[4:5], 0xd8
	;; [unrolled: 2-line block ×3, first 2 shown]
	s_load_dwordx4 s[8:11], s[4:5], 0x1b8
	s_waitcnt lgkmcnt(0)
	v_cvt_f32_u32_e32 v0, s56
	s_mul_i32 s21, s3, s2
	s_load_dword s2, s[4:5], 0x1d0
	s_load_dword s57, s[4:5], 0x6c
	s_cmp_gt_i32 s20, 1
	v_rcp_iflag_f32_e32 v2, v0
	s_mov_b32 s58, 0xcd9e8d57
	s_cselect_b64 s[0:1], -1, 0
	s_waitcnt lgkmcnt(0)
	s_bitcmp1_b32 s2, 0
	v_mul_f32_e32 v2, 0x4f7ffffe, v2
	v_cvt_u32_f32_e32 v2, v2
	v_mad_u64_u32 v[0:1], s[2:3], v5, s58, 0
	s_cselect_b64 s[18:19], -1, 0
	s_sub_i32 s2, 0, s56
	s_mov_b32 s3, 0
	v_mov_b32_e32 v4, v1
	v_mul_lo_u32 v1, s2, v2
	s_add_i32 s2, s20, -1
	s_load_dwordx2 s[16:17], s[4:5], 0x0
	s_lshl_b32 s59, s21, 2
	s_add_i32 s60, s20, 1
	s_lshl_b64 s[2:3], s[2:3], 2
	s_add_u32 s2, s2, s4
	v_mul_hi_u32 v1, v2, v1
	s_addc_u32 s3, s3, s5
	v_add_u32_e32 v1, v2, v1
	s_add_u32 s20, s2, 8
	v_cndmask_b32_e64 v2, 0, 1, s[0:1]
	v_mov_b32_e32 v3, 0
	s_addc_u32 s21, s3, 0
	s_mov_b64 s[22:23], 0
	s_mov_b32 s61, 0xd2511f53
	v_cmp_ne_u32_e64 s[0:1], 1, v2
	s_mov_b32 s62, 0xf1bbcdc8
                                        ; implicit-def: $sgpr24_sgpr25
                                        ; implicit-def: $sgpr26_sgpr27
                                        ; implicit-def: $sgpr28_sgpr29
                                        ; implicit-def: $sgpr4_sgpr5
                                        ; implicit-def: $sgpr30_sgpr31
                                        ; implicit-def: $sgpr34_sgpr35
                                        ; implicit-def: $sgpr36_sgpr37
                                        ; implicit-def: $sgpr38_sgpr39
	s_branch .LBB117_3
.LBB117_2:                              ;   in Loop: Header=BB117_3 Depth=1
	s_or_b64 exec, exec, s[40:41]
	s_and_b64 s[2:3], exec, s[2:3]
	s_or_b64 s[22:23], s[2:3], s[22:23]
	s_andn2_b64 s[2:3], s[4:5], exec
	s_and_b64 s[4:5], s[38:39], exec
	s_or_b64 s[4:5], s[2:3], s[4:5]
	s_andn2_b64 s[2:3], s[28:29], exec
	s_and_b64 s[28:29], s[36:37], exec
	;; [unrolled: 3-line block ×4, first 2 shown]
	s_or_b64 s[24:25], s[2:3], s[24:25]
	s_andn2_b64 exec, exec, s[22:23]
	s_cbranch_execz .LBB117_69
.LBB117_3:                              ; =>This Loop Header: Depth=1
                                        ;     Child Loop BB117_6 Depth 2
                                        ;     Child Loop BB117_13 Depth 2
	;; [unrolled: 1-line block ×4, first 2 shown]
	v_sub_u32_e32 v31, s33, v30
	v_cmp_lt_i32_e64 s[2:3], 0, v31
	v_mov_b32_e32 v6, 0
	s_and_saveexec_b64 s[40:41], s[2:3]
	s_cbranch_execz .LBB117_8
; %bb.4:                                ;   in Loop: Header=BB117_3 Depth=1
	s_and_b64 vcc, exec, s[0:1]
	v_mov_b32_e32 v6, 0
	s_waitcnt vmcnt(3)
	v_mov_b32_e32 v2, v30
	s_cbranch_vccnz .LBB117_7
; %bb.5:                                ;   in Loop: Header=BB117_3 Depth=1
	v_mov_b32_e32 v6, 0
	s_mov_b64 s[42:43], s[20:21]
	s_mov_b32 s44, s60
	v_mov_b32_e32 v2, v30
.LBB117_6:                              ;   Parent Loop BB117_3 Depth=1
                                        ; =>  This Inner Loop Header: Depth=2
	s_load_dword s45, s[42:43], 0x0
	s_load_dword s46, s[42:43], 0x64
	s_waitcnt vmcnt(2)
	v_mov_b32_e32 v7, v2
	s_add_i32 s44, s44, -1
	s_waitcnt lgkmcnt(0)
	v_cvt_f32_u32_e32 v2, s45
	s_sub_i32 s47, 0, s45
	s_add_u32 s42, s42, -4
	s_addc_u32 s43, s43, -1
	v_rcp_iflag_f32_e32 v2, v2
	s_cmp_gt_u32 s44, 2
	v_mul_f32_e32 v2, 0x4f7ffffe, v2
	v_cvt_u32_f32_e32 v2, v2
	v_mul_lo_u32 v8, s47, v2
	v_mul_hi_u32 v8, v2, v8
	v_add_u32_e32 v2, v2, v8
	v_mul_hi_u32 v2, v7, v2
	v_mul_lo_u32 v8, v2, s45
	v_sub_u32_e32 v8, v7, v8
	s_waitcnt vmcnt(1)
	v_add_u32_e32 v9, 1, v2
	v_cmp_le_u32_e32 vcc, s45, v8
	v_cndmask_b32_e32 v2, v2, v9, vcc
	v_subrev_u32_e32 v9, s45, v8
	v_cndmask_b32_e32 v8, v8, v9, vcc
	v_add_u32_e32 v9, 1, v2
	v_cmp_le_u32_e32 vcc, s45, v8
	v_cndmask_b32_e32 v2, v2, v9, vcc
	v_mul_lo_u32 v8, v2, s45
	v_sub_u32_e32 v7, v7, v8
	v_mad_u64_u32 v[6:7], s[46:47], s46, v7, v[6:7]
	s_cbranch_scc1 .LBB117_6
.LBB117_7:                              ;   in Loop: Header=BB117_3 Depth=1
	s_waitcnt vmcnt(2)
	v_mad_u64_u32 v[6:7], s[42:43], s57, v2, v[6:7]
.LBB117_8:                              ;   in Loop: Header=BB117_3 Depth=1
	s_or_b64 exec, exec, s[40:41]
	v_mov_b32_e32 v8, 0
	s_waitcnt vmcnt(3)
	v_mov_b32_e32 v2, 0
	s_and_saveexec_b64 s[40:41], s[2:3]
	s_cbranch_execz .LBB117_10
; %bb.9:                                ;   in Loop: Header=BB117_3 Depth=1
	v_mul_hi_u32 v2, v30, v1
	s_waitcnt vmcnt(2)
	v_mul_lo_u32 v7, v2, s56
	v_sub_u32_e32 v7, v30, v7
	s_waitcnt vmcnt(1)
	v_add_u32_e32 v9, 1, v2
	v_cmp_le_u32_e32 vcc, s56, v7
	v_cndmask_b32_e32 v2, v2, v9, vcc
	v_subrev_u32_e32 v9, s56, v7
	v_cndmask_b32_e32 v7, v7, v9, vcc
	v_add_u32_e32 v9, 1, v2
	v_cmp_le_u32_e32 vcc, s56, v7
	v_cndmask_b32_e32 v7, v2, v9, vcc
	v_mul_lo_u32 v2, v7, s56
	v_sub_u32_e32 v2, v30, v2
	v_mul_lo_u32 v2, v2, s7
	v_mad_u64_u32 v[10:11], s[2:3], v7, s6, v[2:3]
	v_mov_b32_e32 v2, v10
.LBB117_10:                             ;   in Loop: Header=BB117_3 Depth=1
	s_or_b64 exec, exec, s[40:41]
	s_waitcnt vmcnt(2)
	v_or_b32_e32 v7, 1, v30
	v_cmp_lt_i32_e64 s[2:3], 1, v31
	s_and_saveexec_b64 s[40:41], s[2:3]
	s_cbranch_execz .LBB117_15
; %bb.11:                               ;   in Loop: Header=BB117_3 Depth=1
	s_and_b64 vcc, exec, s[0:1]
	v_mov_b32_e32 v8, 0
	v_mov_b32_e32 v10, v7
	s_cbranch_vccnz .LBB117_14
; %bb.12:                               ;   in Loop: Header=BB117_3 Depth=1
	v_mov_b32_e32 v8, 0
	s_mov_b64 s[42:43], s[20:21]
	s_mov_b32 s44, s60
	v_mov_b32_e32 v10, v7
.LBB117_13:                             ;   Parent Loop BB117_3 Depth=1
                                        ; =>  This Inner Loop Header: Depth=2
	s_load_dword s45, s[42:43], 0x0
	s_load_dword s46, s[42:43], 0x64
	s_waitcnt vmcnt(1)
	v_mov_b32_e32 v9, v10
	s_add_i32 s44, s44, -1
	s_waitcnt lgkmcnt(0)
	v_cvt_f32_u32_e32 v10, s45
	s_sub_i32 s47, 0, s45
	s_add_u32 s42, s42, -4
	s_addc_u32 s43, s43, -1
	v_rcp_iflag_f32_e32 v10, v10
	s_cmp_gt_u32 s44, 2
	v_mul_f32_e32 v10, 0x4f7ffffe, v10
	v_cvt_u32_f32_e32 v10, v10
	v_mul_lo_u32 v11, s47, v10
	v_mul_hi_u32 v11, v10, v11
	v_add_u32_e32 v10, v10, v11
	v_mul_hi_u32 v10, v9, v10
	v_mul_lo_u32 v11, v10, s45
	v_sub_u32_e32 v11, v9, v11
	v_add_u32_e32 v12, 1, v10
	v_cmp_le_u32_e32 vcc, s45, v11
	v_cndmask_b32_e32 v10, v10, v12, vcc
	v_subrev_u32_e32 v12, s45, v11
	v_cndmask_b32_e32 v11, v11, v12, vcc
	v_add_u32_e32 v12, 1, v10
	v_cmp_le_u32_e32 vcc, s45, v11
	v_cndmask_b32_e32 v10, v10, v12, vcc
	v_mul_lo_u32 v11, v10, s45
	v_sub_u32_e32 v9, v9, v11
	v_mad_u64_u32 v[8:9], s[46:47], s46, v9, v[8:9]
	s_cbranch_scc1 .LBB117_13
.LBB117_14:                             ;   in Loop: Header=BB117_3 Depth=1
	s_waitcnt vmcnt(1)
	v_mad_u64_u32 v[8:9], s[42:43], s57, v10, v[8:9]
.LBB117_15:                             ;   in Loop: Header=BB117_3 Depth=1
	s_or_b64 exec, exec, s[40:41]
	v_mov_b32_e32 v12, 0
	s_and_saveexec_b64 s[40:41], s[2:3]
	s_cbranch_execz .LBB117_17
; %bb.16:                               ;   in Loop: Header=BB117_3 Depth=1
	s_waitcnt vmcnt(1)
	v_mul_hi_u32 v9, v7, v1
	v_mul_lo_u32 v10, v9, s56
	v_sub_u32_e32 v10, v7, v10
	v_add_u32_e32 v11, 1, v9
	v_cmp_le_u32_e32 vcc, s56, v10
	v_cndmask_b32_e32 v9, v9, v11, vcc
	v_subrev_u32_e32 v11, s56, v10
	v_cndmask_b32_e32 v10, v10, v11, vcc
	v_add_u32_e32 v11, 1, v9
	v_cmp_le_u32_e32 vcc, s56, v10
	v_cndmask_b32_e32 v9, v9, v11, vcc
	v_mul_lo_u32 v10, v9, s56
	v_sub_u32_e32 v7, v7, v10
	v_mul_lo_u32 v10, v7, s7
	v_mad_u64_u32 v[12:13], s[2:3], v9, s6, v[10:11]
.LBB117_17:                             ;   in Loop: Header=BB117_3 Depth=1
	s_or_b64 exec, exec, s[40:41]
	v_or_b32_e32 v7, 2, v30
	v_cmp_lt_i32_e64 s[2:3], 2, v31
	v_pk_mov_b32 v[10:11], 0, 0
	s_and_saveexec_b64 s[40:41], s[2:3]
	s_cbranch_execz .LBB117_22
; %bb.18:                               ;   in Loop: Header=BB117_3 Depth=1
	s_and_b64 vcc, exec, s[0:1]
	v_mov_b32_e32 v10, 0
	s_waitcnt vmcnt(1)
	v_mov_b32_e32 v9, v7
	s_cbranch_vccnz .LBB117_21
; %bb.19:                               ;   in Loop: Header=BB117_3 Depth=1
	v_mov_b32_e32 v10, 0
	s_mov_b64 s[42:43], s[20:21]
	s_mov_b32 s44, s60
	v_mov_b32_e32 v9, v7
.LBB117_20:                             ;   Parent Loop BB117_3 Depth=1
                                        ; =>  This Inner Loop Header: Depth=2
	s_load_dword s45, s[42:43], 0x0
	s_load_dword s46, s[42:43], 0x64
	v_mov_b32_e32 v11, v9
	s_add_i32 s44, s44, -1
	s_waitcnt lgkmcnt(0)
	v_cvt_f32_u32_e32 v9, s45
	s_sub_i32 s47, 0, s45
	s_add_u32 s42, s42, -4
	s_addc_u32 s43, s43, -1
	v_rcp_iflag_f32_e32 v9, v9
	s_cmp_gt_u32 s44, 2
	v_mul_f32_e32 v9, 0x4f7ffffe, v9
	v_cvt_u32_f32_e32 v9, v9
	v_mul_lo_u32 v13, s47, v9
	v_mul_hi_u32 v13, v9, v13
	v_add_u32_e32 v9, v9, v13
	v_mul_hi_u32 v9, v11, v9
	v_mul_lo_u32 v13, v9, s45
	v_sub_u32_e32 v13, v11, v13
	v_add_u32_e32 v14, 1, v9
	v_cmp_le_u32_e32 vcc, s45, v13
	v_cndmask_b32_e32 v9, v9, v14, vcc
	v_subrev_u32_e32 v14, s45, v13
	v_cndmask_b32_e32 v13, v13, v14, vcc
	v_add_u32_e32 v14, 1, v9
	v_cmp_le_u32_e32 vcc, s45, v13
	v_cndmask_b32_e32 v9, v9, v14, vcc
	v_mul_lo_u32 v13, v9, s45
	v_sub_u32_e32 v11, v11, v13
	v_mad_u64_u32 v[10:11], s[46:47], s46, v11, v[10:11]
	s_cbranch_scc1 .LBB117_20
.LBB117_21:                             ;   in Loop: Header=BB117_3 Depth=1
	v_mad_u64_u32 v[10:11], s[42:43], s57, v9, v[10:11]
	v_mov_b32_e32 v11, v3
.LBB117_22:                             ;   in Loop: Header=BB117_3 Depth=1
	s_or_b64 exec, exec, s[40:41]
	v_pk_mov_b32 v[14:15], 0, 0
	v_pk_mov_b32 v[16:17], v[14:15], v[14:15] op_sel:[0,1]
	s_and_saveexec_b64 s[40:41], s[2:3]
	s_cbranch_execz .LBB117_24
; %bb.23:                               ;   in Loop: Header=BB117_3 Depth=1
	s_waitcnt vmcnt(1)
	v_mul_hi_u32 v9, v7, v1
	v_mul_lo_u32 v13, v9, s56
	v_sub_u32_e32 v13, v7, v13
	v_add_u32_e32 v16, 1, v9
	v_cmp_le_u32_e32 vcc, s56, v13
	v_cndmask_b32_e32 v9, v9, v16, vcc
	v_subrev_u32_e32 v16, s56, v13
	v_cndmask_b32_e32 v13, v13, v16, vcc
	v_add_u32_e32 v16, 1, v9
	v_cmp_le_u32_e32 vcc, s56, v13
	v_cndmask_b32_e32 v9, v9, v16, vcc
	v_mul_lo_u32 v13, v9, s56
	v_sub_u32_e32 v7, v7, v13
	v_mul_lo_u32 v16, v7, s7
	v_mad_u64_u32 v[16:17], s[2:3], v9, s6, v[16:17]
	v_mov_b32_e32 v17, v3
.LBB117_24:                             ;   in Loop: Header=BB117_3 Depth=1
	s_or_b64 exec, exec, s[40:41]
	v_or_b32_e32 v7, 3, v30
	v_cmp_lt_i32_e64 s[2:3], 3, v31
	s_and_saveexec_b64 s[40:41], s[2:3]
	s_cbranch_execz .LBB117_29
; %bb.25:                               ;   in Loop: Header=BB117_3 Depth=1
	s_and_b64 vcc, exec, s[0:1]
	v_mov_b32_e32 v14, 0
	s_waitcnt vmcnt(1)
	v_mov_b32_e32 v9, v7
	s_cbranch_vccnz .LBB117_28
; %bb.26:                               ;   in Loop: Header=BB117_3 Depth=1
	v_mov_b32_e32 v14, 0
	s_mov_b64 s[42:43], s[20:21]
	s_mov_b32 s44, s60
	v_mov_b32_e32 v9, v7
.LBB117_27:                             ;   Parent Loop BB117_3 Depth=1
                                        ; =>  This Inner Loop Header: Depth=2
	s_load_dword s45, s[42:43], 0x0
	s_load_dword s46, s[42:43], 0x64
	v_mov_b32_e32 v13, v9
	s_add_i32 s44, s44, -1
	s_waitcnt lgkmcnt(0)
	v_cvt_f32_u32_e32 v9, s45
	s_sub_i32 s47, 0, s45
	s_add_u32 s42, s42, -4
	s_addc_u32 s43, s43, -1
	v_rcp_iflag_f32_e32 v9, v9
	s_cmp_gt_u32 s44, 2
	v_mul_f32_e32 v9, 0x4f7ffffe, v9
	v_cvt_u32_f32_e32 v9, v9
	v_mul_lo_u32 v15, s47, v9
	v_mul_hi_u32 v15, v9, v15
	v_add_u32_e32 v9, v9, v15
	v_mul_hi_u32 v9, v13, v9
	v_mul_lo_u32 v15, v9, s45
	v_sub_u32_e32 v15, v13, v15
	v_add_u32_e32 v18, 1, v9
	v_cmp_le_u32_e32 vcc, s45, v15
	v_cndmask_b32_e32 v9, v9, v18, vcc
	v_subrev_u32_e32 v18, s45, v15
	v_cndmask_b32_e32 v15, v15, v18, vcc
	v_add_u32_e32 v18, 1, v9
	v_cmp_le_u32_e32 vcc, s45, v15
	v_cndmask_b32_e32 v9, v9, v18, vcc
	v_mul_lo_u32 v15, v9, s45
	v_sub_u32_e32 v13, v13, v15
	v_mad_u64_u32 v[14:15], s[46:47], s46, v13, v[14:15]
	s_cbranch_scc1 .LBB117_27
.LBB117_28:                             ;   in Loop: Header=BB117_3 Depth=1
	v_mad_u64_u32 v[14:15], s[42:43], s57, v9, v[14:15]
	v_mov_b32_e32 v15, v3
.LBB117_29:                             ;   in Loop: Header=BB117_3 Depth=1
	s_or_b64 exec, exec, s[40:41]
	v_pk_mov_b32 v[18:19], 0, 0
	s_and_saveexec_b64 s[40:41], s[2:3]
	s_cbranch_execz .LBB117_31
; %bb.30:                               ;   in Loop: Header=BB117_3 Depth=1
	s_waitcnt vmcnt(1)
	v_mul_hi_u32 v9, v7, v1
	v_mul_lo_u32 v13, v9, s56
	v_sub_u32_e32 v13, v7, v13
	v_add_u32_e32 v18, 1, v9
	v_cmp_le_u32_e32 vcc, s56, v13
	v_cndmask_b32_e32 v9, v9, v18, vcc
	v_subrev_u32_e32 v18, s56, v13
	v_cndmask_b32_e32 v13, v13, v18, vcc
	v_add_u32_e32 v18, 1, v9
	v_cmp_le_u32_e32 vcc, s56, v13
	v_cndmask_b32_e32 v9, v9, v18, vcc
	v_mul_lo_u32 v13, v9, s56
	v_sub_u32_e32 v7, v7, v13
	v_mul_lo_u32 v18, v7, s7
	v_mad_u64_u32 v[18:19], s[2:3], v9, s6, v[18:19]
	v_mov_b32_e32 v19, v3
.LBB117_31:                             ;   in Loop: Header=BB117_3 Depth=1
	s_or_b64 exec, exec, s[40:41]
	v_lshlrev_b64 v[20:21], 2, v[2:3]
	v_mov_b32_e32 v2, s13
	v_add_co_u32_e32 v20, vcc, s12, v20
	v_mov_b32_e32 v13, v3
	v_addc_co_u32_e32 v21, vcc, v2, v21, vcc
	v_lshlrev_b64 v[12:13], 2, v[12:13]
	v_add_co_u32_e32 v12, vcc, s12, v12
	v_addc_co_u32_e32 v13, vcc, v2, v13, vcc
	v_lshlrev_b64 v[16:17], 2, v[16:17]
	v_add_co_u32_e32 v16, vcc, s12, v16
	;; [unrolled: 3-line block ×3, first 2 shown]
	v_addc_co_u32_e32 v19, vcc, v2, v19, vcc
	global_load_dword v2, v[20:21], off
	global_load_dword v7, v[12:13], off
	;; [unrolled: 1-line block ×4, first 2 shown]
	s_andn2_b64 vcc, exec, s[18:19]
	v_pk_mov_b32 v[12:13], s[10:11], s[10:11] op_sel:[0,1]
	v_pk_mov_b32 v[16:17], s[8:9], s[8:9] op_sel:[0,1]
	s_cbranch_vccnz .LBB117_33
; %bb.32:                               ;   in Loop: Header=BB117_3 Depth=1
	v_pk_mov_b32 v[12:13], s[10:11], s[10:11] op_sel:[0,1]
	flat_load_dwordx2 v[12:13], v[12:13]
	v_pk_mov_b32 v[16:17], s[8:9], s[8:9] op_sel:[0,1]
	flat_load_dwordx2 v[16:17], v[16:17]
	v_mov_b32_e32 v18, s15
	s_waitcnt vmcnt(0) lgkmcnt(0)
	v_add_co_u32_e32 v12, vcc, s14, v12
	v_addc_co_u32_e32 v13, vcc, v13, v18, vcc
.LBB117_33:                             ;   in Loop: Header=BB117_3 Depth=1
	v_alignbit_b32 v26, v13, v12, 2
	v_lshrrev_b32_e32 v27, 2, v13
	v_xor_b32_e32 v18, v4, v16
	v_and_b32_e32 v33, 3, v12
	v_mad_u64_u32 v[12:13], s[2:3], v26, s61, 0
	v_xor_b32_e32 v18, v18, v27
	v_xor_b32_e32 v13, v13, v17
	v_add_u32_e32 v38, 0xbb67ae85, v17
	v_mad_u64_u32 v[18:19], s[2:3], v18, s61, 0
	v_mad_u64_u32 v[20:21], s[2:3], v13, s58, 0
	v_xor_b32_e32 v19, v38, v19
	v_add_u32_e32 v37, 0x9e3779b9, v16
	v_xor_b32_e32 v13, v0, v21
	v_xor_b32_e32 v19, v19, v12
	v_xor_b32_e32 v13, v13, v37
	v_add_u32_e32 v39, 0x3c6ef372, v16
	v_mad_u64_u32 v[22:23], s[2:3], v19, s58, 0
	v_add_u32_e32 v40, 0x76cf5d0a, v17
	v_mad_u64_u32 v[12:13], s[2:3], v13, s61, 0
	v_xor_b32_e32 v19, v39, v23
	v_xor_b32_e32 v19, v19, v20
	v_xor_b32_e32 v13, v40, v13
	v_xor_b32_e32 v13, v13, v18
	v_add_u32_e32 v42, 0x32370b8f, v17
	v_mad_u64_u32 v[18:19], s[2:3], v19, s61, 0
	v_add_u32_e32 v41, 0xdaa66d2b, v16
	v_mad_u64_u32 v[20:21], s[2:3], v13, s58, 0
	v_xor_b32_e32 v19, v42, v19
	;; [unrolled: 8-line block ×5, first 2 shown]
	v_xor_b32_e32 v19, v19, v20
	v_xor_b32_e32 v13, v48, v13
	;; [unrolled: 1-line block ×3, first 2 shown]
	v_add_u32_e32 v50, 0x1fd5c5a3, v17
	v_mad_u64_u32 v[18:19], s[2:3], v19, s61, 0
	v_xor_b32_e32 v19, v50, v19
	v_xor_b32_e32 v12, v19, v12
	v_add_u32_e32 v49, 0x5384540f, v16
	v_mad_u64_u32 v[24:25], s[2:3], v13, s58, 0
	v_add_co_u32_e32 v35, vcc, s62, v16
	v_mad_u64_u32 v[20:21], s[2:3], v12, s58, 0
	v_xor_b32_e32 v13, v49, v25
	v_xor_b32_e32 v12, v35, v21
	;; [unrolled: 1-line block ×4, first 2 shown]
	v_mad_u64_u32 v[22:23], s[2:3], v13, s61, 0
	v_mad_u64_u32 v[12:13], s[2:3], v12, s61, 0
	v_add_u32_e32 v36, 0x96a522ad, v17
	v_xor_b32_e32 v13, v13, v22
	v_xor_b32_e32 v34, v36, v13
	v_add_co_u32_e32 v13, vcc, 1, v26
	v_cndmask_b32_e64 v22, 0, 1, vcc
	v_addc_co_u32_e32 v28, vcc, 0, v27, vcc
	v_cmp_eq_u32_e32 vcc, 0, v28
	v_cndmask_b32_e32 v22, 0, v22, vcc
	v_add_u32_e32 v26, v22, v5
	v_cmp_eq_u32_e32 vcc, 0, v26
	v_mad_u64_u32 v[24:25], s[2:3], v13, s61, 0
	v_mad_u64_u32 v[26:27], s[2:3], v26, s58, 0
	v_add_u32_e32 v21, 0x8ff34781, v16
	v_cndmask_b32_e32 v22, 0, v22, vcc
	v_xor_b32_e32 v13, v27, v16
	v_xor_b32_e32 v16, v25, v17
	;; [unrolled: 1-line block ×4, first 2 shown]
	v_mad_u64_u32 v[28:29], s[2:3], v22, s58, 0
	v_add_u32_e32 v19, 0xdb3d7428, v17
	v_mad_u64_u32 v[16:17], s[2:3], v13, s61, 0
	v_xor_b32_e32 v13, v37, v29
	v_xor_b32_e32 v13, v13, v26
	v_xor_b32_e32 v17, v38, v17
	v_xor_b32_e32 v17, v17, v24
	v_mad_u64_u32 v[24:25], s[2:3], v13, s61, 0
	v_mad_u64_u32 v[26:27], s[2:3], v17, s58, 0
	v_xor_b32_e32 v17, v40, v25
	v_xor_b32_e32 v13, v39, v27
	v_xor_b32_e32 v22, v17, v16
	v_xor_b32_e32 v13, v13, v28
	v_mad_u64_u32 v[28:29], s[2:3], v22, s58, 0
	;; [unrolled: 6-line block ×7, first 2 shown]
	v_xor_b32_e32 v13, v19, v27
	v_xor_b32_e32 v13, v13, v16
	v_mad_u64_u32 v[28:29], s[2:3], v17, s58, 0
	v_mad_u64_u32 v[16:17], s[2:3], v13, s58, 0
	v_xor_b32_e32 v13, v17, v28
	v_xor_b32_e32 v13, v21, v13
	v_cmp_lt_i32_e32 vcc, 1, v33
                                        ; implicit-def: $vgpr25
	s_and_saveexec_b64 s[2:3], vcc
	s_xor_b64 s[2:3], exec, s[2:3]
	s_cbranch_execz .LBB117_39
; %bb.34:                               ;   in Loop: Header=BB117_3 Depth=1
	v_cmp_lt_i32_e32 vcc, 2, v33
                                        ; implicit-def: $vgpr25
	s_and_saveexec_b64 s[40:41], vcc
	s_xor_b64 s[40:41], exec, s[40:41]
; %bb.35:                               ;   in Loop: Header=BB117_3 Depth=1
	v_xor_b32_e32 v17, v35, v29
	v_xor_b32_e32 v17, v17, v24
	v_mul_hi_u32 v17, v17, s61
	v_xor_b32_e32 v17, v17, v26
	v_xor_b32_e32 v25, v36, v17
                                        ; implicit-def: $vgpr34
; %bb.36:                               ;   in Loop: Header=BB117_3 Depth=1
	s_andn2_saveexec_b64 s[40:41], s[40:41]
; %bb.37:                               ;   in Loop: Header=BB117_3 Depth=1
	v_mov_b32_e32 v25, v16
	v_mov_b32_e32 v16, v13
	;; [unrolled: 1-line block ×4, first 2 shown]
; %bb.38:                               ;   in Loop: Header=BB117_3 Depth=1
	s_or_b64 exec, exec, s[40:41]
                                        ; implicit-def: $vgpr18_vgpr19
                                        ; implicit-def: $vgpr20_vgpr21
                                        ; implicit-def: $vgpr33
                                        ; implicit-def: $vgpr34
                                        ; implicit-def: $vgpr22_vgpr23
                                        ; implicit-def: $vgpr19
                                        ; implicit-def: $vgpr21
.LBB117_39:                             ;   in Loop: Header=BB117_3 Depth=1
	s_andn2_saveexec_b64 s[2:3], s[2:3]
	s_cbranch_execz .LBB117_43
; %bb.40:                               ;   in Loop: Header=BB117_3 Depth=1
	v_xor_b32_e32 v16, v19, v23
	v_xor_b32_e32 v16, v16, v18
	v_mad_u64_u32 v[18:19], s[40:41], v16, s58, 0
	v_xor_b32_e32 v16, v19, v20
	v_xor_b32_e32 v17, v21, v16
	v_cmp_eq_u32_e32 vcc, 1, v33
	v_mov_b32_e32 v25, v12
	v_mov_b32_e32 v16, v34
	;; [unrolled: 1-line block ×3, first 2 shown]
	s_and_saveexec_b64 s[40:41], vcc
; %bb.41:                               ;   in Loop: Header=BB117_3 Depth=1
	v_mov_b32_e32 v25, v13
	v_mov_b32_e32 v16, v12
	;; [unrolled: 1-line block ×4, first 2 shown]
; %bb.42:                               ;   in Loop: Header=BB117_3 Depth=1
	s_or_b64 exec, exec, s[40:41]
	v_mov_b32_e32 v12, v17
	v_mov_b32_e32 v13, v19
.LBB117_43:                             ;   in Loop: Header=BB117_3 Depth=1
	s_or_b64 exec, exec, s[2:3]
	v_min_i32_e32 v17, 4, v31
	v_cmp_lt_i32_e32 vcc, 2, v17
	s_mov_b64 s[40:41], 0
	s_mov_b64 s[52:53], 0
	;; [unrolled: 1-line block ×3, first 2 shown]
                                        ; implicit-def: $sgpr44_sgpr45
                                        ; implicit-def: $sgpr46_sgpr47
                                        ; implicit-def: $sgpr48_sgpr49
	s_and_saveexec_b64 s[2:3], vcc
	s_xor_b64 s[50:51], exec, s[2:3]
	s_cbranch_execz .LBB117_55
; %bb.44:                               ;   in Loop: Header=BB117_3 Depth=1
	v_cmp_lt_i32_e32 vcc, 3, v17
	s_mov_b64 s[2:3], -1
	s_mov_b64 s[54:55], 0
                                        ; implicit-def: $sgpr42_sgpr43
                                        ; implicit-def: $sgpr44_sgpr45
	s_and_saveexec_b64 s[46:47], vcc
	s_cbranch_execz .LBB117_50
; %bb.45:                               ;   in Loop: Header=BB117_3 Depth=1
	v_cmp_eq_u32_e32 vcc, 4, v17
	s_mov_b64 s[2:3], 0
	s_mov_b64 s[54:55], -1
                                        ; implicit-def: $sgpr42_sgpr43
                                        ; implicit-def: $sgpr44_sgpr45
	s_and_saveexec_b64 s[48:49], vcc
	s_cbranch_execz .LBB117_49
; %bb.46:                               ;   in Loop: Header=BB117_3 Depth=1
	s_waitcnt vmcnt(0)
	v_cmp_le_f32_e32 vcc, 0, v32
	v_cmp_ge_f32_e64 s[2:3], 1.0, v32
	s_and_b64 s[54:55], vcc, s[2:3]
	s_mov_b64 s[42:43], 0
	s_mov_b64 s[2:3], 0
	s_and_saveexec_b64 s[44:45], s[54:55]
	s_cbranch_execz .LBB117_48
; %bb.47:                               ;   in Loop: Header=BB117_3 Depth=1
	v_cvt_f32_u32_e32 v18, v25
	v_mov_b32_e32 v19, 0x2f800000
	s_waitcnt lgkmcnt(0)
	v_mov_b32_e32 v20, s17
	v_add_co_u32_e32 v14, vcc, s16, v14
	v_fmac_f32_e32 v19, 0x2f800000, v18
	v_addc_co_u32_e32 v15, vcc, v20, v15, vcc
	v_cmp_le_f32_e32 vcc, v19, v32
	s_mov_b64 s[2:3], exec
	v_cndmask_b32_e64 v18, 0, 1, vcc
	global_store_byte v[14:15], v18, off
.LBB117_48:                             ;   in Loop: Header=BB117_3 Depth=1
	s_or_b64 exec, exec, s[44:45]
	s_mov_b64 s[44:45], -1
	s_xor_b64 s[54:55], exec, -1
	s_and_b64 s[2:3], s[2:3], exec
.LBB117_49:                             ;   in Loop: Header=BB117_3 Depth=1
	s_or_b64 exec, exec, s[48:49]
	s_and_b64 s[54:55], s[54:55], exec
	s_orn2_b64 s[2:3], s[2:3], exec
.LBB117_50:                             ;   in Loop: Header=BB117_3 Depth=1
	s_or_b64 exec, exec, s[46:47]
	s_mov_b64 s[48:49], s[42:43]
	s_and_saveexec_b64 s[46:47], s[2:3]
	s_cbranch_execz .LBB117_54
; %bb.51:                               ;   in Loop: Header=BB117_3 Depth=1
	s_waitcnt vmcnt(1)
	v_cmp_le_f32_e32 vcc, 0, v9
	v_cmp_ge_f32_e64 s[2:3], 1.0, v9
	s_and_b64 s[48:49], vcc, s[2:3]
	s_mov_b64 s[2:3], 0
	s_and_saveexec_b64 s[52:53], s[48:49]
	s_xor_b64 s[48:49], exec, s[52:53]
	s_cbranch_execz .LBB117_53
; %bb.52:                               ;   in Loop: Header=BB117_3 Depth=1
	v_cvt_f32_u32_e32 v14, v16
	v_mov_b32_e32 v15, 0x2f800000
	s_waitcnt lgkmcnt(0)
	v_mov_b32_e32 v16, s17
	v_add_co_u32_e32 v10, vcc, s16, v10
	v_fmac_f32_e32 v15, 0x2f800000, v14
	v_addc_co_u32_e32 v11, vcc, v16, v11, vcc
	v_cmp_le_f32_e32 vcc, v15, v9
	v_cndmask_b32_e64 v9, 0, 1, vcc
	s_mov_b64 s[2:3], exec
	global_store_byte v[10:11], v9, off
.LBB117_53:                             ;   in Loop: Header=BB117_3 Depth=1
	s_or_b64 exec, exec, s[48:49]
	s_andn2_b64 s[48:49], s[42:43], exec
	s_or_b64 s[42:43], s[42:43], exec
	s_andn2_b64 s[44:45], s[44:45], exec
	s_and_b64 s[52:53], s[2:3], exec
.LBB117_54:                             ;   in Loop: Header=BB117_3 Depth=1
	s_or_b64 exec, exec, s[46:47]
	s_and_b64 s[48:49], s[48:49], exec
	s_and_b64 s[46:47], s[42:43], exec
	;; [unrolled: 1-line block ×5, first 2 shown]
.LBB117_55:                             ;   in Loop: Header=BB117_3 Depth=1
	s_andn2_saveexec_b64 s[2:3], s[50:51]
; %bb.56:                               ;   in Loop: Header=BB117_3 Depth=1
	v_cmp_lt_i32_e32 vcc, 1, v17
	s_andn2_b64 s[50:51], s[52:53], exec
	s_and_b64 s[52:53], vcc, exec
	s_mov_b64 s[40:41], exec
	s_andn2_b64 s[48:49], s[48:49], exec
	s_andn2_b64 s[46:47], s[46:47], exec
	;; [unrolled: 1-line block ×3, first 2 shown]
	s_or_b64 s[52:53], s[50:51], s[52:53]
; %bb.57:                               ;   in Loop: Header=BB117_3 Depth=1
	s_or_b64 exec, exec, s[2:3]
	s_mov_b64 s[2:3], 0
	s_mov_b64 s[50:51], s[48:49]
	s_and_saveexec_b64 s[54:55], s[52:53]
	s_cbranch_execnz .LBB117_60
; %bb.58:                               ;   in Loop: Header=BB117_3 Depth=1
	s_or_b64 exec, exec, s[54:55]
	s_and_saveexec_b64 s[52:53], s[40:41]
	s_cbranch_execnz .LBB117_63
.LBB117_59:                             ;   in Loop: Header=BB117_3 Depth=1
	s_or_b64 exec, exec, s[52:53]
	s_and_saveexec_b64 s[40:41], s[2:3]
	s_cbranch_execnz .LBB117_64
	s_branch .LBB117_67
.LBB117_60:                             ;   in Loop: Header=BB117_3 Depth=1
	s_waitcnt vmcnt(2)
	v_cmp_le_f32_e32 vcc, 0, v7
	v_cmp_ge_f32_e64 s[2:3], 1.0, v7
	s_and_b64 s[50:51], vcc, s[2:3]
	s_mov_b64 s[2:3], 0
	s_and_saveexec_b64 s[52:53], s[50:51]
	s_xor_b64 s[50:51], exec, s[52:53]
	s_cbranch_execz .LBB117_62
; %bb.61:                               ;   in Loop: Header=BB117_3 Depth=1
	s_waitcnt vmcnt(1)
	v_cvt_f32_u32_e32 v9, v13
	v_mov_b32_e32 v10, 0x2f800000
	s_mov_b64 s[2:3], exec
	v_fmac_f32_e32 v10, 0x2f800000, v9
	v_cmp_le_f32_e32 vcc, v10, v7
	v_cndmask_b32_e64 v7, 0, 1, vcc
	s_waitcnt lgkmcnt(0)
	global_store_byte v8, v7, s[16:17]
.LBB117_62:                             ;   in Loop: Header=BB117_3 Depth=1
	s_or_b64 exec, exec, s[50:51]
	s_andn2_b64 s[50:51], s[48:49], exec
	s_or_b64 s[48:49], s[48:49], exec
	s_andn2_b64 s[46:47], s[46:47], exec
	s_andn2_b64 s[44:45], s[44:45], exec
	s_and_b64 s[2:3], s[2:3], exec
	s_andn2_b64 s[40:41], s[40:41], exec
	s_or_b64 exec, exec, s[54:55]
	s_and_saveexec_b64 s[52:53], s[40:41]
	s_cbranch_execz .LBB117_59
.LBB117_63:                             ;   in Loop: Header=BB117_3 Depth=1
	v_cmp_eq_u32_e32 vcc, 1, v17
	s_andn2_b64 s[2:3], s[2:3], exec
	s_and_b64 s[40:41], vcc, exec
	s_andn2_b64 s[50:51], s[50:51], exec
	s_andn2_b64 s[48:49], s[48:49], exec
	s_andn2_b64 s[46:47], s[46:47], exec
	s_andn2_b64 s[44:45], s[44:45], exec
	s_or_b64 s[42:43], s[42:43], exec
	s_or_b64 s[2:3], s[2:3], s[40:41]
	s_or_b64 exec, exec, s[52:53]
	s_and_saveexec_b64 s[40:41], s[2:3]
	s_cbranch_execz .LBB117_67
.LBB117_64:                             ;   in Loop: Header=BB117_3 Depth=1
	s_waitcnt vmcnt(3)
	v_cmp_le_f32_e32 vcc, 0, v2
	v_cmp_ge_f32_e64 s[2:3], 1.0, v2
	s_and_b64 s[54:55], vcc, s[2:3]
	s_mov_b64 s[2:3], 0
	s_and_saveexec_b64 s[52:53], s[54:55]
	s_cbranch_execz .LBB117_66
; %bb.65:                               ;   in Loop: Header=BB117_3 Depth=1
	s_waitcnt vmcnt(2)
	v_cvt_f32_u32_e32 v7, v12
	v_mov_b32_e32 v8, 0x2f800000
	s_mov_b64 s[2:3], exec
	v_fmac_f32_e32 v8, 0x2f800000, v7
	v_cmp_le_f32_e32 vcc, v8, v2
	v_cndmask_b32_e64 v2, 0, 1, vcc
	s_waitcnt lgkmcnt(0)
	global_store_byte v6, v2, s[16:17]
.LBB117_66:                             ;   in Loop: Header=BB117_3 Depth=1
	s_or_b64 exec, exec, s[52:53]
	s_andn2_b64 s[42:43], s[42:43], exec
	s_and_b64 s[2:3], s[2:3], exec
	s_or_b64 s[50:51], s[50:51], exec
	s_andn2_b64 s[48:49], s[48:49], exec
	s_andn2_b64 s[46:47], s[46:47], exec
	;; [unrolled: 1-line block ×3, first 2 shown]
	s_or_b64 s[42:43], s[42:43], s[2:3]
.LBB117_67:                             ;   in Loop: Header=BB117_3 Depth=1
	s_or_b64 exec, exec, s[40:41]
	s_andn2_b64 s[38:39], s[38:39], exec
	s_and_b64 s[40:41], s[50:51], exec
	s_or_b64 s[38:39], s[38:39], s[40:41]
	s_andn2_b64 s[36:37], s[36:37], exec
	s_and_b64 s[40:41], s[48:49], exec
	s_or_b64 s[36:37], s[36:37], s[40:41]
	;; [unrolled: 3-line block ×3, first 2 shown]
	s_andn2_b64 s[30:31], s[30:31], exec
	s_and_b64 s[40:41], s[44:45], exec
	s_mov_b64 s[2:3], -1
	s_or_b64 s[30:31], s[30:31], s[40:41]
	s_and_saveexec_b64 s[40:41], s[42:43]
	s_cbranch_execz .LBB117_2
; %bb.68:                               ;   in Loop: Header=BB117_3 Depth=1
	v_add_u32_e32 v30, s59, v30
	v_cmp_le_u32_e32 vcc, s33, v30
	s_andn2_b64 s[38:39], s[38:39], exec
	s_andn2_b64 s[36:37], s[36:37], exec
	;; [unrolled: 1-line block ×4, first 2 shown]
	s_orn2_b64 s[2:3], vcc, exec
	s_branch .LBB117_2
.LBB117_69:
	s_or_b64 exec, exec, s[22:23]
	s_xor_b64 s[8:9], s[28:29], -1
	s_xor_b64 s[10:11], s[26:27], -1
	;; [unrolled: 1-line block ×3, first 2 shown]
	s_mov_b64 s[2:3], 0
	s_and_saveexec_b64 s[6:7], s[0:1]
	s_xor_b64 s[0:1], exec, s[6:7]
	s_cbranch_execnz .LBB117_74
; %bb.70:
	s_andn2_saveexec_b64 s[0:1], s[0:1]
	s_cbranch_execnz .LBB117_82
.LBB117_71:
	s_or_b64 exec, exec, s[0:1]
	s_and_b64 exec, exec, s[2:3]
.LBB117_72:
	; divergent unreachable
.LBB117_73:
	s_endpgm
.LBB117_74:
	s_mov_b64 s[6:7], 0
	s_and_saveexec_b64 s[2:3], s[10:11]
	s_xor_b64 s[2:3], exec, s[2:3]
	s_cbranch_execz .LBB117_80
; %bb.75:
	s_and_saveexec_b64 s[10:11], s[8:9]
	s_xor_b64 s[8:9], exec, s[10:11]
	s_cbranch_execz .LBB117_78
; %bb.76:
	s_and_saveexec_b64 s[10:11], s[4:5]
	s_xor_b64 s[4:5], exec, s[10:11]
	s_cbranch_execnz .LBB117_85
.LBB117_77:
	s_or_b64 exec, exec, s[4:5]
	s_and_b64 s[6:7], s[6:7], exec
.LBB117_78:
	s_andn2_saveexec_b64 s[4:5], s[8:9]
	s_cbranch_execnz .LBB117_84
.LBB117_79:
	s_or_b64 exec, exec, s[4:5]
	s_and_b64 s[6:7], s[6:7], exec
.LBB117_80:
	s_andn2_saveexec_b64 s[2:3], s[2:3]
	s_cbranch_execnz .LBB117_83
.LBB117_81:
	s_or_b64 exec, exec, s[2:3]
	s_and_b64 s[2:3], s[6:7], exec
	s_andn2_saveexec_b64 s[0:1], s[0:1]
	s_cbranch_execz .LBB117_71
.LBB117_82:
	s_or_b64 s[2:3], s[2:3], exec
	s_trap 2
	s_or_b64 exec, exec, s[0:1]
	s_and_b64 exec, exec, s[2:3]
	s_cbranch_execnz .LBB117_72
	s_branch .LBB117_73
.LBB117_83:
	s_or_b64 s[6:7], s[6:7], exec
	s_trap 2
	s_branch .LBB117_81
.LBB117_84:
	s_trap 2
	s_or_b64 s[6:7], s[6:7], exec
	s_branch .LBB117_79
.LBB117_85:
	s_mov_b64 s[6:7], exec
	s_trap 2
	s_branch .LBB117_77
	.section	.rodata,"a",@progbits
	.p2align	6, 0x0
	.amdhsa_kernel _ZN2at4cuda12_GLOBAL__N_121kernelPointwiseApply2IZNS_6native9templates4cuda28bernoulli_tensor_cuda_kernelIbfEEvRKNS_10TensorBaseES9_NS_15PhiloxCudaStateEEUliRbSB_SB_SB_RKfSD_SD_SD_E_bSC_jLin1ELi2ELi4ELi512ELi2EEEvNS0_6detail10TensorInfoIT0_T2_EENSG_IT1_SI_EESI_T_
		.amdhsa_group_segment_fixed_size 0
		.amdhsa_private_segment_fixed_size 0
		.amdhsa_kernarg_size 728
		.amdhsa_user_sgpr_count 6
		.amdhsa_user_sgpr_private_segment_buffer 1
		.amdhsa_user_sgpr_dispatch_ptr 0
		.amdhsa_user_sgpr_queue_ptr 0
		.amdhsa_user_sgpr_kernarg_segment_ptr 1
		.amdhsa_user_sgpr_dispatch_id 0
		.amdhsa_user_sgpr_flat_scratch_init 0
		.amdhsa_user_sgpr_kernarg_preload_length 0
		.amdhsa_user_sgpr_kernarg_preload_offset 0
		.amdhsa_user_sgpr_private_segment_size 0
		.amdhsa_uses_dynamic_stack 0
		.amdhsa_system_sgpr_private_segment_wavefront_offset 0
		.amdhsa_system_sgpr_workgroup_id_x 1
		.amdhsa_system_sgpr_workgroup_id_y 0
		.amdhsa_system_sgpr_workgroup_id_z 0
		.amdhsa_system_sgpr_workgroup_info 0
		.amdhsa_system_vgpr_workitem_id 0
		.amdhsa_next_free_vgpr 51
		.amdhsa_next_free_sgpr 63
		.amdhsa_accum_offset 52
		.amdhsa_reserve_vcc 1
		.amdhsa_reserve_flat_scratch 0
		.amdhsa_float_round_mode_32 0
		.amdhsa_float_round_mode_16_64 0
		.amdhsa_float_denorm_mode_32 3
		.amdhsa_float_denorm_mode_16_64 3
		.amdhsa_dx10_clamp 1
		.amdhsa_ieee_mode 1
		.amdhsa_fp16_overflow 0
		.amdhsa_tg_split 0
		.amdhsa_exception_fp_ieee_invalid_op 0
		.amdhsa_exception_fp_denorm_src 0
		.amdhsa_exception_fp_ieee_div_zero 0
		.amdhsa_exception_fp_ieee_overflow 0
		.amdhsa_exception_fp_ieee_underflow 0
		.amdhsa_exception_fp_ieee_inexact 0
		.amdhsa_exception_int_div_zero 0
	.end_amdhsa_kernel
	.section	.text._ZN2at4cuda12_GLOBAL__N_121kernelPointwiseApply2IZNS_6native9templates4cuda28bernoulli_tensor_cuda_kernelIbfEEvRKNS_10TensorBaseES9_NS_15PhiloxCudaStateEEUliRbSB_SB_SB_RKfSD_SD_SD_E_bSC_jLin1ELi2ELi4ELi512ELi2EEEvNS0_6detail10TensorInfoIT0_T2_EENSG_IT1_SI_EESI_T_,"axG",@progbits,_ZN2at4cuda12_GLOBAL__N_121kernelPointwiseApply2IZNS_6native9templates4cuda28bernoulli_tensor_cuda_kernelIbfEEvRKNS_10TensorBaseES9_NS_15PhiloxCudaStateEEUliRbSB_SB_SB_RKfSD_SD_SD_E_bSC_jLin1ELi2ELi4ELi512ELi2EEEvNS0_6detail10TensorInfoIT0_T2_EENSG_IT1_SI_EESI_T_,comdat
.Lfunc_end117:
	.size	_ZN2at4cuda12_GLOBAL__N_121kernelPointwiseApply2IZNS_6native9templates4cuda28bernoulli_tensor_cuda_kernelIbfEEvRKNS_10TensorBaseES9_NS_15PhiloxCudaStateEEUliRbSB_SB_SB_RKfSD_SD_SD_E_bSC_jLin1ELi2ELi4ELi512ELi2EEEvNS0_6detail10TensorInfoIT0_T2_EENSG_IT1_SI_EESI_T_, .Lfunc_end117-_ZN2at4cuda12_GLOBAL__N_121kernelPointwiseApply2IZNS_6native9templates4cuda28bernoulli_tensor_cuda_kernelIbfEEvRKNS_10TensorBaseES9_NS_15PhiloxCudaStateEEUliRbSB_SB_SB_RKfSD_SD_SD_E_bSC_jLin1ELi2ELi4ELi512ELi2EEEvNS0_6detail10TensorInfoIT0_T2_EENSG_IT1_SI_EESI_T_
                                        ; -- End function
	.section	.AMDGPU.csdata,"",@progbits
; Kernel info:
; codeLenInByte = 3908
; NumSgprs: 67
; NumVgprs: 51
; NumAgprs: 0
; TotalNumVgprs: 51
; ScratchSize: 0
; MemoryBound: 0
; FloatMode: 240
; IeeeMode: 1
; LDSByteSize: 0 bytes/workgroup (compile time only)
; SGPRBlocks: 8
; VGPRBlocks: 6
; NumSGPRsForWavesPerEU: 67
; NumVGPRsForWavesPerEU: 51
; AccumOffset: 52
; Occupancy: 8
; WaveLimiterHint : 1
; COMPUTE_PGM_RSRC2:SCRATCH_EN: 0
; COMPUTE_PGM_RSRC2:USER_SGPR: 6
; COMPUTE_PGM_RSRC2:TRAP_HANDLER: 0
; COMPUTE_PGM_RSRC2:TGID_X_EN: 1
; COMPUTE_PGM_RSRC2:TGID_Y_EN: 0
; COMPUTE_PGM_RSRC2:TGID_Z_EN: 0
; COMPUTE_PGM_RSRC2:TIDIG_COMP_CNT: 0
; COMPUTE_PGM_RSRC3_GFX90A:ACCUM_OFFSET: 12
; COMPUTE_PGM_RSRC3_GFX90A:TG_SPLIT: 0
	.section	.text._ZN2at4cuda12_GLOBAL__N_121kernelPointwiseApply2IZNS_6native9templates4cuda28bernoulli_tensor_cuda_kernelIbfEEvRKNS_10TensorBaseES9_NS_15PhiloxCudaStateEEUliRbSB_SB_SB_RKfSD_SD_SD_E_bSC_jLin1ELin1ELi4ELi512ELi2EEEvNS0_6detail10TensorInfoIT0_T2_EENSG_IT1_SI_EESI_T_,"axG",@progbits,_ZN2at4cuda12_GLOBAL__N_121kernelPointwiseApply2IZNS_6native9templates4cuda28bernoulli_tensor_cuda_kernelIbfEEvRKNS_10TensorBaseES9_NS_15PhiloxCudaStateEEUliRbSB_SB_SB_RKfSD_SD_SD_E_bSC_jLin1ELin1ELi4ELi512ELi2EEEvNS0_6detail10TensorInfoIT0_T2_EENSG_IT1_SI_EESI_T_,comdat
	.globl	_ZN2at4cuda12_GLOBAL__N_121kernelPointwiseApply2IZNS_6native9templates4cuda28bernoulli_tensor_cuda_kernelIbfEEvRKNS_10TensorBaseES9_NS_15PhiloxCudaStateEEUliRbSB_SB_SB_RKfSD_SD_SD_E_bSC_jLin1ELin1ELi4ELi512ELi2EEEvNS0_6detail10TensorInfoIT0_T2_EENSG_IT1_SI_EESI_T_ ; -- Begin function _ZN2at4cuda12_GLOBAL__N_121kernelPointwiseApply2IZNS_6native9templates4cuda28bernoulli_tensor_cuda_kernelIbfEEvRKNS_10TensorBaseES9_NS_15PhiloxCudaStateEEUliRbSB_SB_SB_RKfSD_SD_SD_E_bSC_jLin1ELin1ELi4ELi512ELi2EEEvNS0_6detail10TensorInfoIT0_T2_EENSG_IT1_SI_EESI_T_
	.p2align	8
	.type	_ZN2at4cuda12_GLOBAL__N_121kernelPointwiseApply2IZNS_6native9templates4cuda28bernoulli_tensor_cuda_kernelIbfEEvRKNS_10TensorBaseES9_NS_15PhiloxCudaStateEEUliRbSB_SB_SB_RKfSD_SD_SD_E_bSC_jLin1ELin1ELi4ELi512ELi2EEEvNS0_6detail10TensorInfoIT0_T2_EENSG_IT1_SI_EESI_T_,@function
_ZN2at4cuda12_GLOBAL__N_121kernelPointwiseApply2IZNS_6native9templates4cuda28bernoulli_tensor_cuda_kernelIbfEEvRKNS_10TensorBaseES9_NS_15PhiloxCudaStateEEUliRbSB_SB_SB_RKfSD_SD_SD_E_bSC_jLin1ELin1ELi4ELi512ELi2EEEvNS0_6detail10TensorInfoIT0_T2_EENSG_IT1_SI_EESI_T_: ; @_ZN2at4cuda12_GLOBAL__N_121kernelPointwiseApply2IZNS_6native9templates4cuda28bernoulli_tensor_cuda_kernelIbfEEvRKNS_10TensorBaseES9_NS_15PhiloxCudaStateEEUliRbSB_SB_SB_RKfSD_SD_SD_E_bSC_jLin1ELin1ELi4ELi512ELi2EEEvNS0_6detail10TensorInfoIT0_T2_EENSG_IT1_SI_EESI_T_
; %bb.0:
	s_load_dword s2, s[4:5], 0x1e4
	s_load_dword s33, s[4:5], 0x1b0
	s_add_u32 s0, s4, 0x1d8
	s_addc_u32 s1, s5, 0
	s_waitcnt lgkmcnt(0)
	s_and_b32 s2, s2, 0xffff
	s_mul_i32 s6, s6, s2
	v_add_u32_e32 v5, s6, v0
	v_lshlrev_b32_e32 v30, 2, v5
	v_cmp_gt_u32_e32 vcc, s33, v30
	s_and_saveexec_b64 s[6:7], vcc
	s_cbranch_execz .LBB118_85
; %bb.1:
	s_load_dword s0, s[0:1], 0x0
	s_nop 0
	s_load_dword s16, s[4:5], 0x1d0
	s_load_dword s20, s[4:5], 0xd0
	s_add_u32 s22, s4, 0xd8
	s_load_dwordx2 s[6:7], s[4:5], 0x1c8
	s_load_dwordx4 s[8:11], s[4:5], 0x1b8
	s_load_dword s24, s[4:5], 0x1a8
	s_load_dwordx2 s[12:13], s[4:5], 0xd8
	s_load_dword s56, s[4:5], 0x6c
	s_addc_u32 s23, s5, 0
	s_waitcnt lgkmcnt(0)
	s_mul_i32 s21, s0, s2
	s_cmp_gt_i32 s20, 1
	s_cselect_b64 s[0:1], -1, 0
	s_cmp_gt_i32 s24, 1
	s_mov_b32 s58, 0xcd9e8d57
	s_cselect_b64 s[2:3], -1, 0
	s_bitcmp1_b32 s16, 0
	v_mad_u64_u32 v[0:1], s[18:19], v5, s58, 0
	s_cselect_b64 s[16:17], -1, 0
	s_add_i32 s18, s20, -1
	s_mov_b32 s19, 0
	s_lshl_b32 s59, s21, 2
	s_add_i32 s60, s20, 1
	s_lshl_b64 s[20:21], s[18:19], 2
	s_load_dword s57, s[4:5], 0x144
	s_load_dwordx2 s[14:15], s[4:5], 0x0
	s_add_u32 s4, s20, s4
	s_addc_u32 s5, s21, s5
	s_add_u32 s20, s4, 8
	s_addc_u32 s21, s5, 0
	s_add_i32 s18, s24, -1
	s_add_i32 s61, s24, 1
	s_lshl_b64 s[4:5], s[18:19], 2
	s_add_u32 s4, s4, s22
	s_addc_u32 s5, s5, s23
	s_add_u32 s22, s4, 8
	v_cndmask_b32_e64 v2, 0, 1, s[0:1]
	v_mov_b32_e32 v3, 0
	v_mov_b32_e32 v4, v1
	s_addc_u32 s23, s5, 0
	s_mov_b64 s[24:25], 0
	v_cndmask_b32_e64 v1, 0, 1, s[2:3]
	s_mov_b32 s62, 0xd2511f53
	v_cmp_ne_u32_e64 s[0:1], 1, v2
	s_mov_b32 s63, 0xf1bbcdc8
                                        ; implicit-def: $sgpr26_sgpr27
                                        ; implicit-def: $sgpr28_sgpr29
                                        ; implicit-def: $sgpr30_sgpr31
                                        ; implicit-def: $sgpr18_sgpr19
                                        ; implicit-def: $sgpr34_sgpr35
                                        ; implicit-def: $sgpr36_sgpr37
                                        ; implicit-def: $sgpr38_sgpr39
                                        ; implicit-def: $sgpr40_sgpr41
	s_branch .LBB118_3
.LBB118_2:                              ;   in Loop: Header=BB118_3 Depth=1
	s_or_b64 exec, exec, s[4:5]
	s_and_b64 s[2:3], exec, s[2:3]
	s_or_b64 s[24:25], s[2:3], s[24:25]
	s_andn2_b64 s[2:3], s[18:19], exec
	s_and_b64 s[4:5], s[40:41], exec
	s_or_b64 s[18:19], s[2:3], s[4:5]
	s_andn2_b64 s[2:3], s[30:31], exec
	s_and_b64 s[4:5], s[38:39], exec
	;; [unrolled: 3-line block ×4, first 2 shown]
	s_or_b64 s[26:27], s[2:3], s[4:5]
	s_andn2_b64 exec, exec, s[24:25]
	s_cbranch_execz .LBB118_81
.LBB118_3:                              ; =>This Loop Header: Depth=1
                                        ;     Child Loop BB118_6 Depth 2
                                        ;     Child Loop BB118_11 Depth 2
                                        ;     Child Loop BB118_16 Depth 2
                                        ;     Child Loop BB118_21 Depth 2
                                        ;     Child Loop BB118_26 Depth 2
                                        ;     Child Loop BB118_31 Depth 2
                                        ;     Child Loop BB118_36 Depth 2
                                        ;     Child Loop BB118_41 Depth 2
	v_sub_u32_e32 v31, s33, v30
	v_cmp_lt_i32_e64 s[4:5], 0, v31
	v_mov_b32_e32 v6, 0
	s_and_saveexec_b64 s[2:3], s[4:5]
	s_cbranch_execz .LBB118_8
; %bb.4:                                ;   in Loop: Header=BB118_3 Depth=1
	s_and_b64 vcc, exec, s[0:1]
	v_mov_b32_e32 v6, 0
	s_waitcnt vmcnt(3)
	v_mov_b32_e32 v2, v30
	s_cbranch_vccnz .LBB118_7
; %bb.5:                                ;   in Loop: Header=BB118_3 Depth=1
	v_mov_b32_e32 v6, 0
	s_mov_b64 s[42:43], s[20:21]
	s_mov_b32 s44, s60
	v_mov_b32_e32 v2, v30
.LBB118_6:                              ;   Parent Loop BB118_3 Depth=1
                                        ; =>  This Inner Loop Header: Depth=2
	s_load_dword s45, s[42:43], 0x0
	s_load_dword s46, s[42:43], 0x64
	s_waitcnt vmcnt(2)
	v_mov_b32_e32 v7, v2
	s_add_i32 s44, s44, -1
	s_waitcnt lgkmcnt(0)
	v_cvt_f32_u32_e32 v2, s45
	s_sub_i32 s47, 0, s45
	s_add_u32 s42, s42, -4
	s_addc_u32 s43, s43, -1
	v_rcp_iflag_f32_e32 v2, v2
	s_cmp_gt_u32 s44, 2
	v_mul_f32_e32 v2, 0x4f7ffffe, v2
	v_cvt_u32_f32_e32 v2, v2
	v_mul_lo_u32 v8, s47, v2
	v_mul_hi_u32 v8, v2, v8
	v_add_u32_e32 v2, v2, v8
	v_mul_hi_u32 v2, v7, v2
	v_mul_lo_u32 v8, v2, s45
	v_sub_u32_e32 v8, v7, v8
	s_waitcnt vmcnt(1)
	v_add_u32_e32 v9, 1, v2
	v_cmp_le_u32_e32 vcc, s45, v8
	v_cndmask_b32_e32 v2, v2, v9, vcc
	v_subrev_u32_e32 v9, s45, v8
	v_cndmask_b32_e32 v8, v8, v9, vcc
	v_add_u32_e32 v9, 1, v2
	v_cmp_le_u32_e32 vcc, s45, v8
	v_cndmask_b32_e32 v2, v2, v9, vcc
	v_mul_lo_u32 v8, v2, s45
	v_sub_u32_e32 v7, v7, v8
	v_mad_u64_u32 v[6:7], s[46:47], s46, v7, v[6:7]
	s_cbranch_scc1 .LBB118_6
.LBB118_7:                              ;   in Loop: Header=BB118_3 Depth=1
	s_waitcnt vmcnt(2)
	v_mad_u64_u32 v[6:7], s[42:43], s56, v2, v[6:7]
.LBB118_8:                              ;   in Loop: Header=BB118_3 Depth=1
	s_or_b64 exec, exec, s[2:3]
	s_waitcnt vmcnt(3)
	v_mov_b32_e32 v2, 0
	v_cmp_ne_u32_e64 s[2:3], 1, v1
	s_and_saveexec_b64 s[42:43], s[4:5]
	s_cbranch_execz .LBB118_13
; %bb.9:                                ;   in Loop: Header=BB118_3 Depth=1
	s_and_b64 vcc, exec, s[2:3]
	v_mov_b32_e32 v8, 0
	v_mov_b32_e32 v2, v30
	s_cbranch_vccnz .LBB118_12
; %bb.10:                               ;   in Loop: Header=BB118_3 Depth=1
	v_mov_b32_e32 v8, 0
	s_mov_b64 s[4:5], s[22:23]
	s_mov_b32 s44, s61
	v_mov_b32_e32 v2, v30
.LBB118_11:                             ;   Parent Loop BB118_3 Depth=1
                                        ; =>  This Inner Loop Header: Depth=2
	s_load_dword s45, s[4:5], 0x0
	s_load_dword s46, s[4:5], 0x64
	s_waitcnt vmcnt(2)
	v_mov_b32_e32 v7, v2
	s_add_i32 s44, s44, -1
	s_waitcnt lgkmcnt(0)
	v_cvt_f32_u32_e32 v2, s45
	s_sub_i32 s47, 0, s45
	s_add_u32 s4, s4, -4
	s_addc_u32 s5, s5, -1
	v_rcp_iflag_f32_e32 v2, v2
	s_cmp_gt_u32 s44, 2
	v_mul_f32_e32 v2, 0x4f7ffffe, v2
	v_cvt_u32_f32_e32 v2, v2
	s_waitcnt vmcnt(1)
	v_mul_lo_u32 v9, s47, v2
	v_mul_hi_u32 v9, v2, v9
	v_add_u32_e32 v2, v2, v9
	v_mul_hi_u32 v2, v7, v2
	v_mul_lo_u32 v9, v2, s45
	v_sub_u32_e32 v9, v7, v9
	v_add_u32_e32 v10, 1, v2
	v_cmp_le_u32_e32 vcc, s45, v9
	v_cndmask_b32_e32 v2, v2, v10, vcc
	v_subrev_u32_e32 v10, s45, v9
	v_cndmask_b32_e32 v9, v9, v10, vcc
	v_add_u32_e32 v10, 1, v2
	v_cmp_le_u32_e32 vcc, s45, v9
	v_cndmask_b32_e32 v2, v2, v10, vcc
	v_mul_lo_u32 v9, v2, s45
	v_sub_u32_e32 v7, v7, v9
	v_mad_u64_u32 v[8:9], s[46:47], s46, v7, v[8:9]
	s_cbranch_scc1 .LBB118_11
.LBB118_12:                             ;   in Loop: Header=BB118_3 Depth=1
	s_waitcnt vmcnt(1) lgkmcnt(0)
	v_mad_u64_u32 v[8:9], s[4:5], s57, v2, v[8:9]
	v_mov_b32_e32 v2, v8
.LBB118_13:                             ;   in Loop: Header=BB118_3 Depth=1
	s_or_b64 exec, exec, s[42:43]
	s_waitcnt vmcnt(2)
	v_or_b32_e32 v7, 1, v30
	v_cmp_lt_i32_e64 s[4:5], 1, v31
	v_mov_b32_e32 v8, 0
	s_and_saveexec_b64 s[42:43], s[4:5]
	s_cbranch_execz .LBB118_18
; %bb.14:                               ;   in Loop: Header=BB118_3 Depth=1
	s_and_b64 vcc, exec, s[0:1]
	v_mov_b32_e32 v8, 0
	v_mov_b32_e32 v10, v7
	s_cbranch_vccnz .LBB118_17
; %bb.15:                               ;   in Loop: Header=BB118_3 Depth=1
	v_mov_b32_e32 v8, 0
	s_mov_b64 s[44:45], s[20:21]
	s_mov_b32 s46, s60
	v_mov_b32_e32 v10, v7
.LBB118_16:                             ;   Parent Loop BB118_3 Depth=1
                                        ; =>  This Inner Loop Header: Depth=2
	s_load_dword s47, s[44:45], 0x0
	s_load_dword s48, s[44:45], 0x64
	s_waitcnt vmcnt(1)
	v_mov_b32_e32 v9, v10
	s_add_i32 s46, s46, -1
	s_waitcnt lgkmcnt(0)
	v_cvt_f32_u32_e32 v10, s47
	s_sub_i32 s49, 0, s47
	s_add_u32 s44, s44, -4
	s_addc_u32 s45, s45, -1
	v_rcp_iflag_f32_e32 v10, v10
	s_cmp_gt_u32 s46, 2
	v_mul_f32_e32 v10, 0x4f7ffffe, v10
	v_cvt_u32_f32_e32 v10, v10
	s_waitcnt vmcnt(0)
	v_mul_lo_u32 v11, s49, v10
	v_mul_hi_u32 v11, v10, v11
	v_add_u32_e32 v10, v10, v11
	v_mul_hi_u32 v10, v9, v10
	v_mul_lo_u32 v11, v10, s47
	v_sub_u32_e32 v11, v9, v11
	v_add_u32_e32 v12, 1, v10
	v_cmp_le_u32_e32 vcc, s47, v11
	v_cndmask_b32_e32 v10, v10, v12, vcc
	v_subrev_u32_e32 v12, s47, v11
	v_cndmask_b32_e32 v11, v11, v12, vcc
	v_add_u32_e32 v12, 1, v10
	v_cmp_le_u32_e32 vcc, s47, v11
	v_cndmask_b32_e32 v10, v10, v12, vcc
	v_mul_lo_u32 v11, v10, s47
	v_sub_u32_e32 v9, v9, v11
	v_mad_u64_u32 v[8:9], s[48:49], s48, v9, v[8:9]
	s_cbranch_scc1 .LBB118_16
.LBB118_17:                             ;   in Loop: Header=BB118_3 Depth=1
	s_waitcnt vmcnt(1)
	v_mad_u64_u32 v[8:9], s[44:45], s56, v10, v[8:9]
.LBB118_18:                             ;   in Loop: Header=BB118_3 Depth=1
	s_or_b64 exec, exec, s[42:43]
	v_mov_b32_e32 v12, 0
	s_and_saveexec_b64 s[42:43], s[4:5]
	s_cbranch_execz .LBB118_23
; %bb.19:                               ;   in Loop: Header=BB118_3 Depth=1
	s_and_b64 vcc, exec, s[2:3]
	v_mov_b32_e32 v10, 0
	s_cbranch_vccnz .LBB118_22
; %bb.20:                               ;   in Loop: Header=BB118_3 Depth=1
	v_mov_b32_e32 v10, 0
	s_mov_b64 s[4:5], s[22:23]
	s_mov_b32 s44, s61
.LBB118_21:                             ;   Parent Loop BB118_3 Depth=1
                                        ; =>  This Inner Loop Header: Depth=2
	s_load_dword s45, s[4:5], 0x0
	s_load_dword s46, s[4:5], 0x64
	s_waitcnt vmcnt(1)
	v_mov_b32_e32 v9, v7
	s_add_i32 s44, s44, -1
	s_waitcnt lgkmcnt(0)
	v_cvt_f32_u32_e32 v7, s45
	s_sub_i32 s47, 0, s45
	s_add_u32 s4, s4, -4
	s_addc_u32 s5, s5, -1
	v_rcp_iflag_f32_e32 v7, v7
	s_cmp_gt_u32 s44, 2
	v_mul_f32_e32 v7, 0x4f7ffffe, v7
	v_cvt_u32_f32_e32 v7, v7
	s_waitcnt vmcnt(0)
	v_mul_lo_u32 v11, s47, v7
	v_mul_hi_u32 v11, v7, v11
	v_add_u32_e32 v7, v7, v11
	v_mul_hi_u32 v7, v9, v7
	v_mul_lo_u32 v11, v7, s45
	v_sub_u32_e32 v11, v9, v11
	v_add_u32_e32 v12, 1, v7
	v_cmp_le_u32_e32 vcc, s45, v11
	v_cndmask_b32_e32 v7, v7, v12, vcc
	v_subrev_u32_e32 v12, s45, v11
	v_cndmask_b32_e32 v11, v11, v12, vcc
	v_add_u32_e32 v12, 1, v7
	v_cmp_le_u32_e32 vcc, s45, v11
	v_cndmask_b32_e32 v7, v7, v12, vcc
	v_mul_lo_u32 v11, v7, s45
	v_sub_u32_e32 v9, v9, v11
	v_mad_u64_u32 v[10:11], s[46:47], s46, v9, v[10:11]
	s_cbranch_scc1 .LBB118_21
.LBB118_22:                             ;   in Loop: Header=BB118_3 Depth=1
	s_waitcnt vmcnt(0) lgkmcnt(0)
	v_mad_u64_u32 v[12:13], s[4:5], s57, v7, v[10:11]
.LBB118_23:                             ;   in Loop: Header=BB118_3 Depth=1
	s_or_b64 exec, exec, s[42:43]
	v_or_b32_e32 v7, 2, v30
	v_cmp_lt_i32_e64 s[4:5], 2, v31
	v_mov_b32_e32 v10, 0
	s_and_saveexec_b64 s[42:43], s[4:5]
	s_cbranch_execz .LBB118_28
; %bb.24:                               ;   in Loop: Header=BB118_3 Depth=1
	s_and_b64 vcc, exec, s[0:1]
	v_mov_b32_e32 v10, 0
	s_waitcnt vmcnt(1)
	v_mov_b32_e32 v9, v7
	s_cbranch_vccnz .LBB118_27
; %bb.25:                               ;   in Loop: Header=BB118_3 Depth=1
	v_mov_b32_e32 v10, 0
	s_mov_b64 s[44:45], s[20:21]
	s_mov_b32 s46, s60
	v_mov_b32_e32 v9, v7
.LBB118_26:                             ;   Parent Loop BB118_3 Depth=1
                                        ; =>  This Inner Loop Header: Depth=2
	s_load_dword s47, s[44:45], 0x0
	s_load_dword s48, s[44:45], 0x64
	s_waitcnt vmcnt(0)
	v_mov_b32_e32 v11, v9
	s_add_i32 s46, s46, -1
	s_waitcnt lgkmcnt(0)
	v_cvt_f32_u32_e32 v9, s47
	s_sub_i32 s49, 0, s47
	s_add_u32 s44, s44, -4
	s_addc_u32 s45, s45, -1
	v_rcp_iflag_f32_e32 v9, v9
	s_cmp_gt_u32 s46, 2
	v_mul_f32_e32 v9, 0x4f7ffffe, v9
	v_cvt_u32_f32_e32 v9, v9
	v_mul_lo_u32 v13, s49, v9
	v_mul_hi_u32 v13, v9, v13
	v_add_u32_e32 v9, v9, v13
	v_mul_hi_u32 v9, v11, v9
	v_mul_lo_u32 v13, v9, s47
	v_sub_u32_e32 v13, v11, v13
	v_add_u32_e32 v14, 1, v9
	v_cmp_le_u32_e32 vcc, s47, v13
	v_cndmask_b32_e32 v9, v9, v14, vcc
	v_subrev_u32_e32 v14, s47, v13
	v_cndmask_b32_e32 v13, v13, v14, vcc
	v_add_u32_e32 v14, 1, v9
	v_cmp_le_u32_e32 vcc, s47, v13
	v_cndmask_b32_e32 v9, v9, v14, vcc
	v_mul_lo_u32 v13, v9, s47
	v_sub_u32_e32 v11, v11, v13
	v_mad_u64_u32 v[10:11], s[48:49], s48, v11, v[10:11]
	s_cbranch_scc1 .LBB118_26
.LBB118_27:                             ;   in Loop: Header=BB118_3 Depth=1
	s_waitcnt vmcnt(0)
	v_mad_u64_u32 v[10:11], s[44:45], s56, v9, v[10:11]
.LBB118_28:                             ;   in Loop: Header=BB118_3 Depth=1
	s_or_b64 exec, exec, s[42:43]
	v_pk_mov_b32 v[16:17], 0, 0
	s_and_saveexec_b64 s[42:43], s[4:5]
	s_cbranch_execz .LBB118_33
; %bb.29:                               ;   in Loop: Header=BB118_3 Depth=1
	s_and_b64 vcc, exec, s[2:3]
	v_mov_b32_e32 v14, 0
	s_cbranch_vccnz .LBB118_32
; %bb.30:                               ;   in Loop: Header=BB118_3 Depth=1
	v_mov_b32_e32 v14, 0
	s_mov_b64 s[4:5], s[22:23]
	s_mov_b32 s44, s61
.LBB118_31:                             ;   Parent Loop BB118_3 Depth=1
                                        ; =>  This Inner Loop Header: Depth=2
	s_load_dword s45, s[4:5], 0x0
	s_load_dword s46, s[4:5], 0x64
	s_waitcnt vmcnt(1)
	v_mov_b32_e32 v9, v7
	s_add_i32 s44, s44, -1
	s_waitcnt lgkmcnt(0)
	v_cvt_f32_u32_e32 v7, s45
	s_sub_i32 s47, 0, s45
	s_add_u32 s4, s4, -4
	s_addc_u32 s5, s5, -1
	v_rcp_iflag_f32_e32 v7, v7
	s_cmp_gt_u32 s44, 2
	v_mul_f32_e32 v7, 0x4f7ffffe, v7
	v_cvt_u32_f32_e32 v7, v7
	s_waitcnt vmcnt(0)
	v_mul_lo_u32 v11, s47, v7
	v_mul_hi_u32 v11, v7, v11
	v_add_u32_e32 v7, v7, v11
	v_mul_hi_u32 v7, v9, v7
	v_mul_lo_u32 v11, v7, s45
	v_sub_u32_e32 v11, v9, v11
	v_add_u32_e32 v13, 1, v7
	v_cmp_le_u32_e32 vcc, s45, v11
	v_cndmask_b32_e32 v7, v7, v13, vcc
	v_subrev_u32_e32 v13, s45, v11
	v_cndmask_b32_e32 v11, v11, v13, vcc
	v_add_u32_e32 v13, 1, v7
	v_cmp_le_u32_e32 vcc, s45, v11
	v_cndmask_b32_e32 v7, v7, v13, vcc
	v_mul_lo_u32 v11, v7, s45
	v_sub_u32_e32 v9, v9, v11
	v_mad_u64_u32 v[14:15], s[46:47], s46, v9, v[14:15]
	s_cbranch_scc1 .LBB118_31
.LBB118_32:                             ;   in Loop: Header=BB118_3 Depth=1
	s_waitcnt lgkmcnt(0)
	v_mad_u64_u32 v[16:17], s[4:5], s57, v7, v[14:15]
	v_mov_b32_e32 v17, v3
.LBB118_33:                             ;   in Loop: Header=BB118_3 Depth=1
	s_or_b64 exec, exec, s[42:43]
	v_or_b32_e32 v7, 3, v30
	v_cmp_lt_i32_e64 s[4:5], 3, v31
	v_pk_mov_b32 v[14:15], 0, 0
	s_and_saveexec_b64 s[42:43], s[4:5]
	s_cbranch_execz .LBB118_38
; %bb.34:                               ;   in Loop: Header=BB118_3 Depth=1
	s_and_b64 vcc, exec, s[0:1]
	v_mov_b32_e32 v14, 0
	s_waitcnt vmcnt(1)
	v_mov_b32_e32 v9, v7
	s_cbranch_vccnz .LBB118_37
; %bb.35:                               ;   in Loop: Header=BB118_3 Depth=1
	v_mov_b32_e32 v14, 0
	s_mov_b64 s[44:45], s[20:21]
	s_mov_b32 s46, s60
	v_mov_b32_e32 v9, v7
.LBB118_36:                             ;   Parent Loop BB118_3 Depth=1
                                        ; =>  This Inner Loop Header: Depth=2
	s_load_dword s47, s[44:45], 0x0
	s_load_dword s48, s[44:45], 0x64
	s_waitcnt vmcnt(0)
	v_mov_b32_e32 v11, v9
	s_add_i32 s46, s46, -1
	s_waitcnt lgkmcnt(0)
	v_cvt_f32_u32_e32 v9, s47
	s_sub_i32 s49, 0, s47
	s_add_u32 s44, s44, -4
	s_addc_u32 s45, s45, -1
	v_rcp_iflag_f32_e32 v9, v9
	s_cmp_gt_u32 s46, 2
	v_mul_f32_e32 v9, 0x4f7ffffe, v9
	v_cvt_u32_f32_e32 v9, v9
	v_mul_lo_u32 v13, s49, v9
	v_mul_hi_u32 v13, v9, v13
	v_add_u32_e32 v9, v9, v13
	v_mul_hi_u32 v9, v11, v9
	v_mul_lo_u32 v13, v9, s47
	v_sub_u32_e32 v13, v11, v13
	v_add_u32_e32 v15, 1, v9
	v_cmp_le_u32_e32 vcc, s47, v13
	v_cndmask_b32_e32 v9, v9, v15, vcc
	v_subrev_u32_e32 v15, s47, v13
	v_cndmask_b32_e32 v13, v13, v15, vcc
	v_add_u32_e32 v15, 1, v9
	v_cmp_le_u32_e32 vcc, s47, v13
	v_cndmask_b32_e32 v9, v9, v15, vcc
	v_mul_lo_u32 v13, v9, s47
	v_sub_u32_e32 v11, v11, v13
	v_mad_u64_u32 v[14:15], s[48:49], s48, v11, v[14:15]
	s_cbranch_scc1 .LBB118_36
.LBB118_37:                             ;   in Loop: Header=BB118_3 Depth=1
	v_mad_u64_u32 v[14:15], s[44:45], s56, v9, v[14:15]
	v_mov_b32_e32 v15, v3
.LBB118_38:                             ;   in Loop: Header=BB118_3 Depth=1
	s_or_b64 exec, exec, s[42:43]
	v_pk_mov_b32 v[18:19], 0, 0
	s_and_saveexec_b64 s[42:43], s[4:5]
	s_cbranch_execz .LBB118_43
; %bb.39:                               ;   in Loop: Header=BB118_3 Depth=1
	s_and_b64 vcc, exec, s[2:3]
	v_mov_b32_e32 v18, 0
	s_cbranch_vccnz .LBB118_42
; %bb.40:                               ;   in Loop: Header=BB118_3 Depth=1
	v_mov_b32_e32 v18, 0
	s_mov_b64 s[2:3], s[22:23]
	s_mov_b32 s4, s61
.LBB118_41:                             ;   Parent Loop BB118_3 Depth=1
                                        ; =>  This Inner Loop Header: Depth=2
	s_load_dword s5, s[2:3], 0x0
	s_load_dword s44, s[2:3], 0x64
	s_waitcnt vmcnt(1)
	v_mov_b32_e32 v9, v7
	s_add_i32 s4, s4, -1
	s_waitcnt lgkmcnt(0)
	v_cvt_f32_u32_e32 v7, s5
	s_sub_i32 s45, 0, s5
	s_add_u32 s2, s2, -4
	s_addc_u32 s3, s3, -1
	v_rcp_iflag_f32_e32 v7, v7
	s_cmp_gt_u32 s4, 2
	v_mul_f32_e32 v7, 0x4f7ffffe, v7
	v_cvt_u32_f32_e32 v7, v7
	s_waitcnt vmcnt(0)
	v_mul_lo_u32 v11, s45, v7
	v_mul_hi_u32 v11, v7, v11
	v_add_u32_e32 v7, v7, v11
	v_mul_hi_u32 v7, v9, v7
	v_mul_lo_u32 v11, v7, s5
	v_sub_u32_e32 v11, v9, v11
	v_add_u32_e32 v13, 1, v7
	v_cmp_le_u32_e32 vcc, s5, v11
	v_cndmask_b32_e32 v7, v7, v13, vcc
	v_subrev_u32_e32 v13, s5, v11
	v_cndmask_b32_e32 v11, v11, v13, vcc
	v_add_u32_e32 v13, 1, v7
	v_cmp_le_u32_e32 vcc, s5, v11
	v_cndmask_b32_e32 v7, v7, v13, vcc
	v_mul_lo_u32 v11, v7, s5
	v_sub_u32_e32 v9, v9, v11
	v_mad_u64_u32 v[18:19], s[44:45], s44, v9, v[18:19]
	s_cbranch_scc1 .LBB118_41
.LBB118_42:                             ;   in Loop: Header=BB118_3 Depth=1
	s_waitcnt lgkmcnt(0)
	v_mad_u64_u32 v[18:19], s[2:3], s57, v7, v[18:19]
	v_mov_b32_e32 v19, v3
.LBB118_43:                             ;   in Loop: Header=BB118_3 Depth=1
	s_or_b64 exec, exec, s[42:43]
	v_lshlrev_b64 v[20:21], 2, v[2:3]
	v_mov_b32_e32 v2, s13
	v_add_co_u32_e32 v20, vcc, s12, v20
	v_mov_b32_e32 v13, v3
	v_addc_co_u32_e32 v21, vcc, v2, v21, vcc
	v_lshlrev_b64 v[12:13], 2, v[12:13]
	v_add_co_u32_e32 v12, vcc, s12, v12
	v_addc_co_u32_e32 v13, vcc, v2, v13, vcc
	v_lshlrev_b64 v[16:17], 2, v[16:17]
	v_add_co_u32_e32 v16, vcc, s12, v16
	;; [unrolled: 3-line block ×3, first 2 shown]
	v_addc_co_u32_e32 v19, vcc, v2, v19, vcc
	global_load_dword v2, v[20:21], off
	global_load_dword v7, v[12:13], off
	;; [unrolled: 1-line block ×4, first 2 shown]
	s_andn2_b64 vcc, exec, s[16:17]
	v_pk_mov_b32 v[12:13], s[10:11], s[10:11] op_sel:[0,1]
	v_pk_mov_b32 v[16:17], s[8:9], s[8:9] op_sel:[0,1]
	s_cbranch_vccnz .LBB118_45
; %bb.44:                               ;   in Loop: Header=BB118_3 Depth=1
	v_pk_mov_b32 v[12:13], s[10:11], s[10:11] op_sel:[0,1]
	flat_load_dwordx2 v[12:13], v[12:13]
	v_pk_mov_b32 v[16:17], s[8:9], s[8:9] op_sel:[0,1]
	flat_load_dwordx2 v[16:17], v[16:17]
	v_mov_b32_e32 v18, s7
	s_waitcnt vmcnt(0) lgkmcnt(0)
	v_add_co_u32_e32 v12, vcc, s6, v12
	v_addc_co_u32_e32 v13, vcc, v13, v18, vcc
.LBB118_45:                             ;   in Loop: Header=BB118_3 Depth=1
	v_alignbit_b32 v26, v13, v12, 2
	v_lshrrev_b32_e32 v27, 2, v13
	v_xor_b32_e32 v18, v4, v16
	v_and_b32_e32 v32, 3, v12
	v_mad_u64_u32 v[12:13], s[2:3], v26, s62, 0
	v_xor_b32_e32 v18, v18, v27
	v_xor_b32_e32 v13, v13, v17
	v_add_u32_e32 v37, 0xbb67ae85, v17
	v_mad_u64_u32 v[18:19], s[2:3], v18, s62, 0
	v_mad_u64_u32 v[20:21], s[2:3], v13, s58, 0
	v_xor_b32_e32 v19, v37, v19
	v_add_u32_e32 v36, 0x9e3779b9, v16
	v_xor_b32_e32 v13, v0, v21
	v_xor_b32_e32 v19, v19, v12
	v_xor_b32_e32 v13, v13, v36
	v_add_u32_e32 v38, 0x3c6ef372, v16
	v_mad_u64_u32 v[22:23], s[2:3], v19, s58, 0
	v_add_u32_e32 v39, 0x76cf5d0a, v17
	v_mad_u64_u32 v[12:13], s[2:3], v13, s62, 0
	v_xor_b32_e32 v19, v38, v23
	v_xor_b32_e32 v19, v19, v20
	v_xor_b32_e32 v13, v39, v13
	v_xor_b32_e32 v13, v13, v18
	v_add_u32_e32 v41, 0x32370b8f, v17
	v_mad_u64_u32 v[18:19], s[2:3], v19, s62, 0
	v_add_u32_e32 v40, 0xdaa66d2b, v16
	v_mad_u64_u32 v[20:21], s[2:3], v13, s58, 0
	v_xor_b32_e32 v19, v41, v19
	;; [unrolled: 8-line block ×5, first 2 shown]
	v_xor_b32_e32 v19, v19, v20
	v_xor_b32_e32 v13, v47, v13
	;; [unrolled: 1-line block ×3, first 2 shown]
	v_add_u32_e32 v49, 0x1fd5c5a3, v17
	v_mad_u64_u32 v[18:19], s[2:3], v19, s62, 0
	v_xor_b32_e32 v19, v49, v19
	v_xor_b32_e32 v12, v19, v12
	v_add_u32_e32 v48, 0x5384540f, v16
	v_mad_u64_u32 v[24:25], s[2:3], v13, s58, 0
	v_add_co_u32_e32 v34, vcc, s63, v16
	v_mad_u64_u32 v[20:21], s[2:3], v12, s58, 0
	v_xor_b32_e32 v13, v48, v25
	v_xor_b32_e32 v12, v34, v21
	;; [unrolled: 1-line block ×4, first 2 shown]
	v_mad_u64_u32 v[22:23], s[2:3], v13, s62, 0
	v_mad_u64_u32 v[12:13], s[2:3], v12, s62, 0
	v_add_u32_e32 v35, 0x96a522ad, v17
	v_xor_b32_e32 v13, v13, v22
	v_xor_b32_e32 v33, v35, v13
	v_add_co_u32_e32 v13, vcc, 1, v26
	v_cndmask_b32_e64 v22, 0, 1, vcc
	v_addc_co_u32_e32 v28, vcc, 0, v27, vcc
	v_cmp_eq_u32_e32 vcc, 0, v28
	v_cndmask_b32_e32 v22, 0, v22, vcc
	v_add_u32_e32 v26, v22, v5
	v_cmp_eq_u32_e32 vcc, 0, v26
	v_mad_u64_u32 v[24:25], s[2:3], v13, s62, 0
	v_mad_u64_u32 v[26:27], s[2:3], v26, s58, 0
	v_add_u32_e32 v21, 0x8ff34781, v16
	v_cndmask_b32_e32 v22, 0, v22, vcc
	v_xor_b32_e32 v13, v27, v16
	v_xor_b32_e32 v16, v25, v17
	;; [unrolled: 1-line block ×4, first 2 shown]
	v_mad_u64_u32 v[28:29], s[2:3], v22, s58, 0
	v_add_u32_e32 v19, 0xdb3d7428, v17
	v_mad_u64_u32 v[16:17], s[2:3], v13, s62, 0
	v_xor_b32_e32 v13, v36, v29
	v_xor_b32_e32 v13, v13, v26
	v_xor_b32_e32 v17, v37, v17
	v_xor_b32_e32 v17, v17, v24
	v_mad_u64_u32 v[24:25], s[2:3], v13, s62, 0
	v_mad_u64_u32 v[26:27], s[2:3], v17, s58, 0
	v_xor_b32_e32 v17, v39, v25
	v_xor_b32_e32 v13, v38, v27
	v_xor_b32_e32 v22, v17, v16
	v_xor_b32_e32 v13, v13, v28
	v_mad_u64_u32 v[28:29], s[2:3], v22, s58, 0
	;; [unrolled: 6-line block ×7, first 2 shown]
	v_xor_b32_e32 v13, v19, v27
	v_xor_b32_e32 v13, v13, v16
	v_mad_u64_u32 v[28:29], s[2:3], v17, s58, 0
	v_mad_u64_u32 v[16:17], s[2:3], v13, s58, 0
	v_xor_b32_e32 v13, v17, v28
	v_xor_b32_e32 v13, v21, v13
	v_cmp_lt_i32_e32 vcc, 1, v32
                                        ; implicit-def: $vgpr25
	s_and_saveexec_b64 s[2:3], vcc
	s_xor_b64 s[2:3], exec, s[2:3]
	s_cbranch_execz .LBB118_51
; %bb.46:                               ;   in Loop: Header=BB118_3 Depth=1
	v_cmp_lt_i32_e32 vcc, 2, v32
                                        ; implicit-def: $vgpr25
	s_and_saveexec_b64 s[4:5], vcc
	s_xor_b64 s[4:5], exec, s[4:5]
; %bb.47:                               ;   in Loop: Header=BB118_3 Depth=1
	v_xor_b32_e32 v17, v34, v29
	v_xor_b32_e32 v17, v17, v24
	v_mul_hi_u32 v17, v17, s62
	v_xor_b32_e32 v17, v17, v26
	v_xor_b32_e32 v25, v35, v17
                                        ; implicit-def: $vgpr33
; %bb.48:                               ;   in Loop: Header=BB118_3 Depth=1
	s_andn2_saveexec_b64 s[4:5], s[4:5]
; %bb.49:                               ;   in Loop: Header=BB118_3 Depth=1
	v_mov_b32_e32 v25, v16
	v_mov_b32_e32 v16, v13
	;; [unrolled: 1-line block ×4, first 2 shown]
; %bb.50:                               ;   in Loop: Header=BB118_3 Depth=1
	s_or_b64 exec, exec, s[4:5]
                                        ; implicit-def: $vgpr18_vgpr19
                                        ; implicit-def: $vgpr20_vgpr21
                                        ; implicit-def: $vgpr32
                                        ; implicit-def: $vgpr33
                                        ; implicit-def: $vgpr22_vgpr23
                                        ; implicit-def: $vgpr19
                                        ; implicit-def: $vgpr21
.LBB118_51:                             ;   in Loop: Header=BB118_3 Depth=1
	s_andn2_saveexec_b64 s[2:3], s[2:3]
	s_cbranch_execz .LBB118_55
; %bb.52:                               ;   in Loop: Header=BB118_3 Depth=1
	v_xor_b32_e32 v16, v19, v23
	v_xor_b32_e32 v16, v16, v18
	v_mad_u64_u32 v[18:19], s[4:5], v16, s58, 0
	v_xor_b32_e32 v16, v19, v20
	v_xor_b32_e32 v17, v21, v16
	v_cmp_eq_u32_e32 vcc, 1, v32
	v_mov_b32_e32 v25, v12
	v_mov_b32_e32 v16, v33
	;; [unrolled: 1-line block ×3, first 2 shown]
	s_and_saveexec_b64 s[4:5], vcc
; %bb.53:                               ;   in Loop: Header=BB118_3 Depth=1
	v_mov_b32_e32 v25, v13
	v_mov_b32_e32 v16, v12
	;; [unrolled: 1-line block ×4, first 2 shown]
; %bb.54:                               ;   in Loop: Header=BB118_3 Depth=1
	s_or_b64 exec, exec, s[4:5]
	v_mov_b32_e32 v12, v17
	v_mov_b32_e32 v13, v19
.LBB118_55:                             ;   in Loop: Header=BB118_3 Depth=1
	s_or_b64 exec, exec, s[2:3]
	v_min_i32_e32 v17, 4, v31
	v_cmp_lt_i32_e32 vcc, 2, v17
	s_mov_b64 s[4:5], 0
	s_mov_b64 s[52:53], 0
	;; [unrolled: 1-line block ×3, first 2 shown]
                                        ; implicit-def: $sgpr44_sgpr45
                                        ; implicit-def: $sgpr46_sgpr47
                                        ; implicit-def: $sgpr48_sgpr49
	s_and_saveexec_b64 s[2:3], vcc
	s_xor_b64 s[50:51], exec, s[2:3]
	s_cbranch_execz .LBB118_67
; %bb.56:                               ;   in Loop: Header=BB118_3 Depth=1
	v_cmp_lt_i32_e32 vcc, 3, v17
	s_mov_b64 s[2:3], -1
	s_mov_b64 s[54:55], 0
                                        ; implicit-def: $sgpr42_sgpr43
                                        ; implicit-def: $sgpr44_sgpr45
	s_and_saveexec_b64 s[46:47], vcc
	s_cbranch_execz .LBB118_62
; %bb.57:                               ;   in Loop: Header=BB118_3 Depth=1
	v_cmp_eq_u32_e32 vcc, 4, v17
	s_mov_b64 s[2:3], 0
	s_mov_b64 s[54:55], -1
                                        ; implicit-def: $sgpr42_sgpr43
                                        ; implicit-def: $sgpr44_sgpr45
	s_and_saveexec_b64 s[48:49], vcc
	s_cbranch_execz .LBB118_61
; %bb.58:                               ;   in Loop: Header=BB118_3 Depth=1
	s_waitcnt vmcnt(0)
	v_cmp_le_f32_e32 vcc, 0, v11
	v_cmp_ge_f32_e64 s[2:3], 1.0, v11
	s_and_b64 s[54:55], vcc, s[2:3]
	s_mov_b64 s[42:43], 0
	s_mov_b64 s[2:3], 0
	s_and_saveexec_b64 s[44:45], s[54:55]
	s_cbranch_execz .LBB118_60
; %bb.59:                               ;   in Loop: Header=BB118_3 Depth=1
	v_cvt_f32_u32_e32 v18, v25
	v_mov_b32_e32 v19, 0x2f800000
	s_waitcnt lgkmcnt(0)
	v_mov_b32_e32 v20, s15
	v_add_co_u32_e32 v14, vcc, s14, v14
	v_fmac_f32_e32 v19, 0x2f800000, v18
	v_addc_co_u32_e32 v15, vcc, v20, v15, vcc
	v_cmp_le_f32_e32 vcc, v19, v11
	s_mov_b64 s[2:3], exec
	v_cndmask_b32_e64 v11, 0, 1, vcc
	global_store_byte v[14:15], v11, off
.LBB118_60:                             ;   in Loop: Header=BB118_3 Depth=1
	s_or_b64 exec, exec, s[44:45]
	s_mov_b64 s[44:45], -1
	s_xor_b64 s[54:55], exec, -1
	s_and_b64 s[2:3], s[2:3], exec
.LBB118_61:                             ;   in Loop: Header=BB118_3 Depth=1
	s_or_b64 exec, exec, s[48:49]
	s_and_b64 s[54:55], s[54:55], exec
	s_orn2_b64 s[2:3], s[2:3], exec
.LBB118_62:                             ;   in Loop: Header=BB118_3 Depth=1
	s_or_b64 exec, exec, s[46:47]
	s_mov_b64 s[48:49], s[42:43]
	s_and_saveexec_b64 s[46:47], s[2:3]
	s_cbranch_execz .LBB118_66
; %bb.63:                               ;   in Loop: Header=BB118_3 Depth=1
	s_waitcnt vmcnt(1)
	v_cmp_le_f32_e32 vcc, 0, v9
	v_cmp_ge_f32_e64 s[2:3], 1.0, v9
	s_and_b64 s[48:49], vcc, s[2:3]
	s_mov_b64 s[2:3], 0
	s_and_saveexec_b64 s[52:53], s[48:49]
	s_xor_b64 s[48:49], exec, s[52:53]
	s_cbranch_execz .LBB118_65
; %bb.64:                               ;   in Loop: Header=BB118_3 Depth=1
	s_waitcnt vmcnt(0)
	v_cvt_f32_u32_e32 v11, v16
	v_mov_b32_e32 v14, 0x2f800000
	s_mov_b64 s[2:3], exec
	v_fmac_f32_e32 v14, 0x2f800000, v11
	v_cmp_le_f32_e32 vcc, v14, v9
	v_cndmask_b32_e64 v9, 0, 1, vcc
	s_waitcnt lgkmcnt(0)
	global_store_byte v10, v9, s[14:15]
.LBB118_65:                             ;   in Loop: Header=BB118_3 Depth=1
	s_or_b64 exec, exec, s[48:49]
	s_andn2_b64 s[48:49], s[42:43], exec
	s_or_b64 s[42:43], s[42:43], exec
	s_andn2_b64 s[44:45], s[44:45], exec
	s_and_b64 s[52:53], s[2:3], exec
.LBB118_66:                             ;   in Loop: Header=BB118_3 Depth=1
	s_or_b64 exec, exec, s[46:47]
	s_and_b64 s[48:49], s[48:49], exec
	s_and_b64 s[46:47], s[42:43], exec
	;; [unrolled: 1-line block ×5, first 2 shown]
.LBB118_67:                             ;   in Loop: Header=BB118_3 Depth=1
	s_andn2_saveexec_b64 s[2:3], s[50:51]
; %bb.68:                               ;   in Loop: Header=BB118_3 Depth=1
	v_cmp_lt_i32_e32 vcc, 1, v17
	s_andn2_b64 s[50:51], s[52:53], exec
	s_and_b64 s[52:53], vcc, exec
	s_mov_b64 s[4:5], exec
	s_andn2_b64 s[48:49], s[48:49], exec
	s_andn2_b64 s[46:47], s[46:47], exec
	;; [unrolled: 1-line block ×3, first 2 shown]
	s_or_b64 s[52:53], s[50:51], s[52:53]
; %bb.69:                               ;   in Loop: Header=BB118_3 Depth=1
	s_or_b64 exec, exec, s[2:3]
	s_mov_b64 s[2:3], 0
	s_mov_b64 s[50:51], s[48:49]
	s_and_saveexec_b64 s[54:55], s[52:53]
	s_cbranch_execnz .LBB118_72
; %bb.70:                               ;   in Loop: Header=BB118_3 Depth=1
	s_or_b64 exec, exec, s[54:55]
	s_and_saveexec_b64 s[52:53], s[4:5]
	s_cbranch_execnz .LBB118_75
.LBB118_71:                             ;   in Loop: Header=BB118_3 Depth=1
	s_or_b64 exec, exec, s[52:53]
	s_and_saveexec_b64 s[4:5], s[2:3]
	s_cbranch_execnz .LBB118_76
	s_branch .LBB118_79
.LBB118_72:                             ;   in Loop: Header=BB118_3 Depth=1
	s_waitcnt vmcnt(2)
	v_cmp_le_f32_e32 vcc, 0, v7
	v_cmp_ge_f32_e64 s[2:3], 1.0, v7
	s_and_b64 s[50:51], vcc, s[2:3]
	s_mov_b64 s[2:3], 0
	s_and_saveexec_b64 s[52:53], s[50:51]
	s_xor_b64 s[50:51], exec, s[52:53]
	s_cbranch_execz .LBB118_74
; %bb.73:                               ;   in Loop: Header=BB118_3 Depth=1
	s_waitcnt vmcnt(1)
	v_cvt_f32_u32_e32 v9, v13
	v_mov_b32_e32 v10, 0x2f800000
	s_mov_b64 s[2:3], exec
	v_fmac_f32_e32 v10, 0x2f800000, v9
	v_cmp_le_f32_e32 vcc, v10, v7
	v_cndmask_b32_e64 v7, 0, 1, vcc
	s_waitcnt lgkmcnt(0)
	global_store_byte v8, v7, s[14:15]
.LBB118_74:                             ;   in Loop: Header=BB118_3 Depth=1
	s_or_b64 exec, exec, s[50:51]
	s_andn2_b64 s[50:51], s[48:49], exec
	s_or_b64 s[48:49], s[48:49], exec
	s_andn2_b64 s[46:47], s[46:47], exec
	s_andn2_b64 s[44:45], s[44:45], exec
	s_and_b64 s[2:3], s[2:3], exec
	s_andn2_b64 s[4:5], s[4:5], exec
	s_or_b64 exec, exec, s[54:55]
	s_and_saveexec_b64 s[52:53], s[4:5]
	s_cbranch_execz .LBB118_71
.LBB118_75:                             ;   in Loop: Header=BB118_3 Depth=1
	v_cmp_eq_u32_e32 vcc, 1, v17
	s_andn2_b64 s[2:3], s[2:3], exec
	s_and_b64 s[4:5], vcc, exec
	s_andn2_b64 s[50:51], s[50:51], exec
	s_andn2_b64 s[48:49], s[48:49], exec
	s_andn2_b64 s[46:47], s[46:47], exec
	s_andn2_b64 s[44:45], s[44:45], exec
	s_or_b64 s[42:43], s[42:43], exec
	s_or_b64 s[2:3], s[2:3], s[4:5]
	s_or_b64 exec, exec, s[52:53]
	s_and_saveexec_b64 s[4:5], s[2:3]
	s_cbranch_execz .LBB118_79
.LBB118_76:                             ;   in Loop: Header=BB118_3 Depth=1
	s_waitcnt vmcnt(3)
	v_cmp_le_f32_e32 vcc, 0, v2
	v_cmp_ge_f32_e64 s[2:3], 1.0, v2
	s_and_b64 s[54:55], vcc, s[2:3]
	s_mov_b64 s[2:3], 0
	s_and_saveexec_b64 s[52:53], s[54:55]
	s_cbranch_execz .LBB118_78
; %bb.77:                               ;   in Loop: Header=BB118_3 Depth=1
	s_waitcnt vmcnt(2)
	v_cvt_f32_u32_e32 v7, v12
	v_mov_b32_e32 v8, 0x2f800000
	s_mov_b64 s[2:3], exec
	v_fmac_f32_e32 v8, 0x2f800000, v7
	v_cmp_le_f32_e32 vcc, v8, v2
	v_cndmask_b32_e64 v2, 0, 1, vcc
	s_waitcnt lgkmcnt(0)
	global_store_byte v6, v2, s[14:15]
.LBB118_78:                             ;   in Loop: Header=BB118_3 Depth=1
	s_or_b64 exec, exec, s[52:53]
	s_andn2_b64 s[42:43], s[42:43], exec
	s_and_b64 s[2:3], s[2:3], exec
	s_or_b64 s[50:51], s[50:51], exec
	s_andn2_b64 s[48:49], s[48:49], exec
	s_andn2_b64 s[46:47], s[46:47], exec
	;; [unrolled: 1-line block ×3, first 2 shown]
	s_or_b64 s[42:43], s[42:43], s[2:3]
.LBB118_79:                             ;   in Loop: Header=BB118_3 Depth=1
	s_or_b64 exec, exec, s[4:5]
	s_andn2_b64 s[4:5], s[40:41], exec
	s_and_b64 s[40:41], s[50:51], exec
	s_or_b64 s[40:41], s[4:5], s[40:41]
	s_andn2_b64 s[4:5], s[38:39], exec
	s_and_b64 s[38:39], s[48:49], exec
	s_or_b64 s[38:39], s[4:5], s[38:39]
	;; [unrolled: 3-line block ×3, first 2 shown]
	s_andn2_b64 s[4:5], s[34:35], exec
	s_and_b64 s[34:35], s[44:45], exec
	s_mov_b64 s[2:3], -1
	s_or_b64 s[34:35], s[4:5], s[34:35]
	s_and_saveexec_b64 s[4:5], s[42:43]
	s_cbranch_execz .LBB118_2
; %bb.80:                               ;   in Loop: Header=BB118_3 Depth=1
	v_add_u32_e32 v30, s59, v30
	v_cmp_le_u32_e32 vcc, s33, v30
	s_andn2_b64 s[40:41], s[40:41], exec
	s_andn2_b64 s[38:39], s[38:39], exec
	;; [unrolled: 1-line block ×4, first 2 shown]
	s_orn2_b64 s[2:3], vcc, exec
	s_branch .LBB118_2
.LBB118_81:
	s_or_b64 exec, exec, s[24:25]
	s_xor_b64 s[6:7], s[30:31], -1
	s_xor_b64 s[8:9], s[28:29], -1
	;; [unrolled: 1-line block ×3, first 2 shown]
	s_mov_b64 s[2:3], 0
	s_and_saveexec_b64 s[4:5], s[0:1]
	s_xor_b64 s[0:1], exec, s[4:5]
	s_cbranch_execnz .LBB118_86
; %bb.82:
	s_andn2_saveexec_b64 s[0:1], s[0:1]
	s_cbranch_execnz .LBB118_94
.LBB118_83:
	s_or_b64 exec, exec, s[0:1]
	s_and_b64 exec, exec, s[2:3]
.LBB118_84:
	; divergent unreachable
.LBB118_85:
	s_endpgm
.LBB118_86:
	s_mov_b64 s[4:5], 0
	s_and_saveexec_b64 s[2:3], s[8:9]
	s_xor_b64 s[2:3], exec, s[2:3]
	s_cbranch_execz .LBB118_92
; %bb.87:
	s_and_saveexec_b64 s[8:9], s[6:7]
	s_xor_b64 s[6:7], exec, s[8:9]
	s_cbranch_execz .LBB118_90
; %bb.88:
	s_and_saveexec_b64 s[8:9], s[18:19]
	s_xor_b64 s[8:9], exec, s[8:9]
	s_cbranch_execnz .LBB118_97
.LBB118_89:
	s_or_b64 exec, exec, s[8:9]
	s_and_b64 s[4:5], s[4:5], exec
.LBB118_90:
	s_andn2_saveexec_b64 s[6:7], s[6:7]
	s_cbranch_execnz .LBB118_96
.LBB118_91:
	s_or_b64 exec, exec, s[6:7]
	s_and_b64 s[4:5], s[4:5], exec
.LBB118_92:
	s_andn2_saveexec_b64 s[2:3], s[2:3]
	s_cbranch_execnz .LBB118_95
.LBB118_93:
	s_or_b64 exec, exec, s[2:3]
	s_and_b64 s[2:3], s[4:5], exec
	s_andn2_saveexec_b64 s[0:1], s[0:1]
	s_cbranch_execz .LBB118_83
.LBB118_94:
	s_or_b64 s[2:3], s[2:3], exec
	s_trap 2
	s_or_b64 exec, exec, s[0:1]
	s_and_b64 exec, exec, s[2:3]
	s_cbranch_execnz .LBB118_84
	s_branch .LBB118_85
.LBB118_95:
	s_or_b64 s[4:5], s[4:5], exec
	s_trap 2
	s_branch .LBB118_93
.LBB118_96:
	s_trap 2
	s_or_b64 s[4:5], s[4:5], exec
	s_branch .LBB118_91
.LBB118_97:
	s_mov_b64 s[4:5], exec
	s_trap 2
	s_branch .LBB118_89
	.section	.rodata,"a",@progbits
	.p2align	6, 0x0
	.amdhsa_kernel _ZN2at4cuda12_GLOBAL__N_121kernelPointwiseApply2IZNS_6native9templates4cuda28bernoulli_tensor_cuda_kernelIbfEEvRKNS_10TensorBaseES9_NS_15PhiloxCudaStateEEUliRbSB_SB_SB_RKfSD_SD_SD_E_bSC_jLin1ELin1ELi4ELi512ELi2EEEvNS0_6detail10TensorInfoIT0_T2_EENSG_IT1_SI_EESI_T_
		.amdhsa_group_segment_fixed_size 0
		.amdhsa_private_segment_fixed_size 0
		.amdhsa_kernarg_size 728
		.amdhsa_user_sgpr_count 6
		.amdhsa_user_sgpr_private_segment_buffer 1
		.amdhsa_user_sgpr_dispatch_ptr 0
		.amdhsa_user_sgpr_queue_ptr 0
		.amdhsa_user_sgpr_kernarg_segment_ptr 1
		.amdhsa_user_sgpr_dispatch_id 0
		.amdhsa_user_sgpr_flat_scratch_init 0
		.amdhsa_user_sgpr_kernarg_preload_length 0
		.amdhsa_user_sgpr_kernarg_preload_offset 0
		.amdhsa_user_sgpr_private_segment_size 0
		.amdhsa_uses_dynamic_stack 0
		.amdhsa_system_sgpr_private_segment_wavefront_offset 0
		.amdhsa_system_sgpr_workgroup_id_x 1
		.amdhsa_system_sgpr_workgroup_id_y 0
		.amdhsa_system_sgpr_workgroup_id_z 0
		.amdhsa_system_sgpr_workgroup_info 0
		.amdhsa_system_vgpr_workitem_id 0
		.amdhsa_next_free_vgpr 50
		.amdhsa_next_free_sgpr 64
		.amdhsa_accum_offset 52
		.amdhsa_reserve_vcc 1
		.amdhsa_reserve_flat_scratch 0
		.amdhsa_float_round_mode_32 0
		.amdhsa_float_round_mode_16_64 0
		.amdhsa_float_denorm_mode_32 3
		.amdhsa_float_denorm_mode_16_64 3
		.amdhsa_dx10_clamp 1
		.amdhsa_ieee_mode 1
		.amdhsa_fp16_overflow 0
		.amdhsa_tg_split 0
		.amdhsa_exception_fp_ieee_invalid_op 0
		.amdhsa_exception_fp_denorm_src 0
		.amdhsa_exception_fp_ieee_div_zero 0
		.amdhsa_exception_fp_ieee_overflow 0
		.amdhsa_exception_fp_ieee_underflow 0
		.amdhsa_exception_fp_ieee_inexact 0
		.amdhsa_exception_int_div_zero 0
	.end_amdhsa_kernel
	.section	.text._ZN2at4cuda12_GLOBAL__N_121kernelPointwiseApply2IZNS_6native9templates4cuda28bernoulli_tensor_cuda_kernelIbfEEvRKNS_10TensorBaseES9_NS_15PhiloxCudaStateEEUliRbSB_SB_SB_RKfSD_SD_SD_E_bSC_jLin1ELin1ELi4ELi512ELi2EEEvNS0_6detail10TensorInfoIT0_T2_EENSG_IT1_SI_EESI_T_,"axG",@progbits,_ZN2at4cuda12_GLOBAL__N_121kernelPointwiseApply2IZNS_6native9templates4cuda28bernoulli_tensor_cuda_kernelIbfEEvRKNS_10TensorBaseES9_NS_15PhiloxCudaStateEEUliRbSB_SB_SB_RKfSD_SD_SD_E_bSC_jLin1ELin1ELi4ELi512ELi2EEEvNS0_6detail10TensorInfoIT0_T2_EENSG_IT1_SI_EESI_T_,comdat
.Lfunc_end118:
	.size	_ZN2at4cuda12_GLOBAL__N_121kernelPointwiseApply2IZNS_6native9templates4cuda28bernoulli_tensor_cuda_kernelIbfEEvRKNS_10TensorBaseES9_NS_15PhiloxCudaStateEEUliRbSB_SB_SB_RKfSD_SD_SD_E_bSC_jLin1ELin1ELi4ELi512ELi2EEEvNS0_6detail10TensorInfoIT0_T2_EENSG_IT1_SI_EESI_T_, .Lfunc_end118-_ZN2at4cuda12_GLOBAL__N_121kernelPointwiseApply2IZNS_6native9templates4cuda28bernoulli_tensor_cuda_kernelIbfEEvRKNS_10TensorBaseES9_NS_15PhiloxCudaStateEEUliRbSB_SB_SB_RKfSD_SD_SD_E_bSC_jLin1ELin1ELi4ELi512ELi2EEEvNS0_6detail10TensorInfoIT0_T2_EENSG_IT1_SI_EESI_T_
                                        ; -- End function
	.section	.AMDGPU.csdata,"",@progbits
; Kernel info:
; codeLenInByte = 4412
; NumSgprs: 68
; NumVgprs: 50
; NumAgprs: 0
; TotalNumVgprs: 50
; ScratchSize: 0
; MemoryBound: 0
; FloatMode: 240
; IeeeMode: 1
; LDSByteSize: 0 bytes/workgroup (compile time only)
; SGPRBlocks: 8
; VGPRBlocks: 6
; NumSGPRsForWavesPerEU: 68
; NumVGPRsForWavesPerEU: 50
; AccumOffset: 52
; Occupancy: 8
; WaveLimiterHint : 1
; COMPUTE_PGM_RSRC2:SCRATCH_EN: 0
; COMPUTE_PGM_RSRC2:USER_SGPR: 6
; COMPUTE_PGM_RSRC2:TRAP_HANDLER: 0
; COMPUTE_PGM_RSRC2:TGID_X_EN: 1
; COMPUTE_PGM_RSRC2:TGID_Y_EN: 0
; COMPUTE_PGM_RSRC2:TGID_Z_EN: 0
; COMPUTE_PGM_RSRC2:TIDIG_COMP_CNT: 0
; COMPUTE_PGM_RSRC3_GFX90A:ACCUM_OFFSET: 12
; COMPUTE_PGM_RSRC3_GFX90A:TG_SPLIT: 0
	.section	.text._ZN2at4cuda12_GLOBAL__N_121kernelPointwiseApply2IZNS_6native9templates4cuda28bernoulli_tensor_cuda_kernelIbfEEvRKNS_10TensorBaseES9_NS_15PhiloxCudaStateEEUliRbSB_SB_SB_RKfSD_SD_SD_E_bSC_mLi1ELi1ELi4ELi512ELi2EEEvNS0_6detail10TensorInfoIT0_T2_EENSG_IT1_SI_EESI_T_,"axG",@progbits,_ZN2at4cuda12_GLOBAL__N_121kernelPointwiseApply2IZNS_6native9templates4cuda28bernoulli_tensor_cuda_kernelIbfEEvRKNS_10TensorBaseES9_NS_15PhiloxCudaStateEEUliRbSB_SB_SB_RKfSD_SD_SD_E_bSC_mLi1ELi1ELi4ELi512ELi2EEEvNS0_6detail10TensorInfoIT0_T2_EENSG_IT1_SI_EESI_T_,comdat
	.globl	_ZN2at4cuda12_GLOBAL__N_121kernelPointwiseApply2IZNS_6native9templates4cuda28bernoulli_tensor_cuda_kernelIbfEEvRKNS_10TensorBaseES9_NS_15PhiloxCudaStateEEUliRbSB_SB_SB_RKfSD_SD_SD_E_bSC_mLi1ELi1ELi4ELi512ELi2EEEvNS0_6detail10TensorInfoIT0_T2_EENSG_IT1_SI_EESI_T_ ; -- Begin function _ZN2at4cuda12_GLOBAL__N_121kernelPointwiseApply2IZNS_6native9templates4cuda28bernoulli_tensor_cuda_kernelIbfEEvRKNS_10TensorBaseES9_NS_15PhiloxCudaStateEEUliRbSB_SB_SB_RKfSD_SD_SD_E_bSC_mLi1ELi1ELi4ELi512ELi2EEEvNS0_6detail10TensorInfoIT0_T2_EENSG_IT1_SI_EESI_T_
	.p2align	8
	.type	_ZN2at4cuda12_GLOBAL__N_121kernelPointwiseApply2IZNS_6native9templates4cuda28bernoulli_tensor_cuda_kernelIbfEEvRKNS_10TensorBaseES9_NS_15PhiloxCudaStateEEUliRbSB_SB_SB_RKfSD_SD_SD_E_bSC_mLi1ELi1ELi4ELi512ELi2EEEvNS0_6detail10TensorInfoIT0_T2_EENSG_IT1_SI_EESI_T_,@function
_ZN2at4cuda12_GLOBAL__N_121kernelPointwiseApply2IZNS_6native9templates4cuda28bernoulli_tensor_cuda_kernelIbfEEvRKNS_10TensorBaseES9_NS_15PhiloxCudaStateEEUliRbSB_SB_SB_RKfSD_SD_SD_E_bSC_mLi1ELi1ELi4ELi512ELi2EEEvNS0_6detail10TensorInfoIT0_T2_EENSG_IT1_SI_EESI_T_: ; @_ZN2at4cuda12_GLOBAL__N_121kernelPointwiseApply2IZNS_6native9templates4cuda28bernoulli_tensor_cuda_kernelIbfEEvRKNS_10TensorBaseES9_NS_15PhiloxCudaStateEEUliRbSB_SB_SB_RKfSD_SD_SD_E_bSC_mLi1ELi1ELi4ELi512ELi2EEEvNS0_6detail10TensorInfoIT0_T2_EENSG_IT1_SI_EESI_T_
; %bb.0:
	s_load_dword s2, s[4:5], 0x374
	s_load_dwordx8 s[12:19], s[4:5], 0x340
	s_add_u32 s0, s4, 0x368
	s_addc_u32 s1, s5, 0
	v_mov_b32_e32 v1, 0
	s_waitcnt lgkmcnt(0)
	s_and_b32 s2, s2, 0xffff
	s_mul_i32 s6, s6, s2
	v_add_u32_e32 v5, s6, v0
	v_lshlrev_b32_e32 v0, 2, v5
	v_cmp_gt_u64_e32 vcc, s[12:13], v[0:1]
	s_and_saveexec_b64 s[6:7], vcc
	s_cbranch_execz .LBB119_43
; %bb.1:
	s_load_dword s3, s[0:1], 0x0
	s_load_dword s22, s[4:5], 0x360
	s_load_dwordx2 s[10:11], s[4:5], 0x0
	s_load_dwordx2 s[6:7], s[4:5], 0xd0
	;; [unrolled: 1-line block ×4, first 2 shown]
	s_waitcnt lgkmcnt(0)
	s_mul_i32 s3, s3, s2
	s_bitcmp1_b32 s22, 0
	s_mov_b32 s33, 0xcd9e8d57
	v_pk_mov_b32 v[6:7], s[6:7], s[6:7] op_sel:[0,1]
	s_cselect_b64 s[22:23], -1, 0
	v_mad_u64_u32 v[2:3], s[0:1], v5, s33, 0
	s_lshl_b32 s60, s3, 2
	v_mad_u64_u32 v[6:7], s[0:1], s6, v0, v[6:7]
	s_mul_i32 s0, s7, s60
	s_mul_hi_u32 s1, s6, s60
	v_add_co_u32_e32 v16, vcc, 2, v0
	s_add_i32 s62, s1, s0
	v_addc_co_u32_e64 v17, s[0:1], 0, 0, vcc
	v_add_co_u32_e32 v18, vcc, 3, v0
	v_mul_lo_u32 v10, s7, v16
	v_mul_lo_u32 v11, s6, v17
	v_mad_u64_u32 v[8:9], s[0:1], s6, v16, 0
	v_addc_co_u32_e64 v19, s[0:1], 0, 0, vcc
	v_add3_u32 v9, v9, v11, v10
	v_mul_lo_u32 v12, s7, v18
	v_mul_lo_u32 v13, s6, v19
	v_mad_u64_u32 v[10:11], s[0:1], s6, v18, 0
	v_mul_lo_u32 v14, s7, v0
	v_add3_u32 v11, v11, v13, v12
	v_mad_u64_u32 v[12:13], s[0:1], s6, v0, 0
	v_add_u32_e32 v7, v14, v7
	v_add_u32_e32 v13, v13, v14
	v_pk_mov_b32 v[14:15], s[8:9], s[8:9] op_sel:[0,1]
	v_mad_u64_u32 v[14:15], s[0:1], s8, v0, v[14:15]
	s_mul_i32 s0, s9, s60
	s_mul_hi_u32 s1, s8, s60
	s_add_i32 s64, s1, s0
	v_mul_lo_u32 v20, s9, v16
	v_mul_lo_u32 v21, s8, v17
	v_mad_u64_u32 v[16:17], s[0:1], s8, v16, 0
	v_add3_u32 v17, v17, v21, v20
	v_mul_lo_u32 v20, s9, v18
	v_mul_lo_u32 v21, s8, v19
	v_mad_u64_u32 v[18:19], s[0:1], s8, v18, 0
	v_mul_lo_u32 v22, s9, v0
	v_add3_u32 v19, v19, v21, v20
	v_mad_u64_u32 v[20:21], s[0:1], s8, v0, 0
	v_mov_b32_e32 v4, v3
	s_mov_b32 s61, 0
	v_sub_u32_e32 v3, s12, v0
	s_mul_i32 s63, s6, s60
	v_add_u32_e32 v15, v22, v15
	s_mul_i32 s65, s8, s60
	v_add_u32_e32 v21, v21, v22
	s_mov_b64 s[26:27], 0
	s_mov_b32 s66, 0xd2511f53
	v_mov_b32_e32 v38, s21
	s_mov_b32 s21, 0xf1bbcdc8
	s_mov_b64 s[42:43], 0
	s_mov_b64 s[46:47], 0
                                        ; implicit-def: $sgpr28_sgpr29
                                        ; implicit-def: $sgpr30_sgpr31
                                        ; implicit-def: $sgpr34_sgpr35
                                        ; implicit-def: $sgpr24_sgpr25
                                        ; implicit-def: $sgpr36_sgpr37
                                        ; implicit-def: $sgpr38_sgpr39
                                        ; implicit-def: $sgpr40_sgpr41
                                        ; implicit-def: $sgpr44_sgpr45
	s_branch .LBB119_3
.LBB119_2:                              ;   in Loop: Header=BB119_3 Depth=1
	s_or_b64 exec, exec, s[2:3]
	s_and_b64 s[0:1], exec, s[0:1]
	s_or_b64 s[26:27], s[0:1], s[26:27]
	s_andn2_b64 s[0:1], s[24:25], exec
	s_and_b64 s[2:3], s[44:45], exec
	s_or_b64 s[24:25], s[0:1], s[2:3]
	s_andn2_b64 s[0:1], s[34:35], exec
	s_and_b64 s[2:3], s[40:41], exec
	;; [unrolled: 3-line block ×4, first 2 shown]
	s_or_b64 s[28:29], s[0:1], s[2:3]
	s_andn2_b64 exec, exec, s[26:27]
	s_cbranch_execz .LBB119_39
.LBB119_3:                              ; =>This Inner Loop Header: Depth=1
	v_mov_b32_e32 v28, s43
	v_add_co_u32_e32 v22, vcc, s42, v20
	v_addc_co_u32_e32 v23, vcc, v21, v28, vcc
	v_add_co_u32_e32 v24, vcc, s42, v14
	v_addc_co_u32_e32 v25, vcc, v15, v28, vcc
	v_add_co_u32_e32 v26, vcc, s42, v16
	v_cmp_lt_i32_e64 s[0:1], 0, v3
	v_addc_co_u32_e32 v27, vcc, v17, v28, vcc
	v_cndmask_b32_e64 v23, 0, v23, s[0:1]
	v_cndmask_b32_e64 v22, 0, v22, s[0:1]
	v_add_co_u32_e32 v30, vcc, s42, v18
	v_cmp_lt_i32_e64 s[2:3], 1, v3
	v_addc_co_u32_e32 v28, vcc, v19, v28, vcc
	v_lshlrev_b64 v[22:23], 2, v[22:23]
	v_cndmask_b32_e64 v25, 0, v25, s[2:3]
	v_cndmask_b32_e64 v24, 0, v24, s[2:3]
	v_add_co_u32_e32 v22, vcc, s20, v22
	v_cmp_lt_i32_e64 s[4:5], 2, v3
	v_addc_co_u32_e32 v23, vcc, v38, v23, vcc
	v_lshlrev_b64 v[24:25], 2, v[24:25]
	;; [unrolled: 6-line block ×3, first 2 shown]
	v_cndmask_b32_e64 v29, 0, v28, s[6:7]
	v_cndmask_b32_e64 v28, 0, v30, s[6:7]
	v_add_co_u32_e32 v26, vcc, s20, v26
	v_addc_co_u32_e32 v27, vcc, v38, v27, vcc
	v_lshlrev_b64 v[28:29], 2, v[28:29]
	v_add_co_u32_e32 v28, vcc, s20, v28
	v_addc_co_u32_e32 v29, vcc, v38, v29, vcc
	global_load_dword v39, v[22:23], off
	global_load_dword v40, v[24:25], off
	;; [unrolled: 1-line block ×4, first 2 shown]
	s_andn2_b64 vcc, exec, s[22:23]
	v_pk_mov_b32 v[22:23], s[16:17], s[16:17] op_sel:[0,1]
	v_pk_mov_b32 v[24:25], s[14:15], s[14:15] op_sel:[0,1]
	s_cbranch_vccnz .LBB119_5
; %bb.4:                                ;   in Loop: Header=BB119_3 Depth=1
	v_pk_mov_b32 v[22:23], s[16:17], s[16:17] op_sel:[0,1]
	flat_load_dwordx2 v[22:23], v[22:23]
	v_pk_mov_b32 v[24:25], s[14:15], s[14:15] op_sel:[0,1]
	flat_load_dwordx2 v[24:25], v[24:25]
	v_mov_b32_e32 v26, s19
	s_waitcnt vmcnt(0) lgkmcnt(0)
	v_add_co_u32_e32 v22, vcc, s18, v22
	v_addc_co_u32_e32 v23, vcc, v23, v26, vcc
.LBB119_5:                              ;   in Loop: Header=BB119_3 Depth=1
	v_alignbit_b32 v34, v23, v22, 2
	v_lshrrev_b32_e32 v35, 2, v23
	v_xor_b32_e32 v26, v4, v24
	v_and_b32_e32 v43, 3, v22
	v_mad_u64_u32 v[22:23], s[8:9], v34, s66, 0
	v_xor_b32_e32 v26, v26, v35
	v_xor_b32_e32 v23, v23, v25
	v_add_u32_e32 v48, 0xbb67ae85, v25
	v_mad_u64_u32 v[26:27], s[8:9], v26, s66, 0
	v_mad_u64_u32 v[28:29], s[8:9], v23, s33, 0
	v_xor_b32_e32 v27, v48, v27
	v_add_u32_e32 v47, 0x9e3779b9, v24
	v_xor_b32_e32 v23, v2, v29
	v_xor_b32_e32 v27, v27, v22
	v_xor_b32_e32 v23, v23, v47
	v_add_u32_e32 v49, 0x3c6ef372, v24
	v_mad_u64_u32 v[30:31], s[8:9], v27, s33, 0
	v_add_u32_e32 v50, 0x76cf5d0a, v25
	v_mad_u64_u32 v[22:23], s[8:9], v23, s66, 0
	v_xor_b32_e32 v27, v49, v31
	v_xor_b32_e32 v27, v27, v28
	v_xor_b32_e32 v23, v50, v23
	v_xor_b32_e32 v23, v23, v26
	v_add_u32_e32 v52, 0x32370b8f, v25
	v_mad_u64_u32 v[26:27], s[8:9], v27, s66, 0
	v_add_u32_e32 v51, 0xdaa66d2b, v24
	v_mad_u64_u32 v[28:29], s[8:9], v23, s33, 0
	v_xor_b32_e32 v27, v52, v27
	;; [unrolled: 8-line block ×5, first 2 shown]
	v_xor_b32_e32 v27, v27, v28
	v_xor_b32_e32 v23, v58, v23
	;; [unrolled: 1-line block ×3, first 2 shown]
	v_add_u32_e32 v60, 0x1fd5c5a3, v25
	v_mad_u64_u32 v[26:27], s[8:9], v27, s66, 0
	v_xor_b32_e32 v27, v60, v27
	v_xor_b32_e32 v22, v27, v22
	v_add_u32_e32 v59, 0x5384540f, v24
	v_mad_u64_u32 v[32:33], s[8:9], v23, s33, 0
	v_add_co_u32_e32 v45, vcc, s21, v24
	v_mad_u64_u32 v[28:29], s[8:9], v22, s33, 0
	v_xor_b32_e32 v23, v59, v33
	v_xor_b32_e32 v22, v45, v29
	;; [unrolled: 1-line block ×4, first 2 shown]
	v_mad_u64_u32 v[30:31], s[8:9], v23, s66, 0
	v_mad_u64_u32 v[22:23], s[8:9], v22, s66, 0
	v_add_u32_e32 v46, 0x96a522ad, v25
	v_xor_b32_e32 v23, v23, v30
	v_xor_b32_e32 v44, v46, v23
	v_add_co_u32_e32 v23, vcc, 1, v34
	v_cndmask_b32_e64 v30, 0, 1, vcc
	v_addc_co_u32_e32 v36, vcc, 0, v35, vcc
	v_cmp_eq_u32_e32 vcc, 0, v36
	v_cndmask_b32_e32 v30, 0, v30, vcc
	v_add_u32_e32 v34, v30, v5
	v_cmp_eq_u32_e32 vcc, 0, v34
	v_mad_u64_u32 v[32:33], s[8:9], v23, s66, 0
	v_mad_u64_u32 v[34:35], s[8:9], v34, s33, 0
	v_add_u32_e32 v29, 0x8ff34781, v24
	v_cndmask_b32_e32 v30, 0, v30, vcc
	v_xor_b32_e32 v23, v35, v24
	v_xor_b32_e32 v24, v33, v25
	;; [unrolled: 1-line block ×4, first 2 shown]
	v_mad_u64_u32 v[36:37], s[8:9], v30, s33, 0
	v_add_u32_e32 v27, 0xdb3d7428, v25
	v_mad_u64_u32 v[24:25], s[8:9], v23, s66, 0
	v_xor_b32_e32 v23, v47, v37
	v_xor_b32_e32 v23, v23, v34
	v_xor_b32_e32 v25, v48, v25
	v_xor_b32_e32 v25, v25, v32
	v_mad_u64_u32 v[32:33], s[8:9], v23, s66, 0
	v_mad_u64_u32 v[34:35], s[8:9], v25, s33, 0
	v_xor_b32_e32 v25, v50, v33
	v_xor_b32_e32 v23, v49, v35
	v_xor_b32_e32 v30, v25, v24
	v_xor_b32_e32 v23, v23, v36
	v_mad_u64_u32 v[36:37], s[8:9], v30, s33, 0
	;; [unrolled: 6-line block ×7, first 2 shown]
	v_xor_b32_e32 v23, v27, v35
	v_xor_b32_e32 v23, v23, v24
	v_mad_u64_u32 v[36:37], s[8:9], v25, s33, 0
	v_mad_u64_u32 v[24:25], s[8:9], v23, s33, 0
	v_xor_b32_e32 v23, v25, v36
	v_xor_b32_e32 v23, v29, v23
	v_cmp_lt_i32_e32 vcc, 1, v43
                                        ; implicit-def: $vgpr33
	s_and_saveexec_b64 s[8:9], vcc
	s_xor_b64 s[8:9], exec, s[8:9]
	s_cbranch_execz .LBB119_11
; %bb.6:                                ;   in Loop: Header=BB119_3 Depth=1
	v_cmp_lt_i32_e32 vcc, 2, v43
                                        ; implicit-def: $vgpr33
	s_and_saveexec_b64 s[48:49], vcc
	s_xor_b64 s[48:49], exec, s[48:49]
; %bb.7:                                ;   in Loop: Header=BB119_3 Depth=1
	v_xor_b32_e32 v25, v45, v37
	v_xor_b32_e32 v25, v25, v32
	v_mul_hi_u32 v25, v25, s66
	v_xor_b32_e32 v25, v25, v34
	v_xor_b32_e32 v33, v46, v25
                                        ; implicit-def: $vgpr44
; %bb.8:                                ;   in Loop: Header=BB119_3 Depth=1
	s_andn2_saveexec_b64 s[48:49], s[48:49]
; %bb.9:                                ;   in Loop: Header=BB119_3 Depth=1
	v_mov_b32_e32 v33, v24
	v_mov_b32_e32 v24, v23
	;; [unrolled: 1-line block ×4, first 2 shown]
; %bb.10:                               ;   in Loop: Header=BB119_3 Depth=1
	s_or_b64 exec, exec, s[48:49]
                                        ; implicit-def: $vgpr26_vgpr27
                                        ; implicit-def: $vgpr28_vgpr29
                                        ; implicit-def: $vgpr43
                                        ; implicit-def: $vgpr44
                                        ; implicit-def: $vgpr30_vgpr31
                                        ; implicit-def: $vgpr27
                                        ; implicit-def: $vgpr29
.LBB119_11:                             ;   in Loop: Header=BB119_3 Depth=1
	s_andn2_saveexec_b64 s[8:9], s[8:9]
	s_cbranch_execz .LBB119_15
; %bb.12:                               ;   in Loop: Header=BB119_3 Depth=1
	v_xor_b32_e32 v24, v27, v31
	v_xor_b32_e32 v24, v24, v26
	v_mad_u64_u32 v[26:27], s[48:49], v24, s33, 0
	v_xor_b32_e32 v24, v27, v28
	v_xor_b32_e32 v25, v29, v24
	v_cmp_eq_u32_e32 vcc, 1, v43
	v_mov_b32_e32 v33, v22
	v_mov_b32_e32 v24, v44
	;; [unrolled: 1-line block ×3, first 2 shown]
	s_and_saveexec_b64 s[48:49], vcc
; %bb.13:                               ;   in Loop: Header=BB119_3 Depth=1
	v_mov_b32_e32 v33, v23
	v_mov_b32_e32 v24, v22
	;; [unrolled: 1-line block ×4, first 2 shown]
; %bb.14:                               ;   in Loop: Header=BB119_3 Depth=1
	s_or_b64 exec, exec, s[48:49]
	v_mov_b32_e32 v22, v25
	v_mov_b32_e32 v23, v27
.LBB119_15:                             ;   in Loop: Header=BB119_3 Depth=1
	s_or_b64 exec, exec, s[8:9]
	v_min_i32_e32 v25, 4, v3
	v_cmp_lt_i32_e32 vcc, 2, v25
	s_mov_b64 s[48:49], 0
	s_mov_b64 s[56:57], 0
                                        ; implicit-def: $sgpr8_sgpr9
                                        ; implicit-def: $sgpr50_sgpr51
                                        ; implicit-def: $sgpr52_sgpr53
	s_and_saveexec_b64 s[54:55], vcc
	s_xor_b64 s[54:55], exec, s[54:55]
	s_cbranch_execz .LBB119_25
; %bb.16:                               ;   in Loop: Header=BB119_3 Depth=1
	v_cmp_lt_i32_e32 vcc, 3, v25
	s_mov_b64 s[52:53], -1
                                        ; implicit-def: $sgpr8_sgpr9
                                        ; implicit-def: $sgpr56_sgpr57
	s_and_saveexec_b64 s[50:51], vcc
	s_cbranch_execz .LBB119_20
; %bb.17:                               ;   in Loop: Header=BB119_3 Depth=1
	s_waitcnt vmcnt(0)
	v_cmp_le_f32_e32 vcc, 0, v42
	v_cmp_ge_f32_e64 s[8:9], 1.0, v42
	s_and_b64 s[58:59], vcc, s[8:9]
	s_mov_b64 s[8:9], 0
	s_mov_b64 s[52:53], 0
	s_and_saveexec_b64 s[56:57], s[58:59]
	s_cbranch_execz .LBB119_19
; %bb.18:                               ;   in Loop: Header=BB119_3 Depth=1
	v_cvt_f32_u32_e32 v26, v33
	v_mov_b32_e32 v28, 0x2f800000
	v_mov_b32_e32 v27, s47
	;; [unrolled: 1-line block ×3, first 2 shown]
	v_fmac_f32_e32 v28, 0x2f800000, v26
	v_add_co_u32_e32 v26, vcc, s46, v10
	v_addc_co_u32_e32 v27, vcc, v11, v27, vcc
	v_cndmask_b32_e64 v26, 0, v26, s[6:7]
	v_cndmask_b32_e64 v27, 0, v27, s[6:7]
	v_add_co_u32_e32 v26, vcc, s10, v26
	v_addc_co_u32_e32 v27, vcc, v29, v27, vcc
	v_cmp_le_f32_e32 vcc, v28, v42
	s_mov_b64 s[52:53], exec
	v_cndmask_b32_e64 v28, 0, 1, vcc
	global_store_byte v[26:27], v28, off
.LBB119_19:                             ;   in Loop: Header=BB119_3 Depth=1
	s_or_b64 exec, exec, s[56:57]
	s_mov_b64 s[56:57], -1
	s_orn2_b64 s[52:53], s[52:53], exec
.LBB119_20:                             ;   in Loop: Header=BB119_3 Depth=1
	s_or_b64 exec, exec, s[50:51]
	s_mov_b64 s[6:7], 0
	s_mov_b64 s[58:59], s[8:9]
	s_and_saveexec_b64 s[50:51], s[52:53]
	s_cbranch_execz .LBB119_24
; %bb.21:                               ;   in Loop: Header=BB119_3 Depth=1
	s_waitcnt vmcnt(1)
	v_cmp_le_f32_e32 vcc, 0, v41
	v_cmp_ge_f32_e64 s[6:7], 1.0, v41
	s_and_b64 s[52:53], vcc, s[6:7]
	s_mov_b64 s[6:7], 0
	s_and_saveexec_b64 s[58:59], s[52:53]
	s_xor_b64 s[52:53], exec, s[58:59]
	s_cbranch_execz .LBB119_23
; %bb.22:                               ;   in Loop: Header=BB119_3 Depth=1
	v_cvt_f32_u32_e32 v24, v24
	v_mov_b32_e32 v28, 0x2f800000
	v_mov_b32_e32 v26, s47
	;; [unrolled: 1-line block ×3, first 2 shown]
	v_fmac_f32_e32 v28, 0x2f800000, v24
	v_add_co_u32_e32 v24, vcc, s46, v8
	v_addc_co_u32_e32 v26, vcc, v9, v26, vcc
	v_cndmask_b32_e64 v24, 0, v24, s[4:5]
	v_cndmask_b32_e64 v27, 0, v26, s[4:5]
	v_add_co_u32_e32 v26, vcc, s10, v24
	v_addc_co_u32_e32 v27, vcc, v29, v27, vcc
	v_cmp_le_f32_e32 vcc, v28, v41
	v_cndmask_b32_e64 v24, 0, 1, vcc
	s_mov_b64 s[6:7], exec
	global_store_byte v[26:27], v24, off
.LBB119_23:                             ;   in Loop: Header=BB119_3 Depth=1
	s_or_b64 exec, exec, s[52:53]
	s_andn2_b64 s[58:59], s[8:9], exec
	s_or_b64 s[8:9], s[8:9], exec
	s_andn2_b64 s[56:57], s[56:57], exec
	s_and_b64 s[6:7], s[6:7], exec
.LBB119_24:                             ;   in Loop: Header=BB119_3 Depth=1
	s_or_b64 exec, exec, s[50:51]
	s_and_b64 s[52:53], s[58:59], exec
	s_and_b64 s[50:51], s[8:9], exec
	;; [unrolled: 1-line block ×4, first 2 shown]
.LBB119_25:                             ;   in Loop: Header=BB119_3 Depth=1
	s_andn2_saveexec_b64 s[4:5], s[54:55]
; %bb.26:                               ;   in Loop: Header=BB119_3 Depth=1
	v_cmp_lt_i32_e32 vcc, 1, v25
	s_andn2_b64 s[6:7], s[56:57], exec
	s_and_b64 s[54:55], vcc, exec
	s_mov_b64 s[48:49], exec
	s_andn2_b64 s[52:53], s[52:53], exec
	s_andn2_b64 s[50:51], s[50:51], exec
	;; [unrolled: 1-line block ×3, first 2 shown]
	s_or_b64 s[56:57], s[6:7], s[54:55]
; %bb.27:                               ;   in Loop: Header=BB119_3 Depth=1
	s_or_b64 exec, exec, s[4:5]
	s_mov_b64 s[6:7], 0
	s_mov_b64 s[54:55], 0
	s_mov_b64 s[4:5], s[52:53]
	s_and_saveexec_b64 s[58:59], s[56:57]
	s_cbranch_execnz .LBB119_30
; %bb.28:                               ;   in Loop: Header=BB119_3 Depth=1
	s_or_b64 exec, exec, s[58:59]
	s_and_saveexec_b64 s[2:3], s[48:49]
	s_cbranch_execnz .LBB119_33
.LBB119_29:                             ;   in Loop: Header=BB119_3 Depth=1
	s_or_b64 exec, exec, s[2:3]
	s_and_saveexec_b64 s[48:49], s[54:55]
	s_cbranch_execnz .LBB119_34
	s_branch .LBB119_37
.LBB119_30:                             ;   in Loop: Header=BB119_3 Depth=1
	s_waitcnt vmcnt(2)
	v_cmp_le_f32_e32 vcc, 0, v40
	v_cmp_ge_f32_e64 s[4:5], 1.0, v40
	s_and_b64 s[4:5], vcc, s[4:5]
	s_and_saveexec_b64 s[56:57], s[4:5]
	s_xor_b64 s[4:5], exec, s[56:57]
	s_cbranch_execz .LBB119_32
; %bb.31:                               ;   in Loop: Header=BB119_3 Depth=1
	v_cvt_f32_u32_e32 v23, v23
	v_mov_b32_e32 v24, 0x2f800000
	v_mov_b32_e32 v26, s47
	;; [unrolled: 1-line block ×3, first 2 shown]
	v_fmac_f32_e32 v24, 0x2f800000, v23
	v_add_co_u32_e32 v23, vcc, s46, v6
	v_addc_co_u32_e32 v26, vcc, v7, v26, vcc
	v_cndmask_b32_e64 v23, 0, v23, s[2:3]
	v_cndmask_b32_e64 v27, 0, v26, s[2:3]
	v_add_co_u32_e32 v26, vcc, s10, v23
	v_addc_co_u32_e32 v27, vcc, v28, v27, vcc
	v_cmp_le_f32_e32 vcc, v24, v40
	v_cndmask_b32_e64 v23, 0, 1, vcc
	s_mov_b64 s[54:55], exec
	global_store_byte v[26:27], v23, off
.LBB119_32:                             ;   in Loop: Header=BB119_3 Depth=1
	s_or_b64 exec, exec, s[4:5]
	s_andn2_b64 s[4:5], s[52:53], exec
	s_or_b64 s[52:53], s[52:53], exec
	s_andn2_b64 s[50:51], s[50:51], exec
	s_andn2_b64 s[8:9], s[8:9], exec
	s_and_b64 s[54:55], s[54:55], exec
	s_andn2_b64 s[48:49], s[48:49], exec
	s_or_b64 exec, exec, s[58:59]
	s_and_saveexec_b64 s[2:3], s[48:49]
	s_cbranch_execz .LBB119_29
.LBB119_33:                             ;   in Loop: Header=BB119_3 Depth=1
	v_cmp_eq_u32_e32 vcc, 1, v25
	s_andn2_b64 s[48:49], s[54:55], exec
	s_and_b64 s[54:55], vcc, exec
	s_mov_b64 s[6:7], exec
	s_andn2_b64 s[4:5], s[4:5], exec
	s_andn2_b64 s[52:53], s[52:53], exec
	;; [unrolled: 1-line block ×4, first 2 shown]
	s_or_b64 s[54:55], s[48:49], s[54:55]
	s_or_b64 exec, exec, s[2:3]
	s_and_saveexec_b64 s[48:49], s[54:55]
	s_cbranch_execz .LBB119_37
.LBB119_34:                             ;   in Loop: Header=BB119_3 Depth=1
	s_waitcnt vmcnt(3)
	v_cmp_le_f32_e32 vcc, 0, v39
	v_cmp_ge_f32_e64 s[2:3], 1.0, v39
	s_and_b64 s[56:57], vcc, s[2:3]
	s_mov_b64 s[2:3], 0
	s_and_saveexec_b64 s[54:55], s[56:57]
	s_cbranch_execz .LBB119_36
; %bb.35:                               ;   in Loop: Header=BB119_3 Depth=1
	v_cvt_f32_u32_e32 v22, v22
	v_mov_b32_e32 v24, 0x2f800000
	v_mov_b32_e32 v23, s47
	;; [unrolled: 1-line block ×3, first 2 shown]
	v_fmac_f32_e32 v24, 0x2f800000, v22
	v_add_co_u32_e32 v22, vcc, s46, v12
	v_addc_co_u32_e32 v23, vcc, v13, v23, vcc
	v_cndmask_b32_e64 v22, 0, v22, s[0:1]
	v_cndmask_b32_e64 v23, 0, v23, s[0:1]
	v_add_co_u32_e32 v22, vcc, s10, v22
	v_addc_co_u32_e32 v23, vcc, v25, v23, vcc
	v_cmp_le_f32_e32 vcc, v24, v39
	s_mov_b64 s[2:3], exec
	v_cndmask_b32_e64 v24, 0, 1, vcc
	global_store_byte v[22:23], v24, off
.LBB119_36:                             ;   in Loop: Header=BB119_3 Depth=1
	s_or_b64 exec, exec, s[54:55]
	s_andn2_b64 s[0:1], s[6:7], exec
	s_and_b64 s[2:3], s[2:3], exec
	s_or_b64 s[4:5], s[4:5], exec
	s_andn2_b64 s[52:53], s[52:53], exec
	s_andn2_b64 s[50:51], s[50:51], exec
	;; [unrolled: 1-line block ×3, first 2 shown]
	s_or_b64 s[6:7], s[0:1], s[2:3]
.LBB119_37:                             ;   in Loop: Header=BB119_3 Depth=1
	s_or_b64 exec, exec, s[48:49]
	s_andn2_b64 s[2:3], s[44:45], exec
	s_and_b64 s[4:5], s[4:5], exec
	s_or_b64 s[44:45], s[2:3], s[4:5]
	s_andn2_b64 s[2:3], s[40:41], exec
	s_and_b64 s[4:5], s[52:53], exec
	s_or_b64 s[40:41], s[2:3], s[4:5]
	;; [unrolled: 3-line block ×3, first 2 shown]
	s_andn2_b64 s[2:3], s[36:37], exec
	s_and_b64 s[4:5], s[8:9], exec
	s_mov_b64 s[0:1], -1
	s_or_b64 s[36:37], s[2:3], s[4:5]
	s_and_saveexec_b64 s[2:3], s[6:7]
	s_cbranch_execz .LBB119_2
; %bb.38:                               ;   in Loop: Header=BB119_3 Depth=1
	v_mov_b32_e32 v22, s61
	v_add_co_u32_e32 v0, vcc, s60, v0
	s_add_u32 s46, s46, s63
	v_addc_co_u32_e32 v1, vcc, v1, v22, vcc
	s_addc_u32 s47, s47, s62
	s_add_u32 s42, s42, s65
	v_cmp_le_u64_e32 vcc, s[12:13], v[0:1]
	v_subrev_u32_e32 v3, s60, v3
	s_addc_u32 s43, s43, s64
	s_andn2_b64 s[44:45], s[44:45], exec
	s_andn2_b64 s[40:41], s[40:41], exec
	;; [unrolled: 1-line block ×4, first 2 shown]
	s_orn2_b64 s[0:1], vcc, exec
	s_branch .LBB119_2
.LBB119_39:
	s_or_b64 exec, exec, s[26:27]
	s_xor_b64 s[6:7], s[34:35], -1
	s_xor_b64 s[8:9], s[30:31], -1
	;; [unrolled: 1-line block ×3, first 2 shown]
	s_mov_b64 s[2:3], 0
	s_and_saveexec_b64 s[4:5], s[0:1]
	s_xor_b64 s[0:1], exec, s[4:5]
	s_cbranch_execnz .LBB119_44
; %bb.40:
	s_andn2_saveexec_b64 s[0:1], s[0:1]
	s_cbranch_execnz .LBB119_52
.LBB119_41:
	s_or_b64 exec, exec, s[0:1]
	s_and_b64 exec, exec, s[2:3]
.LBB119_42:
	; divergent unreachable
.LBB119_43:
	s_endpgm
.LBB119_44:
	s_mov_b64 s[4:5], 0
	s_and_saveexec_b64 s[2:3], s[8:9]
	s_xor_b64 s[2:3], exec, s[2:3]
	s_cbranch_execz .LBB119_50
; %bb.45:
	s_and_saveexec_b64 s[8:9], s[6:7]
	s_xor_b64 s[6:7], exec, s[8:9]
	s_cbranch_execz .LBB119_48
; %bb.46:
	s_and_saveexec_b64 s[8:9], s[24:25]
	s_xor_b64 s[8:9], exec, s[8:9]
	s_cbranch_execnz .LBB119_55
.LBB119_47:
	s_or_b64 exec, exec, s[8:9]
	s_and_b64 s[4:5], s[4:5], exec
.LBB119_48:
	s_andn2_saveexec_b64 s[6:7], s[6:7]
	s_cbranch_execnz .LBB119_54
.LBB119_49:
	s_or_b64 exec, exec, s[6:7]
	s_and_b64 s[4:5], s[4:5], exec
.LBB119_50:
	s_andn2_saveexec_b64 s[2:3], s[2:3]
	s_cbranch_execnz .LBB119_53
.LBB119_51:
	s_or_b64 exec, exec, s[2:3]
	s_and_b64 s[2:3], s[4:5], exec
	s_andn2_saveexec_b64 s[0:1], s[0:1]
	s_cbranch_execz .LBB119_41
.LBB119_52:
	s_or_b64 s[2:3], s[2:3], exec
	s_trap 2
	s_or_b64 exec, exec, s[0:1]
	s_and_b64 exec, exec, s[2:3]
	s_cbranch_execnz .LBB119_42
	s_branch .LBB119_43
.LBB119_53:
	s_or_b64 s[4:5], s[4:5], exec
	s_trap 2
	s_branch .LBB119_51
.LBB119_54:
	s_trap 2
	s_or_b64 s[4:5], s[4:5], exec
	s_branch .LBB119_49
.LBB119_55:
	s_mov_b64 s[4:5], exec
	s_trap 2
	s_branch .LBB119_47
	.section	.rodata,"a",@progbits
	.p2align	6, 0x0
	.amdhsa_kernel _ZN2at4cuda12_GLOBAL__N_121kernelPointwiseApply2IZNS_6native9templates4cuda28bernoulli_tensor_cuda_kernelIbfEEvRKNS_10TensorBaseES9_NS_15PhiloxCudaStateEEUliRbSB_SB_SB_RKfSD_SD_SD_E_bSC_mLi1ELi1ELi4ELi512ELi2EEEvNS0_6detail10TensorInfoIT0_T2_EENSG_IT1_SI_EESI_T_
		.amdhsa_group_segment_fixed_size 0
		.amdhsa_private_segment_fixed_size 0
		.amdhsa_kernarg_size 1128
		.amdhsa_user_sgpr_count 6
		.amdhsa_user_sgpr_private_segment_buffer 1
		.amdhsa_user_sgpr_dispatch_ptr 0
		.amdhsa_user_sgpr_queue_ptr 0
		.amdhsa_user_sgpr_kernarg_segment_ptr 1
		.amdhsa_user_sgpr_dispatch_id 0
		.amdhsa_user_sgpr_flat_scratch_init 0
		.amdhsa_user_sgpr_kernarg_preload_length 0
		.amdhsa_user_sgpr_kernarg_preload_offset 0
		.amdhsa_user_sgpr_private_segment_size 0
		.amdhsa_uses_dynamic_stack 0
		.amdhsa_system_sgpr_private_segment_wavefront_offset 0
		.amdhsa_system_sgpr_workgroup_id_x 1
		.amdhsa_system_sgpr_workgroup_id_y 0
		.amdhsa_system_sgpr_workgroup_id_z 0
		.amdhsa_system_sgpr_workgroup_info 0
		.amdhsa_system_vgpr_workitem_id 0
		.amdhsa_next_free_vgpr 61
		.amdhsa_next_free_sgpr 67
		.amdhsa_accum_offset 64
		.amdhsa_reserve_vcc 1
		.amdhsa_reserve_flat_scratch 0
		.amdhsa_float_round_mode_32 0
		.amdhsa_float_round_mode_16_64 0
		.amdhsa_float_denorm_mode_32 3
		.amdhsa_float_denorm_mode_16_64 3
		.amdhsa_dx10_clamp 1
		.amdhsa_ieee_mode 1
		.amdhsa_fp16_overflow 0
		.amdhsa_tg_split 0
		.amdhsa_exception_fp_ieee_invalid_op 0
		.amdhsa_exception_fp_denorm_src 0
		.amdhsa_exception_fp_ieee_div_zero 0
		.amdhsa_exception_fp_ieee_overflow 0
		.amdhsa_exception_fp_ieee_underflow 0
		.amdhsa_exception_fp_ieee_inexact 0
		.amdhsa_exception_int_div_zero 0
	.end_amdhsa_kernel
	.section	.text._ZN2at4cuda12_GLOBAL__N_121kernelPointwiseApply2IZNS_6native9templates4cuda28bernoulli_tensor_cuda_kernelIbfEEvRKNS_10TensorBaseES9_NS_15PhiloxCudaStateEEUliRbSB_SB_SB_RKfSD_SD_SD_E_bSC_mLi1ELi1ELi4ELi512ELi2EEEvNS0_6detail10TensorInfoIT0_T2_EENSG_IT1_SI_EESI_T_,"axG",@progbits,_ZN2at4cuda12_GLOBAL__N_121kernelPointwiseApply2IZNS_6native9templates4cuda28bernoulli_tensor_cuda_kernelIbfEEvRKNS_10TensorBaseES9_NS_15PhiloxCudaStateEEUliRbSB_SB_SB_RKfSD_SD_SD_E_bSC_mLi1ELi1ELi4ELi512ELi2EEEvNS0_6detail10TensorInfoIT0_T2_EENSG_IT1_SI_EESI_T_,comdat
.Lfunc_end119:
	.size	_ZN2at4cuda12_GLOBAL__N_121kernelPointwiseApply2IZNS_6native9templates4cuda28bernoulli_tensor_cuda_kernelIbfEEvRKNS_10TensorBaseES9_NS_15PhiloxCudaStateEEUliRbSB_SB_SB_RKfSD_SD_SD_E_bSC_mLi1ELi1ELi4ELi512ELi2EEEvNS0_6detail10TensorInfoIT0_T2_EENSG_IT1_SI_EESI_T_, .Lfunc_end119-_ZN2at4cuda12_GLOBAL__N_121kernelPointwiseApply2IZNS_6native9templates4cuda28bernoulli_tensor_cuda_kernelIbfEEvRKNS_10TensorBaseES9_NS_15PhiloxCudaStateEEUliRbSB_SB_SB_RKfSD_SD_SD_E_bSC_mLi1ELi1ELi4ELi512ELi2EEEvNS0_6detail10TensorInfoIT0_T2_EENSG_IT1_SI_EESI_T_
                                        ; -- End function
	.section	.AMDGPU.csdata,"",@progbits
; Kernel info:
; codeLenInByte = 2884
; NumSgprs: 71
; NumVgprs: 61
; NumAgprs: 0
; TotalNumVgprs: 61
; ScratchSize: 0
; MemoryBound: 0
; FloatMode: 240
; IeeeMode: 1
; LDSByteSize: 0 bytes/workgroup (compile time only)
; SGPRBlocks: 8
; VGPRBlocks: 7
; NumSGPRsForWavesPerEU: 71
; NumVGPRsForWavesPerEU: 61
; AccumOffset: 64
; Occupancy: 8
; WaveLimiterHint : 1
; COMPUTE_PGM_RSRC2:SCRATCH_EN: 0
; COMPUTE_PGM_RSRC2:USER_SGPR: 6
; COMPUTE_PGM_RSRC2:TRAP_HANDLER: 0
; COMPUTE_PGM_RSRC2:TGID_X_EN: 1
; COMPUTE_PGM_RSRC2:TGID_Y_EN: 0
; COMPUTE_PGM_RSRC2:TGID_Z_EN: 0
; COMPUTE_PGM_RSRC2:TIDIG_COMP_CNT: 0
; COMPUTE_PGM_RSRC3_GFX90A:ACCUM_OFFSET: 15
; COMPUTE_PGM_RSRC3_GFX90A:TG_SPLIT: 0
	.section	.text._ZN2at4cuda12_GLOBAL__N_121kernelPointwiseApply2IZNS_6native9templates4cuda28bernoulli_tensor_cuda_kernelIbfEEvRKNS_10TensorBaseES9_NS_15PhiloxCudaStateEEUliRbSB_SB_SB_RKfSD_SD_SD_E_bSC_mLin1ELin1ELi4ELi512ELi2EEEvNS0_6detail10TensorInfoIT0_T2_EENSG_IT1_SI_EESI_T_,"axG",@progbits,_ZN2at4cuda12_GLOBAL__N_121kernelPointwiseApply2IZNS_6native9templates4cuda28bernoulli_tensor_cuda_kernelIbfEEvRKNS_10TensorBaseES9_NS_15PhiloxCudaStateEEUliRbSB_SB_SB_RKfSD_SD_SD_E_bSC_mLin1ELin1ELi4ELi512ELi2EEEvNS0_6detail10TensorInfoIT0_T2_EENSG_IT1_SI_EESI_T_,comdat
	.globl	_ZN2at4cuda12_GLOBAL__N_121kernelPointwiseApply2IZNS_6native9templates4cuda28bernoulli_tensor_cuda_kernelIbfEEvRKNS_10TensorBaseES9_NS_15PhiloxCudaStateEEUliRbSB_SB_SB_RKfSD_SD_SD_E_bSC_mLin1ELin1ELi4ELi512ELi2EEEvNS0_6detail10TensorInfoIT0_T2_EENSG_IT1_SI_EESI_T_ ; -- Begin function _ZN2at4cuda12_GLOBAL__N_121kernelPointwiseApply2IZNS_6native9templates4cuda28bernoulli_tensor_cuda_kernelIbfEEvRKNS_10TensorBaseES9_NS_15PhiloxCudaStateEEUliRbSB_SB_SB_RKfSD_SD_SD_E_bSC_mLin1ELin1ELi4ELi512ELi2EEEvNS0_6detail10TensorInfoIT0_T2_EENSG_IT1_SI_EESI_T_
	.p2align	8
	.type	_ZN2at4cuda12_GLOBAL__N_121kernelPointwiseApply2IZNS_6native9templates4cuda28bernoulli_tensor_cuda_kernelIbfEEvRKNS_10TensorBaseES9_NS_15PhiloxCudaStateEEUliRbSB_SB_SB_RKfSD_SD_SD_E_bSC_mLin1ELin1ELi4ELi512ELi2EEEvNS0_6detail10TensorInfoIT0_T2_EENSG_IT1_SI_EESI_T_,@function
_ZN2at4cuda12_GLOBAL__N_121kernelPointwiseApply2IZNS_6native9templates4cuda28bernoulli_tensor_cuda_kernelIbfEEvRKNS_10TensorBaseES9_NS_15PhiloxCudaStateEEUliRbSB_SB_SB_RKfSD_SD_SD_E_bSC_mLin1ELin1ELi4ELi512ELi2EEEvNS0_6detail10TensorInfoIT0_T2_EENSG_IT1_SI_EESI_T_: ; @_ZN2at4cuda12_GLOBAL__N_121kernelPointwiseApply2IZNS_6native9templates4cuda28bernoulli_tensor_cuda_kernelIbfEEvRKNS_10TensorBaseES9_NS_15PhiloxCudaStateEEUliRbSB_SB_SB_RKfSD_SD_SD_E_bSC_mLin1ELin1ELi4ELi512ELi2EEEvNS0_6detail10TensorInfoIT0_T2_EENSG_IT1_SI_EESI_T_
; %bb.0:
	s_load_dword s2, s[4:5], 0x374
	s_load_dwordx8 s[8:15], s[4:5], 0x340
	s_add_u32 s0, s4, 0x368
	s_addc_u32 s1, s5, 0
	v_mov_b32_e32 v2, 0
	s_waitcnt lgkmcnt(0)
	s_and_b32 s2, s2, 0xffff
	s_mul_i32 s6, s6, s2
	v_add_u32_e32 v7, s6, v0
	v_lshlrev_b32_e32 v0, 2, v7
	v_mov_b32_e32 v1, v2
	v_cmp_gt_u64_e32 vcc, s[8:9], v[0:1]
	s_and_saveexec_b64 s[6:7], vcc
	s_cbranch_execz .LBB120_114
; %bb.1:
	s_load_dword s0, s[0:1], 0x0
	s_add_u32 s6, s4, 0x1a0
	s_load_dword s7, s[4:5], 0x198
	s_load_dwordx2 s[20:21], s[4:5], 0x270
	s_addc_u32 s28, s5, 0
	s_waitcnt lgkmcnt(0)
	s_mul_i32 s29, s0, s2
	s_load_dword s2, s[4:5], 0x360
	s_load_dword s34, s[4:5], 0x338
	s_load_dwordx2 s[16:17], s[4:5], 0x1a0
	s_load_dwordx2 s[18:19], s[4:5], 0xd0
	;; [unrolled: 1-line block ×3, first 2 shown]
	s_cmp_gt_i32 s7, 1
	s_cselect_b64 s[0:1], -1, 0
	s_waitcnt lgkmcnt(0)
	s_cmp_gt_i32 s34, 1
	s_mov_b32 s33, 0xcd9e8d57
	s_cselect_b64 s[22:23], -1, 0
	s_bitcmp1_b32 s2, 0
	v_mad_u64_u32 v[4:5], s[2:3], v7, s33, 0
	s_mov_b32 s63, 0
	s_cselect_b64 s[26:27], -1, 0
	s_add_i32 s2, s7, -1
	s_mov_b32 s3, s63
	s_lshl_b32 s62, s29, 2
	s_add_i32 s64, s7, 1
	s_lshl_b64 s[2:3], s[2:3], 3
	s_add_u32 s2, s2, s4
	s_addc_u32 s3, s3, s5
	s_add_u32 s30, s2, 8
	s_addc_u32 s31, s3, 0
	s_add_i32 s2, s34, -1
	s_mov_b32 s3, s63
	s_add_i32 s65, s34, 1
	s_lshl_b64 s[2:3], s[2:3], 3
	s_add_u32 s2, s2, s6
	s_addc_u32 s3, s3, s28
	s_add_u32 s34, s2, 8
	v_mov_b32_e32 v6, v5
	s_addc_u32 s35, s3, 0
	s_mov_b64 s[36:37], 0
	v_cndmask_b32_e64 v5, 0, 1, s[0:1]
	s_mov_b32 s66, 0xd2511f53
	s_mov_b32 s67, 0xf1bbcdc8
                                        ; implicit-def: $sgpr38_sgpr39
                                        ; implicit-def: $sgpr40_sgpr41
                                        ; implicit-def: $sgpr42_sgpr43
                                        ; implicit-def: $sgpr28_sgpr29
                                        ; implicit-def: $sgpr44_sgpr45
                                        ; implicit-def: $sgpr46_sgpr47
                                        ; implicit-def: $sgpr48_sgpr49
                                        ; implicit-def: $sgpr50_sgpr51
	s_branch .LBB120_3
.LBB120_2:                              ;   in Loop: Header=BB120_3 Depth=1
	s_or_b64 exec, exec, s[2:3]
	s_and_b64 s[0:1], exec, s[0:1]
	s_or_b64 s[36:37], s[0:1], s[36:37]
	s_andn2_b64 s[0:1], s[28:29], exec
	s_and_b64 s[2:3], s[50:51], exec
	s_or_b64 s[28:29], s[0:1], s[2:3]
	s_andn2_b64 s[0:1], s[42:43], exec
	s_and_b64 s[2:3], s[48:49], exec
	;; [unrolled: 3-line block ×4, first 2 shown]
	s_or_b64 s[38:39], s[0:1], s[2:3]
	s_andn2_b64 exec, exec, s[36:37]
	s_cbranch_execz .LBB120_110
.LBB120_3:                              ; =>This Loop Header: Depth=1
                                        ;     Child Loop BB120_5 Depth 2
                                        ;     Child Loop BB120_14 Depth 2
	;; [unrolled: 1-line block ×8, first 2 shown]
	v_sub_u32_e32 v32, s8, v0
	v_cmp_lt_i32_e64 s[4:5], 0, v32
	v_pk_mov_b32 v[8:9], 0, 0
	v_cmp_ne_u32_e64 s[0:1], 1, v5
	s_and_saveexec_b64 s[6:7], s[4:5]
	s_cbranch_execz .LBB120_12
; %bb.4:                                ;   in Loop: Header=BB120_3 Depth=1
	s_and_b64 vcc, exec, s[0:1]
	v_pk_mov_b32 v[8:9], 0, 0
	s_mov_b64 s[52:53], s[30:31]
	s_mov_b32 s58, s64
	v_pk_mov_b32 v[10:11], v[0:1], v[0:1] op_sel:[0,1]
	v_pk_mov_b32 v[12:13], v[0:1], v[0:1] op_sel:[0,1]
	s_cbranch_vccnz .LBB120_11
.LBB120_5:                              ;   Parent Loop BB120_3 Depth=1
                                        ; =>  This Inner Loop Header: Depth=2
	s_load_dwordx2 s[54:55], s[52:53], 0x0
                                        ; implicit-def: $vgpr12_vgpr13
	s_waitcnt vmcnt(3) lgkmcnt(0)
	v_or_b32_e32 v3, s55, v11
	v_cmp_ne_u64_e32 vcc, 0, v[2:3]
	s_and_saveexec_b64 s[2:3], vcc
	s_xor_b64 s[56:57], exec, s[2:3]
	s_cbranch_execz .LBB120_7
; %bb.6:                                ;   in Loop: Header=BB120_5 Depth=2
	v_cvt_f32_u32_e32 v3, s54
	v_cvt_f32_u32_e32 v12, s55
	s_sub_u32 s2, 0, s54
	s_subb_u32 s3, 0, s55
	v_mac_f32_e32 v3, 0x4f800000, v12
	v_rcp_f32_e32 v3, v3
	v_mul_f32_e32 v3, 0x5f7ffffc, v3
	v_mul_f32_e32 v12, 0x2f800000, v3
	v_trunc_f32_e32 v12, v12
	v_mac_f32_e32 v3, 0xcf800000, v12
	v_cvt_u32_f32_e32 v12, v12
	v_cvt_u32_f32_e32 v3, v3
	v_mul_lo_u32 v13, s2, v12
	v_mul_hi_u32 v15, s2, v3
	v_mul_lo_u32 v14, s3, v3
	v_add_u32_e32 v13, v15, v13
	v_mul_lo_u32 v16, s2, v3
	v_add_u32_e32 v13, v13, v14
	v_mul_hi_u32 v15, v3, v16
	v_mul_lo_u32 v17, v3, v13
	v_mul_hi_u32 v14, v3, v13
	v_add_co_u32_e32 v15, vcc, v15, v17
	v_addc_co_u32_e32 v14, vcc, 0, v14, vcc
	v_mul_hi_u32 v18, v12, v16
	v_mul_lo_u32 v16, v12, v16
	v_add_co_u32_e32 v15, vcc, v15, v16
	v_mul_hi_u32 v17, v12, v13
	v_addc_co_u32_e32 v14, vcc, v14, v18, vcc
	v_addc_co_u32_e32 v15, vcc, 0, v17, vcc
	v_mul_lo_u32 v13, v12, v13
	v_add_co_u32_e32 v13, vcc, v14, v13
	v_addc_co_u32_e32 v14, vcc, 0, v15, vcc
	v_add_co_u32_e32 v3, vcc, v3, v13
	v_addc_co_u32_e32 v12, vcc, v12, v14, vcc
	v_mul_lo_u32 v13, s2, v12
	v_mul_hi_u32 v14, s2, v3
	v_add_u32_e32 v13, v14, v13
	v_mul_lo_u32 v14, s3, v3
	v_add_u32_e32 v13, v13, v14
	v_mul_lo_u32 v15, s2, v3
	v_mul_hi_u32 v16, v12, v15
	v_mul_lo_u32 v17, v12, v15
	v_mul_lo_u32 v19, v3, v13
	v_mul_hi_u32 v15, v3, v15
	v_mul_hi_u32 v18, v3, v13
	v_add_co_u32_e32 v15, vcc, v15, v19
	v_addc_co_u32_e32 v18, vcc, 0, v18, vcc
	v_add_co_u32_e32 v15, vcc, v15, v17
	v_mul_hi_u32 v14, v12, v13
	v_addc_co_u32_e32 v15, vcc, v18, v16, vcc
	v_addc_co_u32_e32 v14, vcc, 0, v14, vcc
	v_mul_lo_u32 v13, v12, v13
	v_add_co_u32_e32 v13, vcc, v15, v13
	v_addc_co_u32_e32 v14, vcc, 0, v14, vcc
	v_add_co_u32_e32 v3, vcc, v3, v13
	v_addc_co_u32_e32 v14, vcc, v12, v14, vcc
	v_mad_u64_u32 v[12:13], s[2:3], v10, v14, 0
	v_mul_hi_u32 v15, v10, v3
	v_add_co_u32_e32 v16, vcc, v15, v12
	v_addc_co_u32_e32 v17, vcc, 0, v13, vcc
	v_mad_u64_u32 v[12:13], s[2:3], v11, v14, 0
	v_mad_u64_u32 v[14:15], s[2:3], v11, v3, 0
	v_add_co_u32_e32 v3, vcc, v16, v14
	v_addc_co_u32_e32 v3, vcc, v17, v15, vcc
	v_addc_co_u32_e32 v13, vcc, 0, v13, vcc
	v_add_co_u32_e32 v3, vcc, v3, v12
	v_addc_co_u32_e32 v14, vcc, 0, v13, vcc
	v_mul_lo_u32 v15, s55, v3
	v_mul_lo_u32 v16, s54, v14
	v_mad_u64_u32 v[12:13], s[2:3], s54, v3, 0
	v_add3_u32 v13, v13, v16, v15
	v_sub_u32_e32 v15, v11, v13
	v_mov_b32_e32 v16, s55
	v_sub_co_u32_e32 v12, vcc, v10, v12
	v_subb_co_u32_e64 v15, s[2:3], v15, v16, vcc
	v_subrev_co_u32_e64 v16, s[2:3], s54, v12
	v_subbrev_co_u32_e64 v15, s[2:3], 0, v15, s[2:3]
	v_cmp_le_u32_e64 s[2:3], s55, v15
	v_cndmask_b32_e64 v17, 0, -1, s[2:3]
	v_cmp_le_u32_e64 s[2:3], s54, v16
	v_cndmask_b32_e64 v16, 0, -1, s[2:3]
	v_cmp_eq_u32_e64 s[2:3], s55, v15
	v_cndmask_b32_e64 v15, v17, v16, s[2:3]
	v_add_co_u32_e64 v16, s[2:3], 2, v3
	v_addc_co_u32_e64 v17, s[2:3], 0, v14, s[2:3]
	v_add_co_u32_e64 v18, s[2:3], 1, v3
	v_addc_co_u32_e64 v19, s[2:3], 0, v14, s[2:3]
	v_subb_co_u32_e32 v13, vcc, v11, v13, vcc
	v_cmp_ne_u32_e64 s[2:3], 0, v15
	v_cmp_le_u32_e32 vcc, s55, v13
	v_cndmask_b32_e64 v15, v19, v17, s[2:3]
	v_cndmask_b32_e64 v17, 0, -1, vcc
	v_cmp_le_u32_e32 vcc, s54, v12
	v_cndmask_b32_e64 v12, 0, -1, vcc
	v_cmp_eq_u32_e32 vcc, s55, v13
	v_cndmask_b32_e32 v12, v17, v12, vcc
	v_cmp_ne_u32_e32 vcc, 0, v12
	v_cndmask_b32_e64 v12, v18, v16, s[2:3]
	v_cndmask_b32_e32 v13, v14, v15, vcc
	v_cndmask_b32_e32 v12, v3, v12, vcc
.LBB120_7:                              ;   in Loop: Header=BB120_5 Depth=2
	s_andn2_saveexec_b64 s[2:3], s[56:57]
	s_cbranch_execz .LBB120_9
; %bb.8:                                ;   in Loop: Header=BB120_5 Depth=2
	v_cvt_f32_u32_e32 v3, s54
	s_sub_i32 s56, 0, s54
	v_rcp_iflag_f32_e32 v3, v3
	v_mul_f32_e32 v3, 0x4f7ffffe, v3
	v_cvt_u32_f32_e32 v3, v3
	v_mul_lo_u32 v12, s56, v3
	v_mul_hi_u32 v12, v3, v12
	v_add_u32_e32 v3, v3, v12
	v_mul_hi_u32 v3, v10, v3
	v_mul_lo_u32 v12, v3, s54
	v_sub_u32_e32 v12, v10, v12
	v_add_u32_e32 v13, 1, v3
	v_subrev_u32_e32 v14, s54, v12
	v_cmp_le_u32_e32 vcc, s54, v12
	v_cndmask_b32_e32 v12, v12, v14, vcc
	v_cndmask_b32_e32 v3, v3, v13, vcc
	v_add_u32_e32 v13, 1, v3
	v_cmp_le_u32_e32 vcc, s54, v12
	v_cndmask_b32_e32 v12, v3, v13, vcc
	v_mov_b32_e32 v13, v2
.LBB120_9:                              ;   in Loop: Header=BB120_5 Depth=2
	s_or_b64 exec, exec, s[2:3]
	v_mad_u64_u32 v[14:15], s[2:3], v12, s54, 0
	s_load_dwordx2 s[2:3], s[52:53], 0xc8
	v_mul_lo_u32 v3, v13, s54
	v_mul_lo_u32 v16, v12, s55
	v_add3_u32 v3, v15, v16, v3
	v_sub_co_u32_e32 v10, vcc, v10, v14
	s_add_i32 s58, s58, -1
	v_subb_co_u32_e32 v3, vcc, v11, v3, vcc
	s_add_u32 s52, s52, -8
	s_waitcnt lgkmcnt(0)
	v_mul_lo_u32 v3, s2, v3
	v_mul_lo_u32 v11, s3, v10
	v_mad_u64_u32 v[8:9], s[2:3], s2, v10, v[8:9]
	s_addc_u32 s53, s53, -1
	s_cmp_gt_u32 s58, 2
	v_add3_u32 v9, v11, v9, v3
	s_cbranch_scc0 .LBB120_11
; %bb.10:                               ;   in Loop: Header=BB120_5 Depth=2
	v_pk_mov_b32 v[10:11], v[12:13], v[12:13] op_sel:[0,1]
	s_branch .LBB120_5
.LBB120_11:                             ;   in Loop: Header=BB120_3 Depth=1
	v_mad_u64_u32 v[8:9], s[2:3], s18, v12, v[8:9]
	s_waitcnt vmcnt(3)
	v_mul_lo_u32 v3, s18, v13
	v_mul_lo_u32 v10, s19, v12
	v_add3_u32 v9, v10, v9, v3
.LBB120_12:                             ;   in Loop: Header=BB120_3 Depth=1
	s_or_b64 exec, exec, s[6:7]
	s_waitcnt vmcnt(3)
	v_cndmask_b32_e64 v3, 0, 1, s[22:23]
	v_pk_mov_b32 v[12:13], 0, 0
	v_cmp_ne_u32_e64 s[2:3], 1, v3
	s_and_saveexec_b64 s[6:7], s[4:5]
	s_cbranch_execz .LBB120_21
; %bb.13:                               ;   in Loop: Header=BB120_3 Depth=1
	s_and_b64 vcc, exec, s[2:3]
	v_pk_mov_b32 v[10:11], 0, 0
	s_mov_b64 s[52:53], s[34:35]
	s_mov_b32 s58, s65
	v_pk_mov_b32 v[12:13], v[0:1], v[0:1] op_sel:[0,1]
	v_pk_mov_b32 v[14:15], v[0:1], v[0:1] op_sel:[0,1]
	s_cbranch_vccnz .LBB120_20
.LBB120_14:                             ;   Parent Loop BB120_3 Depth=1
                                        ; =>  This Inner Loop Header: Depth=2
	s_load_dwordx2 s[54:55], s[52:53], 0x0
                                        ; implicit-def: $vgpr14_vgpr15
	s_waitcnt lgkmcnt(0)
	v_or_b32_e32 v3, s55, v13
	v_cmp_ne_u64_e32 vcc, 0, v[2:3]
	s_and_saveexec_b64 s[4:5], vcc
	s_xor_b64 s[56:57], exec, s[4:5]
	s_cbranch_execz .LBB120_16
; %bb.15:                               ;   in Loop: Header=BB120_14 Depth=2
	v_cvt_f32_u32_e32 v3, s54
	v_cvt_f32_u32_e32 v14, s55
	s_sub_u32 s4, 0, s54
	s_subb_u32 s5, 0, s55
	v_mac_f32_e32 v3, 0x4f800000, v14
	v_rcp_f32_e32 v3, v3
	v_mul_f32_e32 v3, 0x5f7ffffc, v3
	v_mul_f32_e32 v14, 0x2f800000, v3
	v_trunc_f32_e32 v14, v14
	v_mac_f32_e32 v3, 0xcf800000, v14
	v_cvt_u32_f32_e32 v14, v14
	v_cvt_u32_f32_e32 v3, v3
	v_mul_lo_u32 v15, s4, v14
	v_mul_hi_u32 v17, s4, v3
	v_mul_lo_u32 v16, s5, v3
	v_add_u32_e32 v15, v17, v15
	v_mul_lo_u32 v18, s4, v3
	v_add_u32_e32 v15, v15, v16
	v_mul_hi_u32 v17, v3, v18
	v_mul_lo_u32 v19, v3, v15
	v_mul_hi_u32 v16, v3, v15
	v_add_co_u32_e32 v17, vcc, v17, v19
	v_addc_co_u32_e32 v16, vcc, 0, v16, vcc
	v_mul_hi_u32 v20, v14, v18
	v_mul_lo_u32 v18, v14, v18
	v_add_co_u32_e32 v17, vcc, v17, v18
	v_mul_hi_u32 v19, v14, v15
	v_addc_co_u32_e32 v16, vcc, v16, v20, vcc
	v_addc_co_u32_e32 v17, vcc, 0, v19, vcc
	v_mul_lo_u32 v15, v14, v15
	v_add_co_u32_e32 v15, vcc, v16, v15
	v_addc_co_u32_e32 v16, vcc, 0, v17, vcc
	v_add_co_u32_e32 v3, vcc, v3, v15
	v_addc_co_u32_e32 v14, vcc, v14, v16, vcc
	v_mul_lo_u32 v15, s4, v14
	v_mul_hi_u32 v16, s4, v3
	v_add_u32_e32 v15, v16, v15
	v_mul_lo_u32 v16, s5, v3
	v_add_u32_e32 v15, v15, v16
	v_mul_lo_u32 v17, s4, v3
	v_mul_hi_u32 v18, v14, v17
	v_mul_lo_u32 v19, v14, v17
	v_mul_lo_u32 v21, v3, v15
	v_mul_hi_u32 v17, v3, v17
	v_mul_hi_u32 v20, v3, v15
	v_add_co_u32_e32 v17, vcc, v17, v21
	v_addc_co_u32_e32 v20, vcc, 0, v20, vcc
	v_add_co_u32_e32 v17, vcc, v17, v19
	v_mul_hi_u32 v16, v14, v15
	v_addc_co_u32_e32 v17, vcc, v20, v18, vcc
	v_addc_co_u32_e32 v16, vcc, 0, v16, vcc
	v_mul_lo_u32 v15, v14, v15
	v_add_co_u32_e32 v15, vcc, v17, v15
	v_addc_co_u32_e32 v16, vcc, 0, v16, vcc
	v_add_co_u32_e32 v3, vcc, v3, v15
	v_addc_co_u32_e32 v16, vcc, v14, v16, vcc
	v_mad_u64_u32 v[14:15], s[4:5], v12, v16, 0
	v_mul_hi_u32 v17, v12, v3
	v_add_co_u32_e32 v18, vcc, v17, v14
	v_addc_co_u32_e32 v19, vcc, 0, v15, vcc
	v_mad_u64_u32 v[14:15], s[4:5], v13, v16, 0
	v_mad_u64_u32 v[16:17], s[4:5], v13, v3, 0
	v_add_co_u32_e32 v3, vcc, v18, v16
	v_addc_co_u32_e32 v3, vcc, v19, v17, vcc
	v_addc_co_u32_e32 v15, vcc, 0, v15, vcc
	v_add_co_u32_e32 v3, vcc, v3, v14
	v_addc_co_u32_e32 v16, vcc, 0, v15, vcc
	v_mul_lo_u32 v17, s55, v3
	v_mul_lo_u32 v18, s54, v16
	v_mad_u64_u32 v[14:15], s[4:5], s54, v3, 0
	v_add3_u32 v15, v15, v18, v17
	v_sub_u32_e32 v17, v13, v15
	v_mov_b32_e32 v18, s55
	v_sub_co_u32_e32 v14, vcc, v12, v14
	v_subb_co_u32_e64 v17, s[4:5], v17, v18, vcc
	v_subrev_co_u32_e64 v18, s[4:5], s54, v14
	v_subbrev_co_u32_e64 v17, s[4:5], 0, v17, s[4:5]
	v_cmp_le_u32_e64 s[4:5], s55, v17
	v_cndmask_b32_e64 v19, 0, -1, s[4:5]
	v_cmp_le_u32_e64 s[4:5], s54, v18
	v_cndmask_b32_e64 v18, 0, -1, s[4:5]
	v_cmp_eq_u32_e64 s[4:5], s55, v17
	v_cndmask_b32_e64 v17, v19, v18, s[4:5]
	v_add_co_u32_e64 v18, s[4:5], 2, v3
	v_addc_co_u32_e64 v19, s[4:5], 0, v16, s[4:5]
	v_add_co_u32_e64 v20, s[4:5], 1, v3
	v_addc_co_u32_e64 v21, s[4:5], 0, v16, s[4:5]
	v_subb_co_u32_e32 v15, vcc, v13, v15, vcc
	v_cmp_ne_u32_e64 s[4:5], 0, v17
	v_cmp_le_u32_e32 vcc, s55, v15
	v_cndmask_b32_e64 v17, v21, v19, s[4:5]
	v_cndmask_b32_e64 v19, 0, -1, vcc
	v_cmp_le_u32_e32 vcc, s54, v14
	v_cndmask_b32_e64 v14, 0, -1, vcc
	v_cmp_eq_u32_e32 vcc, s55, v15
	v_cndmask_b32_e32 v14, v19, v14, vcc
	v_cmp_ne_u32_e32 vcc, 0, v14
	v_cndmask_b32_e64 v14, v20, v18, s[4:5]
	v_cndmask_b32_e32 v15, v16, v17, vcc
	v_cndmask_b32_e32 v14, v3, v14, vcc
.LBB120_16:                             ;   in Loop: Header=BB120_14 Depth=2
	s_andn2_saveexec_b64 s[4:5], s[56:57]
	s_cbranch_execz .LBB120_18
; %bb.17:                               ;   in Loop: Header=BB120_14 Depth=2
	v_cvt_f32_u32_e32 v3, s54
	s_sub_i32 s56, 0, s54
	v_rcp_iflag_f32_e32 v3, v3
	v_mul_f32_e32 v3, 0x4f7ffffe, v3
	v_cvt_u32_f32_e32 v3, v3
	v_mul_lo_u32 v14, s56, v3
	v_mul_hi_u32 v14, v3, v14
	v_add_u32_e32 v3, v3, v14
	v_mul_hi_u32 v3, v12, v3
	v_mul_lo_u32 v14, v3, s54
	v_sub_u32_e32 v14, v12, v14
	v_add_u32_e32 v15, 1, v3
	v_subrev_u32_e32 v16, s54, v14
	v_cmp_le_u32_e32 vcc, s54, v14
	v_cndmask_b32_e32 v14, v14, v16, vcc
	v_cndmask_b32_e32 v3, v3, v15, vcc
	v_add_u32_e32 v15, 1, v3
	v_cmp_le_u32_e32 vcc, s54, v14
	v_cndmask_b32_e32 v14, v3, v15, vcc
	v_mov_b32_e32 v15, v2
.LBB120_18:                             ;   in Loop: Header=BB120_14 Depth=2
	s_or_b64 exec, exec, s[4:5]
	v_mad_u64_u32 v[16:17], s[4:5], v14, s54, 0
	s_load_dwordx2 s[4:5], s[52:53], 0xc8
	v_mul_lo_u32 v3, v15, s54
	v_mul_lo_u32 v18, v14, s55
	v_add3_u32 v3, v17, v18, v3
	v_sub_co_u32_e32 v12, vcc, v12, v16
	s_add_i32 s58, s58, -1
	v_subb_co_u32_e32 v3, vcc, v13, v3, vcc
	s_add_u32 s52, s52, -8
	s_waitcnt lgkmcnt(0)
	v_mul_lo_u32 v3, s4, v3
	v_mul_lo_u32 v13, s5, v12
	v_mad_u64_u32 v[10:11], s[4:5], s4, v12, v[10:11]
	s_addc_u32 s53, s53, -1
	s_cmp_gt_u32 s58, 2
	v_add3_u32 v11, v13, v11, v3
	s_cbranch_scc0 .LBB120_20
; %bb.19:                               ;   in Loop: Header=BB120_14 Depth=2
	v_pk_mov_b32 v[12:13], v[14:15], v[14:15] op_sel:[0,1]
	s_branch .LBB120_14
.LBB120_20:                             ;   in Loop: Header=BB120_3 Depth=1
	v_mad_u64_u32 v[12:13], s[4:5], s20, v14, v[10:11]
	v_mul_lo_u32 v3, s20, v15
	v_mul_lo_u32 v10, s21, v14
	v_add3_u32 v13, v10, v13, v3
.LBB120_21:                             ;   in Loop: Header=BB120_3 Depth=1
	s_or_b64 exec, exec, s[6:7]
	v_or_b32_e32 v14, 1, v0
	v_mov_b32_e32 v15, v1
	v_cmp_lt_i32_e64 s[4:5], 1, v32
	v_pk_mov_b32 v[10:11], 0, 0
	s_and_saveexec_b64 s[52:53], s[4:5]
	s_cbranch_execz .LBB120_30
; %bb.22:                               ;   in Loop: Header=BB120_3 Depth=1
	s_and_b64 vcc, exec, s[0:1]
	v_pk_mov_b32 v[10:11], 0, 0
	s_mov_b64 s[54:55], s[30:31]
	s_mov_b32 s60, s64
	v_pk_mov_b32 v[16:17], v[14:15], v[14:15] op_sel:[0,1]
	v_pk_mov_b32 v[18:19], v[14:15], v[14:15] op_sel:[0,1]
	s_cbranch_vccnz .LBB120_29
.LBB120_23:                             ;   Parent Loop BB120_3 Depth=1
                                        ; =>  This Inner Loop Header: Depth=2
	s_load_dwordx2 s[56:57], s[54:55], 0x0
                                        ; implicit-def: $vgpr18_vgpr19
	s_waitcnt lgkmcnt(0)
	v_or_b32_e32 v3, s57, v17
	v_cmp_ne_u64_e32 vcc, 0, v[2:3]
	s_and_saveexec_b64 s[6:7], vcc
	s_xor_b64 s[58:59], exec, s[6:7]
	s_cbranch_execz .LBB120_25
; %bb.24:                               ;   in Loop: Header=BB120_23 Depth=2
	v_cvt_f32_u32_e32 v3, s56
	v_cvt_f32_u32_e32 v18, s57
	s_sub_u32 s6, 0, s56
	s_subb_u32 s7, 0, s57
	v_mac_f32_e32 v3, 0x4f800000, v18
	v_rcp_f32_e32 v3, v3
	v_mul_f32_e32 v3, 0x5f7ffffc, v3
	v_mul_f32_e32 v18, 0x2f800000, v3
	v_trunc_f32_e32 v18, v18
	v_mac_f32_e32 v3, 0xcf800000, v18
	v_cvt_u32_f32_e32 v18, v18
	v_cvt_u32_f32_e32 v3, v3
	v_mul_lo_u32 v19, s6, v18
	v_mul_hi_u32 v21, s6, v3
	v_mul_lo_u32 v20, s7, v3
	v_add_u32_e32 v19, v21, v19
	v_mul_lo_u32 v22, s6, v3
	v_add_u32_e32 v19, v19, v20
	v_mul_hi_u32 v21, v3, v22
	v_mul_lo_u32 v23, v3, v19
	v_mul_hi_u32 v20, v3, v19
	v_add_co_u32_e32 v21, vcc, v21, v23
	v_addc_co_u32_e32 v20, vcc, 0, v20, vcc
	v_mul_hi_u32 v24, v18, v22
	v_mul_lo_u32 v22, v18, v22
	v_add_co_u32_e32 v21, vcc, v21, v22
	v_mul_hi_u32 v23, v18, v19
	v_addc_co_u32_e32 v20, vcc, v20, v24, vcc
	v_addc_co_u32_e32 v21, vcc, 0, v23, vcc
	v_mul_lo_u32 v19, v18, v19
	v_add_co_u32_e32 v19, vcc, v20, v19
	v_addc_co_u32_e32 v20, vcc, 0, v21, vcc
	v_add_co_u32_e32 v3, vcc, v3, v19
	v_addc_co_u32_e32 v18, vcc, v18, v20, vcc
	v_mul_lo_u32 v19, s6, v18
	v_mul_hi_u32 v20, s6, v3
	v_add_u32_e32 v19, v20, v19
	v_mul_lo_u32 v20, s7, v3
	v_add_u32_e32 v19, v19, v20
	v_mul_lo_u32 v21, s6, v3
	v_mul_hi_u32 v22, v18, v21
	v_mul_lo_u32 v23, v18, v21
	v_mul_lo_u32 v25, v3, v19
	v_mul_hi_u32 v21, v3, v21
	v_mul_hi_u32 v24, v3, v19
	v_add_co_u32_e32 v21, vcc, v21, v25
	v_addc_co_u32_e32 v24, vcc, 0, v24, vcc
	v_add_co_u32_e32 v21, vcc, v21, v23
	v_mul_hi_u32 v20, v18, v19
	v_addc_co_u32_e32 v21, vcc, v24, v22, vcc
	v_addc_co_u32_e32 v20, vcc, 0, v20, vcc
	v_mul_lo_u32 v19, v18, v19
	v_add_co_u32_e32 v19, vcc, v21, v19
	v_addc_co_u32_e32 v20, vcc, 0, v20, vcc
	v_add_co_u32_e32 v3, vcc, v3, v19
	v_addc_co_u32_e32 v20, vcc, v18, v20, vcc
	v_mad_u64_u32 v[18:19], s[6:7], v16, v20, 0
	v_mul_hi_u32 v21, v16, v3
	v_add_co_u32_e32 v22, vcc, v21, v18
	v_addc_co_u32_e32 v23, vcc, 0, v19, vcc
	v_mad_u64_u32 v[18:19], s[6:7], v17, v20, 0
	v_mad_u64_u32 v[20:21], s[6:7], v17, v3, 0
	v_add_co_u32_e32 v3, vcc, v22, v20
	v_addc_co_u32_e32 v3, vcc, v23, v21, vcc
	v_addc_co_u32_e32 v19, vcc, 0, v19, vcc
	v_add_co_u32_e32 v3, vcc, v3, v18
	v_addc_co_u32_e32 v20, vcc, 0, v19, vcc
	v_mul_lo_u32 v21, s57, v3
	v_mul_lo_u32 v22, s56, v20
	v_mad_u64_u32 v[18:19], s[6:7], s56, v3, 0
	v_add3_u32 v19, v19, v22, v21
	v_sub_u32_e32 v21, v17, v19
	v_mov_b32_e32 v22, s57
	v_sub_co_u32_e32 v18, vcc, v16, v18
	v_subb_co_u32_e64 v21, s[6:7], v21, v22, vcc
	v_subrev_co_u32_e64 v22, s[6:7], s56, v18
	v_subbrev_co_u32_e64 v21, s[6:7], 0, v21, s[6:7]
	v_cmp_le_u32_e64 s[6:7], s57, v21
	v_cndmask_b32_e64 v23, 0, -1, s[6:7]
	v_cmp_le_u32_e64 s[6:7], s56, v22
	v_cndmask_b32_e64 v22, 0, -1, s[6:7]
	v_cmp_eq_u32_e64 s[6:7], s57, v21
	v_cndmask_b32_e64 v21, v23, v22, s[6:7]
	v_add_co_u32_e64 v22, s[6:7], 2, v3
	v_addc_co_u32_e64 v23, s[6:7], 0, v20, s[6:7]
	v_add_co_u32_e64 v24, s[6:7], 1, v3
	v_addc_co_u32_e64 v25, s[6:7], 0, v20, s[6:7]
	v_subb_co_u32_e32 v19, vcc, v17, v19, vcc
	v_cmp_ne_u32_e64 s[6:7], 0, v21
	v_cmp_le_u32_e32 vcc, s57, v19
	v_cndmask_b32_e64 v21, v25, v23, s[6:7]
	v_cndmask_b32_e64 v23, 0, -1, vcc
	v_cmp_le_u32_e32 vcc, s56, v18
	v_cndmask_b32_e64 v18, 0, -1, vcc
	v_cmp_eq_u32_e32 vcc, s57, v19
	v_cndmask_b32_e32 v18, v23, v18, vcc
	v_cmp_ne_u32_e32 vcc, 0, v18
	v_cndmask_b32_e64 v18, v24, v22, s[6:7]
	v_cndmask_b32_e32 v19, v20, v21, vcc
	v_cndmask_b32_e32 v18, v3, v18, vcc
.LBB120_25:                             ;   in Loop: Header=BB120_23 Depth=2
	s_andn2_saveexec_b64 s[6:7], s[58:59]
	s_cbranch_execz .LBB120_27
; %bb.26:                               ;   in Loop: Header=BB120_23 Depth=2
	v_cvt_f32_u32_e32 v3, s56
	s_sub_i32 s58, 0, s56
	v_rcp_iflag_f32_e32 v3, v3
	v_mul_f32_e32 v3, 0x4f7ffffe, v3
	v_cvt_u32_f32_e32 v3, v3
	v_mul_lo_u32 v18, s58, v3
	v_mul_hi_u32 v18, v3, v18
	v_add_u32_e32 v3, v3, v18
	v_mul_hi_u32 v3, v16, v3
	v_mul_lo_u32 v18, v3, s56
	v_sub_u32_e32 v18, v16, v18
	v_add_u32_e32 v19, 1, v3
	v_subrev_u32_e32 v20, s56, v18
	v_cmp_le_u32_e32 vcc, s56, v18
	v_cndmask_b32_e32 v18, v18, v20, vcc
	v_cndmask_b32_e32 v3, v3, v19, vcc
	v_add_u32_e32 v19, 1, v3
	v_cmp_le_u32_e32 vcc, s56, v18
	v_cndmask_b32_e32 v18, v3, v19, vcc
	v_mov_b32_e32 v19, v2
.LBB120_27:                             ;   in Loop: Header=BB120_23 Depth=2
	s_or_b64 exec, exec, s[6:7]
	v_mad_u64_u32 v[20:21], s[6:7], v18, s56, 0
	s_load_dwordx2 s[6:7], s[54:55], 0xc8
	v_mul_lo_u32 v3, v19, s56
	v_mul_lo_u32 v22, v18, s57
	v_add3_u32 v3, v21, v22, v3
	v_sub_co_u32_e32 v16, vcc, v16, v20
	s_add_i32 s60, s60, -1
	v_subb_co_u32_e32 v3, vcc, v17, v3, vcc
	s_add_u32 s54, s54, -8
	s_waitcnt lgkmcnt(0)
	v_mul_lo_u32 v3, s6, v3
	v_mul_lo_u32 v17, s7, v16
	v_mad_u64_u32 v[10:11], s[6:7], s6, v16, v[10:11]
	s_addc_u32 s55, s55, -1
	s_cmp_gt_u32 s60, 2
	v_add3_u32 v11, v17, v11, v3
	s_cbranch_scc0 .LBB120_29
; %bb.28:                               ;   in Loop: Header=BB120_23 Depth=2
	v_pk_mov_b32 v[16:17], v[18:19], v[18:19] op_sel:[0,1]
	s_branch .LBB120_23
.LBB120_29:                             ;   in Loop: Header=BB120_3 Depth=1
	v_mad_u64_u32 v[10:11], s[6:7], s18, v18, v[10:11]
	v_mul_lo_u32 v3, s18, v19
	v_mul_lo_u32 v16, s19, v18
	v_add3_u32 v11, v16, v11, v3
.LBB120_30:                             ;   in Loop: Header=BB120_3 Depth=1
	s_or_b64 exec, exec, s[52:53]
	v_pk_mov_b32 v[16:17], 0, 0
	s_and_saveexec_b64 s[6:7], s[4:5]
	s_cbranch_execz .LBB120_33
; %bb.31:                               ;   in Loop: Header=BB120_3 Depth=1
	s_and_b64 vcc, exec, s[2:3]
	v_pk_mov_b32 v[16:17], 0, 0
	s_mov_b64 s[52:53], s[34:35]
	s_mov_b32 s58, s65
	s_cbranch_vccz .LBB120_42
.LBB120_32:                             ;   in Loop: Header=BB120_3 Depth=1
	v_mad_u64_u32 v[16:17], s[4:5], s20, v14, v[16:17]
	v_mul_lo_u32 v3, s20, v15
	v_mul_lo_u32 v14, s21, v14
	v_add3_u32 v17, v14, v17, v3
.LBB120_33:                             ;   in Loop: Header=BB120_3 Depth=1
	s_or_b64 exec, exec, s[6:7]
	v_or_b32_e32 v18, 2, v0
	v_mov_b32_e32 v19, v1
	v_cmp_lt_i32_e64 s[4:5], 2, v32
	v_pk_mov_b32 v[14:15], 0, 0
	s_and_saveexec_b64 s[52:53], s[4:5]
	s_cbranch_execz .LBB120_47
; %bb.34:                               ;   in Loop: Header=BB120_3 Depth=1
	s_and_b64 vcc, exec, s[0:1]
	v_pk_mov_b32 v[14:15], 0, 0
	s_mov_b64 s[54:55], s[30:31]
	s_mov_b32 s60, s64
	v_pk_mov_b32 v[20:21], v[18:19], v[18:19] op_sel:[0,1]
	v_pk_mov_b32 v[22:23], v[18:19], v[18:19] op_sel:[0,1]
	s_cbranch_vccnz .LBB120_46
.LBB120_35:                             ;   Parent Loop BB120_3 Depth=1
                                        ; =>  This Inner Loop Header: Depth=2
	s_load_dwordx2 s[56:57], s[54:55], 0x0
                                        ; implicit-def: $vgpr22_vgpr23
	s_waitcnt lgkmcnt(0)
	v_or_b32_e32 v3, s57, v21
	v_cmp_ne_u64_e32 vcc, 0, v[2:3]
	s_and_saveexec_b64 s[6:7], vcc
	s_xor_b64 s[58:59], exec, s[6:7]
	s_cbranch_execz .LBB120_37
; %bb.36:                               ;   in Loop: Header=BB120_35 Depth=2
	v_cvt_f32_u32_e32 v3, s56
	v_cvt_f32_u32_e32 v22, s57
	s_sub_u32 s6, 0, s56
	s_subb_u32 s7, 0, s57
	v_mac_f32_e32 v3, 0x4f800000, v22
	v_rcp_f32_e32 v3, v3
	v_mul_f32_e32 v3, 0x5f7ffffc, v3
	v_mul_f32_e32 v22, 0x2f800000, v3
	v_trunc_f32_e32 v22, v22
	v_mac_f32_e32 v3, 0xcf800000, v22
	v_cvt_u32_f32_e32 v22, v22
	v_cvt_u32_f32_e32 v3, v3
	v_mul_lo_u32 v23, s6, v22
	v_mul_hi_u32 v25, s6, v3
	v_mul_lo_u32 v24, s7, v3
	v_add_u32_e32 v23, v25, v23
	v_mul_lo_u32 v26, s6, v3
	v_add_u32_e32 v23, v23, v24
	v_mul_hi_u32 v25, v3, v26
	v_mul_lo_u32 v27, v3, v23
	v_mul_hi_u32 v24, v3, v23
	v_add_co_u32_e32 v25, vcc, v25, v27
	v_addc_co_u32_e32 v24, vcc, 0, v24, vcc
	v_mul_hi_u32 v28, v22, v26
	v_mul_lo_u32 v26, v22, v26
	v_add_co_u32_e32 v25, vcc, v25, v26
	v_mul_hi_u32 v27, v22, v23
	v_addc_co_u32_e32 v24, vcc, v24, v28, vcc
	v_addc_co_u32_e32 v25, vcc, 0, v27, vcc
	v_mul_lo_u32 v23, v22, v23
	v_add_co_u32_e32 v23, vcc, v24, v23
	v_addc_co_u32_e32 v24, vcc, 0, v25, vcc
	v_add_co_u32_e32 v3, vcc, v3, v23
	v_addc_co_u32_e32 v22, vcc, v22, v24, vcc
	v_mul_lo_u32 v23, s6, v22
	v_mul_hi_u32 v24, s6, v3
	v_add_u32_e32 v23, v24, v23
	v_mul_lo_u32 v24, s7, v3
	v_add_u32_e32 v23, v23, v24
	v_mul_lo_u32 v25, s6, v3
	v_mul_hi_u32 v26, v22, v25
	v_mul_lo_u32 v27, v22, v25
	v_mul_lo_u32 v29, v3, v23
	v_mul_hi_u32 v25, v3, v25
	v_mul_hi_u32 v28, v3, v23
	v_add_co_u32_e32 v25, vcc, v25, v29
	v_addc_co_u32_e32 v28, vcc, 0, v28, vcc
	v_add_co_u32_e32 v25, vcc, v25, v27
	v_mul_hi_u32 v24, v22, v23
	v_addc_co_u32_e32 v25, vcc, v28, v26, vcc
	v_addc_co_u32_e32 v24, vcc, 0, v24, vcc
	v_mul_lo_u32 v23, v22, v23
	v_add_co_u32_e32 v23, vcc, v25, v23
	v_addc_co_u32_e32 v24, vcc, 0, v24, vcc
	v_add_co_u32_e32 v3, vcc, v3, v23
	v_addc_co_u32_e32 v24, vcc, v22, v24, vcc
	v_mad_u64_u32 v[22:23], s[6:7], v20, v24, 0
	v_mul_hi_u32 v25, v20, v3
	v_add_co_u32_e32 v26, vcc, v25, v22
	v_addc_co_u32_e32 v27, vcc, 0, v23, vcc
	v_mad_u64_u32 v[22:23], s[6:7], v21, v24, 0
	v_mad_u64_u32 v[24:25], s[6:7], v21, v3, 0
	v_add_co_u32_e32 v3, vcc, v26, v24
	v_addc_co_u32_e32 v3, vcc, v27, v25, vcc
	v_addc_co_u32_e32 v23, vcc, 0, v23, vcc
	v_add_co_u32_e32 v3, vcc, v3, v22
	v_addc_co_u32_e32 v24, vcc, 0, v23, vcc
	v_mul_lo_u32 v25, s57, v3
	v_mul_lo_u32 v26, s56, v24
	v_mad_u64_u32 v[22:23], s[6:7], s56, v3, 0
	v_add3_u32 v23, v23, v26, v25
	v_sub_u32_e32 v25, v21, v23
	v_mov_b32_e32 v26, s57
	v_sub_co_u32_e32 v22, vcc, v20, v22
	v_subb_co_u32_e64 v25, s[6:7], v25, v26, vcc
	v_subrev_co_u32_e64 v26, s[6:7], s56, v22
	v_subbrev_co_u32_e64 v25, s[6:7], 0, v25, s[6:7]
	v_cmp_le_u32_e64 s[6:7], s57, v25
	v_cndmask_b32_e64 v27, 0, -1, s[6:7]
	v_cmp_le_u32_e64 s[6:7], s56, v26
	v_cndmask_b32_e64 v26, 0, -1, s[6:7]
	v_cmp_eq_u32_e64 s[6:7], s57, v25
	v_cndmask_b32_e64 v25, v27, v26, s[6:7]
	v_add_co_u32_e64 v26, s[6:7], 2, v3
	v_addc_co_u32_e64 v27, s[6:7], 0, v24, s[6:7]
	v_add_co_u32_e64 v28, s[6:7], 1, v3
	v_addc_co_u32_e64 v29, s[6:7], 0, v24, s[6:7]
	v_subb_co_u32_e32 v23, vcc, v21, v23, vcc
	v_cmp_ne_u32_e64 s[6:7], 0, v25
	v_cmp_le_u32_e32 vcc, s57, v23
	v_cndmask_b32_e64 v25, v29, v27, s[6:7]
	v_cndmask_b32_e64 v27, 0, -1, vcc
	v_cmp_le_u32_e32 vcc, s56, v22
	v_cndmask_b32_e64 v22, 0, -1, vcc
	v_cmp_eq_u32_e32 vcc, s57, v23
	v_cndmask_b32_e32 v22, v27, v22, vcc
	v_cmp_ne_u32_e32 vcc, 0, v22
	v_cndmask_b32_e64 v22, v28, v26, s[6:7]
	v_cndmask_b32_e32 v23, v24, v25, vcc
	v_cndmask_b32_e32 v22, v3, v22, vcc
.LBB120_37:                             ;   in Loop: Header=BB120_35 Depth=2
	s_andn2_saveexec_b64 s[6:7], s[58:59]
	s_cbranch_execz .LBB120_39
; %bb.38:                               ;   in Loop: Header=BB120_35 Depth=2
	v_cvt_f32_u32_e32 v3, s56
	s_sub_i32 s58, 0, s56
	v_rcp_iflag_f32_e32 v3, v3
	v_mul_f32_e32 v3, 0x4f7ffffe, v3
	v_cvt_u32_f32_e32 v3, v3
	v_mul_lo_u32 v22, s58, v3
	v_mul_hi_u32 v22, v3, v22
	v_add_u32_e32 v3, v3, v22
	v_mul_hi_u32 v3, v20, v3
	v_mul_lo_u32 v22, v3, s56
	v_sub_u32_e32 v22, v20, v22
	v_add_u32_e32 v23, 1, v3
	v_subrev_u32_e32 v24, s56, v22
	v_cmp_le_u32_e32 vcc, s56, v22
	v_cndmask_b32_e32 v22, v22, v24, vcc
	v_cndmask_b32_e32 v3, v3, v23, vcc
	v_add_u32_e32 v23, 1, v3
	v_cmp_le_u32_e32 vcc, s56, v22
	v_cndmask_b32_e32 v22, v3, v23, vcc
	v_mov_b32_e32 v23, v2
.LBB120_39:                             ;   in Loop: Header=BB120_35 Depth=2
	s_or_b64 exec, exec, s[6:7]
	v_mad_u64_u32 v[24:25], s[6:7], v22, s56, 0
	s_load_dwordx2 s[6:7], s[54:55], 0xc8
	v_mul_lo_u32 v3, v23, s56
	v_mul_lo_u32 v26, v22, s57
	v_add3_u32 v3, v25, v26, v3
	v_sub_co_u32_e32 v20, vcc, v20, v24
	s_add_i32 s60, s60, -1
	v_subb_co_u32_e32 v3, vcc, v21, v3, vcc
	s_add_u32 s54, s54, -8
	s_waitcnt lgkmcnt(0)
	v_mul_lo_u32 v3, s6, v3
	v_mul_lo_u32 v21, s7, v20
	v_mad_u64_u32 v[14:15], s[6:7], s6, v20, v[14:15]
	s_addc_u32 s55, s55, -1
	s_cmp_gt_u32 s60, 2
	v_add3_u32 v15, v21, v15, v3
	s_cbranch_scc0 .LBB120_46
; %bb.40:                               ;   in Loop: Header=BB120_35 Depth=2
	v_pk_mov_b32 v[20:21], v[22:23], v[22:23] op_sel:[0,1]
	s_branch .LBB120_35
.LBB120_41:                             ;   in Loop: Header=BB120_42 Depth=2
	s_or_b64 exec, exec, s[4:5]
	v_mad_u64_u32 v[20:21], s[4:5], v18, s54, 0
	s_load_dwordx2 s[4:5], s[52:53], 0xc8
	v_mul_lo_u32 v3, v19, s54
	v_mul_lo_u32 v22, v18, s55
	v_add3_u32 v3, v21, v22, v3
	v_sub_co_u32_e32 v14, vcc, v14, v20
	s_add_i32 s58, s58, -1
	v_subb_co_u32_e32 v3, vcc, v15, v3, vcc
	s_add_u32 s52, s52, -8
	s_waitcnt lgkmcnt(0)
	v_mul_lo_u32 v3, s4, v3
	v_mul_lo_u32 v15, s5, v14
	v_mad_u64_u32 v[16:17], s[4:5], s4, v14, v[16:17]
	s_addc_u32 s53, s53, -1
	s_cmp_gt_u32 s58, 2
	v_add3_u32 v17, v15, v17, v3
	v_pk_mov_b32 v[14:15], v[18:19], v[18:19] op_sel:[0,1]
	s_cbranch_scc0 .LBB120_32
.LBB120_42:                             ;   Parent Loop BB120_3 Depth=1
                                        ; =>  This Inner Loop Header: Depth=2
	s_load_dwordx2 s[54:55], s[52:53], 0x0
                                        ; implicit-def: $vgpr18_vgpr19
	s_waitcnt lgkmcnt(0)
	v_or_b32_e32 v3, s55, v15
	v_cmp_ne_u64_e32 vcc, 0, v[2:3]
	s_and_saveexec_b64 s[4:5], vcc
	s_xor_b64 s[56:57], exec, s[4:5]
	s_cbranch_execz .LBB120_44
; %bb.43:                               ;   in Loop: Header=BB120_42 Depth=2
	v_cvt_f32_u32_e32 v3, s54
	v_cvt_f32_u32_e32 v18, s55
	s_sub_u32 s4, 0, s54
	s_subb_u32 s5, 0, s55
	v_mac_f32_e32 v3, 0x4f800000, v18
	v_rcp_f32_e32 v3, v3
	v_mul_f32_e32 v3, 0x5f7ffffc, v3
	v_mul_f32_e32 v18, 0x2f800000, v3
	v_trunc_f32_e32 v18, v18
	v_mac_f32_e32 v3, 0xcf800000, v18
	v_cvt_u32_f32_e32 v18, v18
	v_cvt_u32_f32_e32 v3, v3
	v_mul_lo_u32 v19, s4, v18
	v_mul_hi_u32 v21, s4, v3
	v_mul_lo_u32 v20, s5, v3
	v_add_u32_e32 v19, v21, v19
	v_mul_lo_u32 v22, s4, v3
	v_add_u32_e32 v19, v19, v20
	v_mul_hi_u32 v21, v3, v22
	v_mul_lo_u32 v23, v3, v19
	v_mul_hi_u32 v20, v3, v19
	v_add_co_u32_e32 v21, vcc, v21, v23
	v_addc_co_u32_e32 v20, vcc, 0, v20, vcc
	v_mul_hi_u32 v24, v18, v22
	v_mul_lo_u32 v22, v18, v22
	v_add_co_u32_e32 v21, vcc, v21, v22
	v_mul_hi_u32 v23, v18, v19
	v_addc_co_u32_e32 v20, vcc, v20, v24, vcc
	v_addc_co_u32_e32 v21, vcc, 0, v23, vcc
	v_mul_lo_u32 v19, v18, v19
	v_add_co_u32_e32 v19, vcc, v20, v19
	v_addc_co_u32_e32 v20, vcc, 0, v21, vcc
	v_add_co_u32_e32 v3, vcc, v3, v19
	v_addc_co_u32_e32 v18, vcc, v18, v20, vcc
	v_mul_lo_u32 v19, s4, v18
	v_mul_hi_u32 v20, s4, v3
	v_add_u32_e32 v19, v20, v19
	v_mul_lo_u32 v20, s5, v3
	v_add_u32_e32 v19, v19, v20
	v_mul_lo_u32 v21, s4, v3
	v_mul_hi_u32 v22, v18, v21
	v_mul_lo_u32 v23, v18, v21
	v_mul_lo_u32 v25, v3, v19
	v_mul_hi_u32 v21, v3, v21
	v_mul_hi_u32 v24, v3, v19
	v_add_co_u32_e32 v21, vcc, v21, v25
	v_addc_co_u32_e32 v24, vcc, 0, v24, vcc
	v_add_co_u32_e32 v21, vcc, v21, v23
	v_mul_hi_u32 v20, v18, v19
	v_addc_co_u32_e32 v21, vcc, v24, v22, vcc
	v_addc_co_u32_e32 v20, vcc, 0, v20, vcc
	v_mul_lo_u32 v19, v18, v19
	v_add_co_u32_e32 v19, vcc, v21, v19
	v_addc_co_u32_e32 v20, vcc, 0, v20, vcc
	v_add_co_u32_e32 v3, vcc, v3, v19
	v_addc_co_u32_e32 v20, vcc, v18, v20, vcc
	v_mad_u64_u32 v[18:19], s[4:5], v14, v20, 0
	v_mul_hi_u32 v21, v14, v3
	v_add_co_u32_e32 v22, vcc, v21, v18
	v_addc_co_u32_e32 v23, vcc, 0, v19, vcc
	v_mad_u64_u32 v[18:19], s[4:5], v15, v20, 0
	v_mad_u64_u32 v[20:21], s[4:5], v15, v3, 0
	v_add_co_u32_e32 v3, vcc, v22, v20
	v_addc_co_u32_e32 v3, vcc, v23, v21, vcc
	v_addc_co_u32_e32 v19, vcc, 0, v19, vcc
	v_add_co_u32_e32 v3, vcc, v3, v18
	v_addc_co_u32_e32 v20, vcc, 0, v19, vcc
	v_mul_lo_u32 v21, s55, v3
	v_mul_lo_u32 v22, s54, v20
	v_mad_u64_u32 v[18:19], s[4:5], s54, v3, 0
	v_add3_u32 v19, v19, v22, v21
	v_sub_u32_e32 v21, v15, v19
	v_mov_b32_e32 v22, s55
	v_sub_co_u32_e32 v18, vcc, v14, v18
	v_subb_co_u32_e64 v21, s[4:5], v21, v22, vcc
	v_subrev_co_u32_e64 v22, s[4:5], s54, v18
	v_subbrev_co_u32_e64 v21, s[4:5], 0, v21, s[4:5]
	v_cmp_le_u32_e64 s[4:5], s55, v21
	v_cndmask_b32_e64 v23, 0, -1, s[4:5]
	v_cmp_le_u32_e64 s[4:5], s54, v22
	v_cndmask_b32_e64 v22, 0, -1, s[4:5]
	v_cmp_eq_u32_e64 s[4:5], s55, v21
	v_cndmask_b32_e64 v21, v23, v22, s[4:5]
	v_add_co_u32_e64 v22, s[4:5], 2, v3
	v_addc_co_u32_e64 v23, s[4:5], 0, v20, s[4:5]
	v_add_co_u32_e64 v24, s[4:5], 1, v3
	v_addc_co_u32_e64 v25, s[4:5], 0, v20, s[4:5]
	v_subb_co_u32_e32 v19, vcc, v15, v19, vcc
	v_cmp_ne_u32_e64 s[4:5], 0, v21
	v_cmp_le_u32_e32 vcc, s55, v19
	v_cndmask_b32_e64 v21, v25, v23, s[4:5]
	v_cndmask_b32_e64 v23, 0, -1, vcc
	v_cmp_le_u32_e32 vcc, s54, v18
	v_cndmask_b32_e64 v18, 0, -1, vcc
	v_cmp_eq_u32_e32 vcc, s55, v19
	v_cndmask_b32_e32 v18, v23, v18, vcc
	v_cmp_ne_u32_e32 vcc, 0, v18
	v_cndmask_b32_e64 v18, v24, v22, s[4:5]
	v_cndmask_b32_e32 v19, v20, v21, vcc
	v_cndmask_b32_e32 v18, v3, v18, vcc
.LBB120_44:                             ;   in Loop: Header=BB120_42 Depth=2
	s_andn2_saveexec_b64 s[4:5], s[56:57]
	s_cbranch_execz .LBB120_41
; %bb.45:                               ;   in Loop: Header=BB120_42 Depth=2
	v_cvt_f32_u32_e32 v3, s54
	s_sub_i32 s56, 0, s54
	v_rcp_iflag_f32_e32 v3, v3
	v_mul_f32_e32 v3, 0x4f7ffffe, v3
	v_cvt_u32_f32_e32 v3, v3
	v_mul_lo_u32 v18, s56, v3
	v_mul_hi_u32 v18, v3, v18
	v_add_u32_e32 v3, v3, v18
	v_mul_hi_u32 v3, v14, v3
	v_mul_lo_u32 v18, v3, s54
	v_sub_u32_e32 v18, v14, v18
	v_add_u32_e32 v19, 1, v3
	v_subrev_u32_e32 v20, s54, v18
	v_cmp_le_u32_e32 vcc, s54, v18
	v_cndmask_b32_e32 v18, v18, v20, vcc
	v_cndmask_b32_e32 v3, v3, v19, vcc
	v_add_u32_e32 v19, 1, v3
	v_cmp_le_u32_e32 vcc, s54, v18
	v_cndmask_b32_e32 v18, v3, v19, vcc
	v_mov_b32_e32 v19, v2
	s_branch .LBB120_41
.LBB120_46:                             ;   in Loop: Header=BB120_3 Depth=1
	v_mad_u64_u32 v[14:15], s[6:7], s18, v22, v[14:15]
	v_mul_lo_u32 v3, s18, v23
	v_mul_lo_u32 v20, s19, v22
	v_add3_u32 v15, v20, v15, v3
.LBB120_47:                             ;   in Loop: Header=BB120_3 Depth=1
	s_or_b64 exec, exec, s[52:53]
	v_pk_mov_b32 v[20:21], 0, 0
	s_and_saveexec_b64 s[6:7], s[4:5]
	s_cbranch_execz .LBB120_50
; %bb.48:                               ;   in Loop: Header=BB120_3 Depth=1
	s_and_b64 vcc, exec, s[2:3]
	v_pk_mov_b32 v[20:21], 0, 0
	s_mov_b64 s[52:53], s[34:35]
	s_mov_b32 s58, s65
	s_cbranch_vccz .LBB120_59
.LBB120_49:                             ;   in Loop: Header=BB120_3 Depth=1
	v_mad_u64_u32 v[20:21], s[4:5], s20, v18, v[20:21]
	v_mul_lo_u32 v3, s20, v19
	v_mul_lo_u32 v18, s21, v18
	v_add3_u32 v21, v18, v21, v3
.LBB120_50:                             ;   in Loop: Header=BB120_3 Depth=1
	s_or_b64 exec, exec, s[6:7]
	v_or_b32_e32 v22, 3, v0
	v_mov_b32_e32 v23, v1
	v_cmp_lt_i32_e64 s[4:5], 3, v32
	v_pk_mov_b32 v[18:19], 0, 0
	s_and_saveexec_b64 s[6:7], s[4:5]
	s_cbranch_execz .LBB120_64
; %bb.51:                               ;   in Loop: Header=BB120_3 Depth=1
	s_and_b64 vcc, exec, s[0:1]
	v_pk_mov_b32 v[18:19], 0, 0
	s_mov_b64 s[52:53], s[30:31]
	s_mov_b32 s58, s64
	v_pk_mov_b32 v[24:25], v[22:23], v[22:23] op_sel:[0,1]
	v_pk_mov_b32 v[26:27], v[22:23], v[22:23] op_sel:[0,1]
	s_cbranch_vccnz .LBB120_63
.LBB120_52:                             ;   Parent Loop BB120_3 Depth=1
                                        ; =>  This Inner Loop Header: Depth=2
	s_load_dwordx2 s[54:55], s[52:53], 0x0
                                        ; implicit-def: $vgpr26_vgpr27
	s_waitcnt lgkmcnt(0)
	v_or_b32_e32 v3, s55, v25
	v_cmp_ne_u64_e32 vcc, 0, v[2:3]
	s_and_saveexec_b64 s[0:1], vcc
	s_xor_b64 s[56:57], exec, s[0:1]
	s_cbranch_execz .LBB120_54
; %bb.53:                               ;   in Loop: Header=BB120_52 Depth=2
	v_cvt_f32_u32_e32 v3, s54
	v_cvt_f32_u32_e32 v26, s55
	s_sub_u32 s0, 0, s54
	s_subb_u32 s1, 0, s55
	v_mac_f32_e32 v3, 0x4f800000, v26
	v_rcp_f32_e32 v3, v3
	v_mul_f32_e32 v3, 0x5f7ffffc, v3
	v_mul_f32_e32 v26, 0x2f800000, v3
	v_trunc_f32_e32 v26, v26
	v_mac_f32_e32 v3, 0xcf800000, v26
	v_cvt_u32_f32_e32 v26, v26
	v_cvt_u32_f32_e32 v3, v3
	v_mul_lo_u32 v27, s0, v26
	v_mul_hi_u32 v29, s0, v3
	v_mul_lo_u32 v28, s1, v3
	v_add_u32_e32 v27, v29, v27
	v_mul_lo_u32 v30, s0, v3
	v_add_u32_e32 v27, v27, v28
	v_mul_hi_u32 v29, v3, v30
	v_mul_lo_u32 v31, v3, v27
	v_mul_hi_u32 v28, v3, v27
	v_add_co_u32_e32 v29, vcc, v29, v31
	v_addc_co_u32_e32 v28, vcc, 0, v28, vcc
	s_waitcnt vmcnt(2)
	v_mul_hi_u32 v33, v26, v30
	v_mul_lo_u32 v30, v26, v30
	v_add_co_u32_e32 v29, vcc, v29, v30
	v_mul_hi_u32 v31, v26, v27
	v_addc_co_u32_e32 v28, vcc, v28, v33, vcc
	v_addc_co_u32_e32 v29, vcc, 0, v31, vcc
	v_mul_lo_u32 v27, v26, v27
	v_add_co_u32_e32 v27, vcc, v28, v27
	v_addc_co_u32_e32 v28, vcc, 0, v29, vcc
	v_add_co_u32_e32 v3, vcc, v3, v27
	v_addc_co_u32_e32 v26, vcc, v26, v28, vcc
	v_mul_lo_u32 v27, s0, v26
	v_mul_hi_u32 v28, s0, v3
	v_add_u32_e32 v27, v28, v27
	v_mul_lo_u32 v28, s1, v3
	v_add_u32_e32 v27, v27, v28
	v_mul_lo_u32 v29, s0, v3
	v_mul_hi_u32 v30, v26, v29
	v_mul_lo_u32 v31, v26, v29
	s_waitcnt vmcnt(1)
	v_mul_lo_u32 v34, v3, v27
	v_mul_hi_u32 v29, v3, v29
	v_mul_hi_u32 v33, v3, v27
	v_add_co_u32_e32 v29, vcc, v29, v34
	v_addc_co_u32_e32 v33, vcc, 0, v33, vcc
	v_add_co_u32_e32 v29, vcc, v29, v31
	v_mul_hi_u32 v28, v26, v27
	v_addc_co_u32_e32 v29, vcc, v33, v30, vcc
	v_addc_co_u32_e32 v28, vcc, 0, v28, vcc
	v_mul_lo_u32 v27, v26, v27
	v_add_co_u32_e32 v27, vcc, v29, v27
	v_addc_co_u32_e32 v28, vcc, 0, v28, vcc
	v_add_co_u32_e32 v3, vcc, v3, v27
	v_addc_co_u32_e32 v28, vcc, v26, v28, vcc
	v_mad_u64_u32 v[26:27], s[0:1], v24, v28, 0
	v_mul_hi_u32 v29, v24, v3
	v_add_co_u32_e32 v30, vcc, v29, v26
	v_addc_co_u32_e32 v31, vcc, 0, v27, vcc
	v_mad_u64_u32 v[26:27], s[0:1], v25, v28, 0
	v_mad_u64_u32 v[28:29], s[0:1], v25, v3, 0
	v_add_co_u32_e32 v3, vcc, v30, v28
	v_addc_co_u32_e32 v3, vcc, v31, v29, vcc
	v_addc_co_u32_e32 v27, vcc, 0, v27, vcc
	v_add_co_u32_e32 v3, vcc, v3, v26
	v_addc_co_u32_e32 v28, vcc, 0, v27, vcc
	v_mul_lo_u32 v29, s55, v3
	v_mul_lo_u32 v30, s54, v28
	v_mad_u64_u32 v[26:27], s[0:1], s54, v3, 0
	v_add3_u32 v27, v27, v30, v29
	v_sub_u32_e32 v29, v25, v27
	v_mov_b32_e32 v30, s55
	v_sub_co_u32_e32 v26, vcc, v24, v26
	v_subb_co_u32_e64 v29, s[0:1], v29, v30, vcc
	v_subrev_co_u32_e64 v30, s[0:1], s54, v26
	v_subbrev_co_u32_e64 v29, s[0:1], 0, v29, s[0:1]
	v_cmp_le_u32_e64 s[0:1], s55, v29
	v_cndmask_b32_e64 v31, 0, -1, s[0:1]
	v_cmp_le_u32_e64 s[0:1], s54, v30
	v_cndmask_b32_e64 v30, 0, -1, s[0:1]
	v_cmp_eq_u32_e64 s[0:1], s55, v29
	v_cndmask_b32_e64 v29, v31, v30, s[0:1]
	v_add_co_u32_e64 v30, s[0:1], 2, v3
	v_addc_co_u32_e64 v31, s[0:1], 0, v28, s[0:1]
	v_add_co_u32_e64 v33, s[0:1], 1, v3
	v_addc_co_u32_e64 v34, s[0:1], 0, v28, s[0:1]
	v_subb_co_u32_e32 v27, vcc, v25, v27, vcc
	v_cmp_ne_u32_e64 s[0:1], 0, v29
	v_cmp_le_u32_e32 vcc, s55, v27
	v_cndmask_b32_e64 v29, v34, v31, s[0:1]
	v_cndmask_b32_e64 v31, 0, -1, vcc
	v_cmp_le_u32_e32 vcc, s54, v26
	v_cndmask_b32_e64 v26, 0, -1, vcc
	v_cmp_eq_u32_e32 vcc, s55, v27
	v_cndmask_b32_e32 v26, v31, v26, vcc
	v_cmp_ne_u32_e32 vcc, 0, v26
	v_cndmask_b32_e64 v26, v33, v30, s[0:1]
	v_cndmask_b32_e32 v27, v28, v29, vcc
	v_cndmask_b32_e32 v26, v3, v26, vcc
.LBB120_54:                             ;   in Loop: Header=BB120_52 Depth=2
	s_andn2_saveexec_b64 s[0:1], s[56:57]
	s_cbranch_execz .LBB120_56
; %bb.55:                               ;   in Loop: Header=BB120_52 Depth=2
	v_cvt_f32_u32_e32 v3, s54
	s_sub_i32 s56, 0, s54
	v_rcp_iflag_f32_e32 v3, v3
	v_mul_f32_e32 v3, 0x4f7ffffe, v3
	v_cvt_u32_f32_e32 v3, v3
	v_mul_lo_u32 v26, s56, v3
	v_mul_hi_u32 v26, v3, v26
	v_add_u32_e32 v3, v3, v26
	v_mul_hi_u32 v3, v24, v3
	v_mul_lo_u32 v26, v3, s54
	v_sub_u32_e32 v26, v24, v26
	v_add_u32_e32 v27, 1, v3
	v_subrev_u32_e32 v28, s54, v26
	v_cmp_le_u32_e32 vcc, s54, v26
	v_cndmask_b32_e32 v26, v26, v28, vcc
	v_cndmask_b32_e32 v3, v3, v27, vcc
	v_add_u32_e32 v27, 1, v3
	v_cmp_le_u32_e32 vcc, s54, v26
	v_cndmask_b32_e32 v26, v3, v27, vcc
	v_mov_b32_e32 v27, v2
.LBB120_56:                             ;   in Loop: Header=BB120_52 Depth=2
	s_or_b64 exec, exec, s[0:1]
	v_mad_u64_u32 v[28:29], s[0:1], v26, s54, 0
	s_load_dwordx2 s[0:1], s[52:53], 0xc8
	v_mul_lo_u32 v3, v27, s54
	v_mul_lo_u32 v30, v26, s55
	v_add3_u32 v3, v29, v30, v3
	v_sub_co_u32_e32 v24, vcc, v24, v28
	s_add_i32 s58, s58, -1
	v_subb_co_u32_e32 v3, vcc, v25, v3, vcc
	s_add_u32 s52, s52, -8
	s_waitcnt lgkmcnt(0)
	v_mul_lo_u32 v3, s0, v3
	v_mul_lo_u32 v25, s1, v24
	v_mad_u64_u32 v[18:19], s[0:1], s0, v24, v[18:19]
	s_addc_u32 s53, s53, -1
	s_cmp_gt_u32 s58, 2
	v_add3_u32 v19, v25, v19, v3
	s_cbranch_scc0 .LBB120_63
; %bb.57:                               ;   in Loop: Header=BB120_52 Depth=2
	v_pk_mov_b32 v[24:25], v[26:27], v[26:27] op_sel:[0,1]
	s_branch .LBB120_52
.LBB120_58:                             ;   in Loop: Header=BB120_59 Depth=2
	s_or_b64 exec, exec, s[4:5]
	v_mad_u64_u32 v[24:25], s[4:5], v22, s54, 0
	s_load_dwordx2 s[4:5], s[52:53], 0xc8
	v_mul_lo_u32 v3, v23, s54
	v_mul_lo_u32 v26, v22, s55
	v_add3_u32 v3, v25, v26, v3
	v_sub_co_u32_e32 v18, vcc, v18, v24
	s_add_i32 s58, s58, -1
	v_subb_co_u32_e32 v3, vcc, v19, v3, vcc
	s_add_u32 s52, s52, -8
	s_waitcnt lgkmcnt(0)
	v_mul_lo_u32 v3, s4, v3
	v_mul_lo_u32 v19, s5, v18
	v_mad_u64_u32 v[20:21], s[4:5], s4, v18, v[20:21]
	s_addc_u32 s53, s53, -1
	s_cmp_gt_u32 s58, 2
	v_add3_u32 v21, v19, v21, v3
	v_pk_mov_b32 v[18:19], v[22:23], v[22:23] op_sel:[0,1]
	s_cbranch_scc0 .LBB120_49
.LBB120_59:                             ;   Parent Loop BB120_3 Depth=1
                                        ; =>  This Inner Loop Header: Depth=2
	s_load_dwordx2 s[54:55], s[52:53], 0x0
                                        ; implicit-def: $vgpr22_vgpr23
	s_waitcnt lgkmcnt(0)
	v_or_b32_e32 v3, s55, v19
	v_cmp_ne_u64_e32 vcc, 0, v[2:3]
	s_and_saveexec_b64 s[4:5], vcc
	s_xor_b64 s[56:57], exec, s[4:5]
	s_cbranch_execz .LBB120_61
; %bb.60:                               ;   in Loop: Header=BB120_59 Depth=2
	v_cvt_f32_u32_e32 v3, s54
	v_cvt_f32_u32_e32 v22, s55
	s_sub_u32 s4, 0, s54
	s_subb_u32 s5, 0, s55
	v_mac_f32_e32 v3, 0x4f800000, v22
	v_rcp_f32_e32 v3, v3
	v_mul_f32_e32 v3, 0x5f7ffffc, v3
	v_mul_f32_e32 v22, 0x2f800000, v3
	v_trunc_f32_e32 v22, v22
	v_mac_f32_e32 v3, 0xcf800000, v22
	v_cvt_u32_f32_e32 v22, v22
	v_cvt_u32_f32_e32 v3, v3
	v_mul_lo_u32 v23, s4, v22
	v_mul_hi_u32 v25, s4, v3
	v_mul_lo_u32 v24, s5, v3
	v_add_u32_e32 v23, v25, v23
	v_mul_lo_u32 v26, s4, v3
	v_add_u32_e32 v23, v23, v24
	v_mul_hi_u32 v25, v3, v26
	v_mul_lo_u32 v27, v3, v23
	v_mul_hi_u32 v24, v3, v23
	v_add_co_u32_e32 v25, vcc, v25, v27
	v_addc_co_u32_e32 v24, vcc, 0, v24, vcc
	v_mul_hi_u32 v28, v22, v26
	v_mul_lo_u32 v26, v22, v26
	v_add_co_u32_e32 v25, vcc, v25, v26
	v_mul_hi_u32 v27, v22, v23
	v_addc_co_u32_e32 v24, vcc, v24, v28, vcc
	v_addc_co_u32_e32 v25, vcc, 0, v27, vcc
	v_mul_lo_u32 v23, v22, v23
	v_add_co_u32_e32 v23, vcc, v24, v23
	v_addc_co_u32_e32 v24, vcc, 0, v25, vcc
	v_add_co_u32_e32 v3, vcc, v3, v23
	v_addc_co_u32_e32 v22, vcc, v22, v24, vcc
	v_mul_lo_u32 v23, s4, v22
	v_mul_hi_u32 v24, s4, v3
	v_add_u32_e32 v23, v24, v23
	v_mul_lo_u32 v24, s5, v3
	v_add_u32_e32 v23, v23, v24
	v_mul_lo_u32 v25, s4, v3
	v_mul_hi_u32 v26, v22, v25
	v_mul_lo_u32 v27, v22, v25
	v_mul_lo_u32 v29, v3, v23
	v_mul_hi_u32 v25, v3, v25
	v_mul_hi_u32 v28, v3, v23
	v_add_co_u32_e32 v25, vcc, v25, v29
	v_addc_co_u32_e32 v28, vcc, 0, v28, vcc
	v_add_co_u32_e32 v25, vcc, v25, v27
	v_mul_hi_u32 v24, v22, v23
	v_addc_co_u32_e32 v25, vcc, v28, v26, vcc
	v_addc_co_u32_e32 v24, vcc, 0, v24, vcc
	v_mul_lo_u32 v23, v22, v23
	v_add_co_u32_e32 v23, vcc, v25, v23
	v_addc_co_u32_e32 v24, vcc, 0, v24, vcc
	v_add_co_u32_e32 v3, vcc, v3, v23
	v_addc_co_u32_e32 v24, vcc, v22, v24, vcc
	v_mad_u64_u32 v[22:23], s[4:5], v18, v24, 0
	v_mul_hi_u32 v25, v18, v3
	v_add_co_u32_e32 v26, vcc, v25, v22
	v_addc_co_u32_e32 v27, vcc, 0, v23, vcc
	v_mad_u64_u32 v[22:23], s[4:5], v19, v24, 0
	v_mad_u64_u32 v[24:25], s[4:5], v19, v3, 0
	v_add_co_u32_e32 v3, vcc, v26, v24
	v_addc_co_u32_e32 v3, vcc, v27, v25, vcc
	v_addc_co_u32_e32 v23, vcc, 0, v23, vcc
	v_add_co_u32_e32 v3, vcc, v3, v22
	v_addc_co_u32_e32 v24, vcc, 0, v23, vcc
	v_mul_lo_u32 v25, s55, v3
	v_mul_lo_u32 v26, s54, v24
	v_mad_u64_u32 v[22:23], s[4:5], s54, v3, 0
	v_add3_u32 v23, v23, v26, v25
	v_sub_u32_e32 v25, v19, v23
	v_mov_b32_e32 v26, s55
	v_sub_co_u32_e32 v22, vcc, v18, v22
	v_subb_co_u32_e64 v25, s[4:5], v25, v26, vcc
	v_subrev_co_u32_e64 v26, s[4:5], s54, v22
	v_subbrev_co_u32_e64 v25, s[4:5], 0, v25, s[4:5]
	v_cmp_le_u32_e64 s[4:5], s55, v25
	v_cndmask_b32_e64 v27, 0, -1, s[4:5]
	v_cmp_le_u32_e64 s[4:5], s54, v26
	v_cndmask_b32_e64 v26, 0, -1, s[4:5]
	v_cmp_eq_u32_e64 s[4:5], s55, v25
	v_cndmask_b32_e64 v25, v27, v26, s[4:5]
	v_add_co_u32_e64 v26, s[4:5], 2, v3
	v_addc_co_u32_e64 v27, s[4:5], 0, v24, s[4:5]
	v_add_co_u32_e64 v28, s[4:5], 1, v3
	v_addc_co_u32_e64 v29, s[4:5], 0, v24, s[4:5]
	v_subb_co_u32_e32 v23, vcc, v19, v23, vcc
	v_cmp_ne_u32_e64 s[4:5], 0, v25
	v_cmp_le_u32_e32 vcc, s55, v23
	v_cndmask_b32_e64 v25, v29, v27, s[4:5]
	v_cndmask_b32_e64 v27, 0, -1, vcc
	v_cmp_le_u32_e32 vcc, s54, v22
	v_cndmask_b32_e64 v22, 0, -1, vcc
	v_cmp_eq_u32_e32 vcc, s55, v23
	v_cndmask_b32_e32 v22, v27, v22, vcc
	v_cmp_ne_u32_e32 vcc, 0, v22
	v_cndmask_b32_e64 v22, v28, v26, s[4:5]
	v_cndmask_b32_e32 v23, v24, v25, vcc
	v_cndmask_b32_e32 v22, v3, v22, vcc
.LBB120_61:                             ;   in Loop: Header=BB120_59 Depth=2
	s_andn2_saveexec_b64 s[4:5], s[56:57]
	s_cbranch_execz .LBB120_58
; %bb.62:                               ;   in Loop: Header=BB120_59 Depth=2
	v_cvt_f32_u32_e32 v3, s54
	s_sub_i32 s56, 0, s54
	v_rcp_iflag_f32_e32 v3, v3
	v_mul_f32_e32 v3, 0x4f7ffffe, v3
	v_cvt_u32_f32_e32 v3, v3
	v_mul_lo_u32 v22, s56, v3
	v_mul_hi_u32 v22, v3, v22
	v_add_u32_e32 v3, v3, v22
	v_mul_hi_u32 v3, v18, v3
	v_mul_lo_u32 v22, v3, s54
	v_sub_u32_e32 v22, v18, v22
	v_add_u32_e32 v23, 1, v3
	v_subrev_u32_e32 v24, s54, v22
	v_cmp_le_u32_e32 vcc, s54, v22
	v_cndmask_b32_e32 v22, v22, v24, vcc
	v_cndmask_b32_e32 v3, v3, v23, vcc
	v_add_u32_e32 v23, 1, v3
	v_cmp_le_u32_e32 vcc, s54, v22
	v_cndmask_b32_e32 v22, v3, v23, vcc
	v_mov_b32_e32 v23, v2
	s_branch .LBB120_58
.LBB120_63:                             ;   in Loop: Header=BB120_3 Depth=1
	v_mad_u64_u32 v[18:19], s[0:1], s18, v26, v[18:19]
	v_mul_lo_u32 v3, s18, v27
	v_mul_lo_u32 v24, s19, v26
	v_add3_u32 v19, v24, v19, v3
.LBB120_64:                             ;   in Loop: Header=BB120_3 Depth=1
	s_or_b64 exec, exec, s[6:7]
	v_pk_mov_b32 v[24:25], 0, 0
	s_and_saveexec_b64 s[6:7], s[4:5]
	s_cbranch_execz .LBB120_67
; %bb.65:                               ;   in Loop: Header=BB120_3 Depth=1
	s_and_b64 vcc, exec, s[2:3]
	v_pk_mov_b32 v[24:25], 0, 0
	s_mov_b64 s[2:3], s[34:35]
	s_mov_b32 s54, s65
	s_cbranch_vccz .LBB120_97
.LBB120_66:                             ;   in Loop: Header=BB120_3 Depth=1
	v_mad_u64_u32 v[24:25], s[0:1], s20, v22, v[24:25]
	v_mul_lo_u32 v3, s20, v23
	v_mul_lo_u32 v22, s21, v22
	v_add3_u32 v25, v22, v25, v3
.LBB120_67:                             ;   in Loop: Header=BB120_3 Depth=1
	s_or_b64 exec, exec, s[6:7]
	v_lshlrev_b64 v[12:13], 2, v[12:13]
	v_mov_b32_e32 v3, s17
	v_add_co_u32_e32 v12, vcc, s16, v12
	v_addc_co_u32_e32 v13, vcc, v3, v13, vcc
	v_lshlrev_b64 v[16:17], 2, v[16:17]
	v_add_co_u32_e32 v16, vcc, s16, v16
	v_addc_co_u32_e32 v17, vcc, v3, v17, vcc
	v_lshlrev_b64 v[20:21], 2, v[20:21]
	;; [unrolled: 3-line block ×3, first 2 shown]
	v_add_co_u32_e32 v22, vcc, s16, v22
	v_addc_co_u32_e32 v23, vcc, v3, v23, vcc
	global_load_dword v3, v[12:13], off
	global_load_dword v33, v[16:17], off
	;; [unrolled: 1-line block ×4, first 2 shown]
	s_andn2_b64 vcc, exec, s[26:27]
	v_pk_mov_b32 v[12:13], s[12:13], s[12:13] op_sel:[0,1]
	v_pk_mov_b32 v[16:17], s[10:11], s[10:11] op_sel:[0,1]
	s_cbranch_vccnz .LBB120_69
; %bb.68:                               ;   in Loop: Header=BB120_3 Depth=1
	v_pk_mov_b32 v[12:13], s[12:13], s[12:13] op_sel:[0,1]
	flat_load_dwordx2 v[12:13], v[12:13]
	v_pk_mov_b32 v[16:17], s[10:11], s[10:11] op_sel:[0,1]
	flat_load_dwordx2 v[16:17], v[16:17]
	v_mov_b32_e32 v20, s15
	s_waitcnt vmcnt(0) lgkmcnt(0)
	v_add_co_u32_e32 v12, vcc, s14, v12
	v_addc_co_u32_e32 v13, vcc, v13, v20, vcc
.LBB120_69:                             ;   in Loop: Header=BB120_3 Depth=1
	v_alignbit_b32 v28, v13, v12, 2
	v_lshrrev_b32_e32 v29, 2, v13
	v_xor_b32_e32 v20, v6, v16
	v_and_b32_e32 v36, 3, v12
	v_mad_u64_u32 v[12:13], s[0:1], v28, s66, 0
	v_xor_b32_e32 v20, v20, v29
	v_xor_b32_e32 v13, v13, v17
	v_add_u32_e32 v41, 0xbb67ae85, v17
	v_mad_u64_u32 v[20:21], s[0:1], v20, s66, 0
	v_mad_u64_u32 v[22:23], s[0:1], v13, s33, 0
	v_xor_b32_e32 v21, v41, v21
	v_add_u32_e32 v40, 0x9e3779b9, v16
	v_xor_b32_e32 v13, v4, v23
	v_xor_b32_e32 v21, v21, v12
	v_xor_b32_e32 v13, v13, v40
	v_add_u32_e32 v42, 0x3c6ef372, v16
	v_mad_u64_u32 v[24:25], s[0:1], v21, s33, 0
	v_add_u32_e32 v43, 0x76cf5d0a, v17
	v_mad_u64_u32 v[12:13], s[0:1], v13, s66, 0
	v_xor_b32_e32 v21, v42, v25
	v_xor_b32_e32 v21, v21, v22
	v_xor_b32_e32 v13, v43, v13
	v_xor_b32_e32 v13, v13, v20
	v_add_u32_e32 v45, 0x32370b8f, v17
	v_mad_u64_u32 v[20:21], s[0:1], v21, s66, 0
	v_add_u32_e32 v44, 0xdaa66d2b, v16
	v_mad_u64_u32 v[22:23], s[0:1], v13, s33, 0
	v_xor_b32_e32 v21, v45, v21
	;; [unrolled: 8-line block ×5, first 2 shown]
	v_xor_b32_e32 v21, v21, v22
	v_xor_b32_e32 v13, v51, v13
	;; [unrolled: 1-line block ×3, first 2 shown]
	v_add_u32_e32 v53, 0x1fd5c5a3, v17
	v_mad_u64_u32 v[20:21], s[0:1], v21, s66, 0
	v_xor_b32_e32 v21, v53, v21
	v_xor_b32_e32 v12, v21, v12
	v_add_u32_e32 v52, 0x5384540f, v16
	v_mad_u64_u32 v[26:27], s[0:1], v13, s33, 0
	v_add_co_u32_e32 v38, vcc, s67, v16
	v_mad_u64_u32 v[22:23], s[0:1], v12, s33, 0
	v_xor_b32_e32 v13, v52, v27
	v_xor_b32_e32 v12, v38, v23
	;; [unrolled: 1-line block ×4, first 2 shown]
	v_mad_u64_u32 v[24:25], s[0:1], v13, s66, 0
	v_mad_u64_u32 v[12:13], s[0:1], v12, s66, 0
	v_add_u32_e32 v39, 0x96a522ad, v17
	v_xor_b32_e32 v13, v13, v24
	v_xor_b32_e32 v37, v39, v13
	v_add_co_u32_e32 v13, vcc, 1, v28
	v_cndmask_b32_e64 v24, 0, 1, vcc
	v_addc_co_u32_e32 v30, vcc, 0, v29, vcc
	v_cmp_eq_u32_e32 vcc, 0, v30
	v_cndmask_b32_e32 v24, 0, v24, vcc
	v_add_u32_e32 v28, v24, v7
	v_cmp_eq_u32_e32 vcc, 0, v28
	v_mad_u64_u32 v[26:27], s[0:1], v13, s66, 0
	v_mad_u64_u32 v[28:29], s[0:1], v28, s33, 0
	v_add_u32_e32 v23, 0x8ff34781, v16
	v_cndmask_b32_e32 v24, 0, v24, vcc
	v_xor_b32_e32 v13, v29, v16
	v_xor_b32_e32 v16, v27, v17
	;; [unrolled: 1-line block ×4, first 2 shown]
	v_mad_u64_u32 v[30:31], s[0:1], v24, s33, 0
	v_add_u32_e32 v21, 0xdb3d7428, v17
	v_mad_u64_u32 v[16:17], s[0:1], v13, s66, 0
	v_xor_b32_e32 v13, v40, v31
	v_xor_b32_e32 v13, v13, v28
	v_xor_b32_e32 v17, v41, v17
	v_xor_b32_e32 v17, v17, v26
	v_mad_u64_u32 v[26:27], s[0:1], v13, s66, 0
	v_mad_u64_u32 v[28:29], s[0:1], v17, s33, 0
	v_xor_b32_e32 v17, v43, v27
	v_xor_b32_e32 v13, v42, v29
	v_xor_b32_e32 v24, v17, v16
	v_xor_b32_e32 v13, v13, v30
	v_mad_u64_u32 v[30:31], s[0:1], v24, s33, 0
	;; [unrolled: 6-line block ×7, first 2 shown]
	v_xor_b32_e32 v13, v21, v29
	v_xor_b32_e32 v13, v13, v16
	v_mad_u64_u32 v[30:31], s[0:1], v17, s33, 0
	v_mad_u64_u32 v[16:17], s[0:1], v13, s33, 0
	v_xor_b32_e32 v13, v17, v30
	v_xor_b32_e32 v13, v23, v13
	v_cmp_lt_i32_e32 vcc, 1, v36
                                        ; implicit-def: $vgpr27
	s_and_saveexec_b64 s[0:1], vcc
	s_xor_b64 s[0:1], exec, s[0:1]
	s_cbranch_execz .LBB120_75
; %bb.70:                               ;   in Loop: Header=BB120_3 Depth=1
	v_cmp_lt_i32_e32 vcc, 2, v36
                                        ; implicit-def: $vgpr27
	s_and_saveexec_b64 s[2:3], vcc
	s_xor_b64 s[2:3], exec, s[2:3]
; %bb.71:                               ;   in Loop: Header=BB120_3 Depth=1
	v_xor_b32_e32 v17, v38, v31
	v_xor_b32_e32 v17, v17, v26
	v_mul_hi_u32 v17, v17, s66
	v_xor_b32_e32 v17, v17, v28
	v_xor_b32_e32 v27, v39, v17
                                        ; implicit-def: $vgpr37
; %bb.72:                               ;   in Loop: Header=BB120_3 Depth=1
	s_andn2_saveexec_b64 s[2:3], s[2:3]
; %bb.73:                               ;   in Loop: Header=BB120_3 Depth=1
	v_mov_b32_e32 v27, v16
	v_mov_b32_e32 v16, v13
	;; [unrolled: 1-line block ×4, first 2 shown]
; %bb.74:                               ;   in Loop: Header=BB120_3 Depth=1
	s_or_b64 exec, exec, s[2:3]
                                        ; implicit-def: $vgpr20_vgpr21
                                        ; implicit-def: $vgpr22_vgpr23
                                        ; implicit-def: $vgpr36
                                        ; implicit-def: $vgpr37
                                        ; implicit-def: $vgpr24_vgpr25
                                        ; implicit-def: $vgpr21
                                        ; implicit-def: $vgpr23
.LBB120_75:                             ;   in Loop: Header=BB120_3 Depth=1
	s_andn2_saveexec_b64 s[0:1], s[0:1]
	s_cbranch_execz .LBB120_79
; %bb.76:                               ;   in Loop: Header=BB120_3 Depth=1
	v_xor_b32_e32 v16, v21, v25
	v_xor_b32_e32 v16, v16, v20
	v_mad_u64_u32 v[20:21], s[2:3], v16, s33, 0
	v_xor_b32_e32 v16, v21, v22
	v_xor_b32_e32 v17, v23, v16
	v_cmp_eq_u32_e32 vcc, 1, v36
	v_mov_b32_e32 v27, v12
	v_mov_b32_e32 v16, v37
	;; [unrolled: 1-line block ×3, first 2 shown]
	s_and_saveexec_b64 s[2:3], vcc
; %bb.77:                               ;   in Loop: Header=BB120_3 Depth=1
	v_mov_b32_e32 v27, v13
	v_mov_b32_e32 v16, v12
	;; [unrolled: 1-line block ×4, first 2 shown]
; %bb.78:                               ;   in Loop: Header=BB120_3 Depth=1
	s_or_b64 exec, exec, s[2:3]
	v_mov_b32_e32 v12, v17
	v_mov_b32_e32 v13, v21
.LBB120_79:                             ;   in Loop: Header=BB120_3 Depth=1
	s_or_b64 exec, exec, s[0:1]
	v_min_i32_e32 v17, 4, v32
	v_cmp_lt_i32_e32 vcc, 2, v17
	s_mov_b64 s[2:3], 0
	s_mov_b64 s[58:59], 0
	;; [unrolled: 1-line block ×3, first 2 shown]
                                        ; implicit-def: $sgpr6_sgpr7
                                        ; implicit-def: $sgpr52_sgpr53
                                        ; implicit-def: $sgpr54_sgpr55
	s_and_saveexec_b64 s[0:1], vcc
	s_xor_b64 s[56:57], exec, s[0:1]
	s_cbranch_execz .LBB120_91
; %bb.80:                               ;   in Loop: Header=BB120_3 Depth=1
	v_cmp_lt_i32_e32 vcc, 3, v17
	s_mov_b64 s[0:1], -1
	s_mov_b64 s[60:61], 0
                                        ; implicit-def: $sgpr4_sgpr5
                                        ; implicit-def: $sgpr6_sgpr7
	s_and_saveexec_b64 s[52:53], vcc
	s_cbranch_execz .LBB120_86
; %bb.81:                               ;   in Loop: Header=BB120_3 Depth=1
	v_cmp_eq_u32_e32 vcc, 4, v17
	s_mov_b64 s[0:1], 0
	s_mov_b64 s[60:61], -1
                                        ; implicit-def: $sgpr4_sgpr5
                                        ; implicit-def: $sgpr6_sgpr7
	s_and_saveexec_b64 s[54:55], vcc
	s_cbranch_execz .LBB120_85
; %bb.82:                               ;   in Loop: Header=BB120_3 Depth=1
	s_waitcnt vmcnt(0)
	v_cmp_le_f32_e32 vcc, 0, v35
	v_cmp_ge_f32_e64 s[0:1], 1.0, v35
	s_and_b64 s[60:61], vcc, s[0:1]
	s_mov_b64 s[4:5], 0
	s_mov_b64 s[0:1], 0
	s_and_saveexec_b64 s[6:7], s[60:61]
	s_cbranch_execz .LBB120_84
; %bb.83:                               ;   in Loop: Header=BB120_3 Depth=1
	v_cvt_f32_u32_e32 v20, v27
	v_mov_b32_e32 v21, 0x2f800000
	v_mov_b32_e32 v22, s25
	v_add_co_u32_e32 v18, vcc, s24, v18
	v_fmac_f32_e32 v21, 0x2f800000, v20
	v_addc_co_u32_e32 v19, vcc, v22, v19, vcc
	v_cmp_le_f32_e32 vcc, v21, v35
	s_mov_b64 s[0:1], exec
	v_cndmask_b32_e64 v20, 0, 1, vcc
	global_store_byte v[18:19], v20, off
.LBB120_84:                             ;   in Loop: Header=BB120_3 Depth=1
	s_or_b64 exec, exec, s[6:7]
	s_mov_b64 s[6:7], -1
	s_xor_b64 s[60:61], exec, -1
	s_and_b64 s[0:1], s[0:1], exec
.LBB120_85:                             ;   in Loop: Header=BB120_3 Depth=1
	s_or_b64 exec, exec, s[54:55]
	s_and_b64 s[60:61], s[60:61], exec
	s_orn2_b64 s[0:1], s[0:1], exec
.LBB120_86:                             ;   in Loop: Header=BB120_3 Depth=1
	s_or_b64 exec, exec, s[52:53]
	s_mov_b64 s[54:55], s[4:5]
	s_and_saveexec_b64 s[52:53], s[0:1]
	s_cbranch_execz .LBB120_90
; %bb.87:                               ;   in Loop: Header=BB120_3 Depth=1
	s_waitcnt vmcnt(1)
	v_cmp_le_f32_e32 vcc, 0, v34
	v_cmp_ge_f32_e64 s[0:1], 1.0, v34
	s_and_b64 s[54:55], vcc, s[0:1]
	s_mov_b64 s[0:1], 0
	s_and_saveexec_b64 s[58:59], s[54:55]
	s_xor_b64 s[54:55], exec, s[58:59]
	s_cbranch_execz .LBB120_89
; %bb.88:                               ;   in Loop: Header=BB120_3 Depth=1
	v_cvt_f32_u32_e32 v16, v16
	v_mov_b32_e32 v18, 0x2f800000
	v_mov_b32_e32 v19, s25
	v_add_co_u32_e32 v14, vcc, s24, v14
	v_fmac_f32_e32 v18, 0x2f800000, v16
	v_addc_co_u32_e32 v15, vcc, v19, v15, vcc
	v_cmp_le_f32_e32 vcc, v18, v34
	v_cndmask_b32_e64 v16, 0, 1, vcc
	s_mov_b64 s[0:1], exec
	global_store_byte v[14:15], v16, off
.LBB120_89:                             ;   in Loop: Header=BB120_3 Depth=1
	s_or_b64 exec, exec, s[54:55]
	s_andn2_b64 s[54:55], s[4:5], exec
	s_or_b64 s[4:5], s[4:5], exec
	s_andn2_b64 s[6:7], s[6:7], exec
	s_and_b64 s[58:59], s[0:1], exec
.LBB120_90:                             ;   in Loop: Header=BB120_3 Depth=1
	s_or_b64 exec, exec, s[52:53]
	s_and_b64 s[54:55], s[54:55], exec
	s_and_b64 s[52:53], s[4:5], exec
	;; [unrolled: 1-line block ×5, first 2 shown]
.LBB120_91:                             ;   in Loop: Header=BB120_3 Depth=1
	s_andn2_saveexec_b64 s[0:1], s[56:57]
; %bb.92:                               ;   in Loop: Header=BB120_3 Depth=1
	v_cmp_lt_i32_e32 vcc, 1, v17
	s_andn2_b64 s[56:57], s[58:59], exec
	s_and_b64 s[58:59], vcc, exec
	s_mov_b64 s[2:3], exec
	s_andn2_b64 s[54:55], s[54:55], exec
	s_andn2_b64 s[52:53], s[52:53], exec
	;; [unrolled: 1-line block ×3, first 2 shown]
	s_or_b64 s[58:59], s[56:57], s[58:59]
; %bb.93:                               ;   in Loop: Header=BB120_3 Depth=1
	s_or_b64 exec, exec, s[0:1]
	s_mov_b64 s[0:1], 0
	s_mov_b64 s[56:57], s[54:55]
	s_and_saveexec_b64 s[60:61], s[58:59]
	s_cbranch_execnz .LBB120_101
; %bb.94:                               ;   in Loop: Header=BB120_3 Depth=1
	s_or_b64 exec, exec, s[60:61]
	s_and_saveexec_b64 s[58:59], s[2:3]
	s_cbranch_execnz .LBB120_104
.LBB120_95:                             ;   in Loop: Header=BB120_3 Depth=1
	s_or_b64 exec, exec, s[58:59]
	s_and_saveexec_b64 s[2:3], s[0:1]
	s_cbranch_execnz .LBB120_105
	s_branch .LBB120_108
.LBB120_96:                             ;   in Loop: Header=BB120_97 Depth=2
	s_or_b64 exec, exec, s[0:1]
	v_mad_u64_u32 v[28:29], s[0:1], v26, s4, 0
	s_load_dwordx2 s[0:1], s[2:3], 0xc8
	v_mul_lo_u32 v3, v27, s4
	v_mul_lo_u32 v30, v26, s5
	v_add3_u32 v3, v29, v30, v3
	v_sub_co_u32_e32 v22, vcc, v22, v28
	s_add_i32 s54, s54, -1
	v_subb_co_u32_e32 v3, vcc, v23, v3, vcc
	s_add_u32 s2, s2, -8
	s_waitcnt lgkmcnt(0)
	v_mul_lo_u32 v3, s0, v3
	v_mul_lo_u32 v23, s1, v22
	v_mad_u64_u32 v[24:25], s[0:1], s0, v22, v[24:25]
	s_addc_u32 s3, s3, -1
	s_cmp_gt_u32 s54, 2
	v_add3_u32 v25, v23, v25, v3
	v_pk_mov_b32 v[22:23], v[26:27], v[26:27] op_sel:[0,1]
	s_cbranch_scc0 .LBB120_66
.LBB120_97:                             ;   Parent Loop BB120_3 Depth=1
                                        ; =>  This Inner Loop Header: Depth=2
	s_load_dwordx2 s[4:5], s[2:3], 0x0
                                        ; implicit-def: $vgpr26_vgpr27
	s_waitcnt lgkmcnt(0)
	v_or_b32_e32 v3, s5, v23
	v_cmp_ne_u64_e32 vcc, 0, v[2:3]
	s_and_saveexec_b64 s[0:1], vcc
	s_xor_b64 s[52:53], exec, s[0:1]
	s_cbranch_execz .LBB120_99
; %bb.98:                               ;   in Loop: Header=BB120_97 Depth=2
	v_cvt_f32_u32_e32 v3, s4
	v_cvt_f32_u32_e32 v26, s5
	s_sub_u32 s0, 0, s4
	s_subb_u32 s1, 0, s5
	v_mac_f32_e32 v3, 0x4f800000, v26
	v_rcp_f32_e32 v3, v3
	v_mul_f32_e32 v3, 0x5f7ffffc, v3
	v_mul_f32_e32 v26, 0x2f800000, v3
	v_trunc_f32_e32 v26, v26
	v_mac_f32_e32 v3, 0xcf800000, v26
	v_cvt_u32_f32_e32 v26, v26
	v_cvt_u32_f32_e32 v3, v3
	v_mul_lo_u32 v27, s0, v26
	v_mul_hi_u32 v29, s0, v3
	v_mul_lo_u32 v28, s1, v3
	v_add_u32_e32 v27, v29, v27
	v_mul_lo_u32 v30, s0, v3
	v_add_u32_e32 v27, v27, v28
	v_mul_hi_u32 v29, v3, v30
	v_mul_lo_u32 v31, v3, v27
	v_mul_hi_u32 v28, v3, v27
	v_add_co_u32_e32 v29, vcc, v29, v31
	v_addc_co_u32_e32 v28, vcc, 0, v28, vcc
	s_waitcnt vmcnt(2)
	v_mul_hi_u32 v33, v26, v30
	v_mul_lo_u32 v30, v26, v30
	v_add_co_u32_e32 v29, vcc, v29, v30
	v_mul_hi_u32 v31, v26, v27
	v_addc_co_u32_e32 v28, vcc, v28, v33, vcc
	v_addc_co_u32_e32 v29, vcc, 0, v31, vcc
	v_mul_lo_u32 v27, v26, v27
	v_add_co_u32_e32 v27, vcc, v28, v27
	v_addc_co_u32_e32 v28, vcc, 0, v29, vcc
	v_add_co_u32_e32 v3, vcc, v3, v27
	v_addc_co_u32_e32 v26, vcc, v26, v28, vcc
	v_mul_lo_u32 v27, s0, v26
	v_mul_hi_u32 v28, s0, v3
	v_add_u32_e32 v27, v28, v27
	v_mul_lo_u32 v28, s1, v3
	v_add_u32_e32 v27, v27, v28
	v_mul_lo_u32 v29, s0, v3
	v_mul_hi_u32 v30, v26, v29
	v_mul_lo_u32 v31, v26, v29
	s_waitcnt vmcnt(1)
	v_mul_lo_u32 v34, v3, v27
	v_mul_hi_u32 v29, v3, v29
	v_mul_hi_u32 v33, v3, v27
	v_add_co_u32_e32 v29, vcc, v29, v34
	v_addc_co_u32_e32 v33, vcc, 0, v33, vcc
	v_add_co_u32_e32 v29, vcc, v29, v31
	v_mul_hi_u32 v28, v26, v27
	v_addc_co_u32_e32 v29, vcc, v33, v30, vcc
	v_addc_co_u32_e32 v28, vcc, 0, v28, vcc
	v_mul_lo_u32 v27, v26, v27
	v_add_co_u32_e32 v27, vcc, v29, v27
	v_addc_co_u32_e32 v28, vcc, 0, v28, vcc
	v_add_co_u32_e32 v3, vcc, v3, v27
	v_addc_co_u32_e32 v28, vcc, v26, v28, vcc
	v_mad_u64_u32 v[26:27], s[0:1], v22, v28, 0
	v_mul_hi_u32 v29, v22, v3
	v_add_co_u32_e32 v30, vcc, v29, v26
	v_addc_co_u32_e32 v31, vcc, 0, v27, vcc
	v_mad_u64_u32 v[26:27], s[0:1], v23, v28, 0
	v_mad_u64_u32 v[28:29], s[0:1], v23, v3, 0
	v_add_co_u32_e32 v3, vcc, v30, v28
	v_addc_co_u32_e32 v3, vcc, v31, v29, vcc
	v_addc_co_u32_e32 v27, vcc, 0, v27, vcc
	v_add_co_u32_e32 v3, vcc, v3, v26
	v_addc_co_u32_e32 v28, vcc, 0, v27, vcc
	v_mul_lo_u32 v29, s5, v3
	v_mul_lo_u32 v30, s4, v28
	v_mad_u64_u32 v[26:27], s[0:1], s4, v3, 0
	v_add3_u32 v27, v27, v30, v29
	v_sub_u32_e32 v29, v23, v27
	v_mov_b32_e32 v30, s5
	v_sub_co_u32_e32 v26, vcc, v22, v26
	v_subb_co_u32_e64 v29, s[0:1], v29, v30, vcc
	v_subrev_co_u32_e64 v30, s[0:1], s4, v26
	v_subbrev_co_u32_e64 v29, s[0:1], 0, v29, s[0:1]
	v_cmp_le_u32_e64 s[0:1], s5, v29
	v_cndmask_b32_e64 v31, 0, -1, s[0:1]
	v_cmp_le_u32_e64 s[0:1], s4, v30
	v_cndmask_b32_e64 v30, 0, -1, s[0:1]
	v_cmp_eq_u32_e64 s[0:1], s5, v29
	v_cndmask_b32_e64 v29, v31, v30, s[0:1]
	v_add_co_u32_e64 v30, s[0:1], 2, v3
	v_addc_co_u32_e64 v31, s[0:1], 0, v28, s[0:1]
	v_add_co_u32_e64 v33, s[0:1], 1, v3
	v_addc_co_u32_e64 v34, s[0:1], 0, v28, s[0:1]
	v_subb_co_u32_e32 v27, vcc, v23, v27, vcc
	v_cmp_ne_u32_e64 s[0:1], 0, v29
	v_cmp_le_u32_e32 vcc, s5, v27
	v_cndmask_b32_e64 v29, v34, v31, s[0:1]
	v_cndmask_b32_e64 v31, 0, -1, vcc
	v_cmp_le_u32_e32 vcc, s4, v26
	v_cndmask_b32_e64 v26, 0, -1, vcc
	v_cmp_eq_u32_e32 vcc, s5, v27
	v_cndmask_b32_e32 v26, v31, v26, vcc
	v_cmp_ne_u32_e32 vcc, 0, v26
	v_cndmask_b32_e64 v26, v33, v30, s[0:1]
	v_cndmask_b32_e32 v27, v28, v29, vcc
	v_cndmask_b32_e32 v26, v3, v26, vcc
.LBB120_99:                             ;   in Loop: Header=BB120_97 Depth=2
	s_andn2_saveexec_b64 s[0:1], s[52:53]
	s_cbranch_execz .LBB120_96
; %bb.100:                              ;   in Loop: Header=BB120_97 Depth=2
	v_cvt_f32_u32_e32 v3, s4
	s_sub_i32 s52, 0, s4
	v_rcp_iflag_f32_e32 v3, v3
	v_mul_f32_e32 v3, 0x4f7ffffe, v3
	v_cvt_u32_f32_e32 v3, v3
	v_mul_lo_u32 v26, s52, v3
	v_mul_hi_u32 v26, v3, v26
	v_add_u32_e32 v3, v3, v26
	v_mul_hi_u32 v3, v22, v3
	v_mul_lo_u32 v26, v3, s4
	v_sub_u32_e32 v26, v22, v26
	v_add_u32_e32 v27, 1, v3
	v_subrev_u32_e32 v28, s4, v26
	v_cmp_le_u32_e32 vcc, s4, v26
	v_cndmask_b32_e32 v26, v26, v28, vcc
	v_cndmask_b32_e32 v3, v3, v27, vcc
	v_add_u32_e32 v27, 1, v3
	v_cmp_le_u32_e32 vcc, s4, v26
	v_cndmask_b32_e32 v26, v3, v27, vcc
	v_mov_b32_e32 v27, v2
	s_branch .LBB120_96
.LBB120_101:                            ;   in Loop: Header=BB120_3 Depth=1
	s_waitcnt vmcnt(2)
	v_cmp_le_f32_e32 vcc, 0, v33
	v_cmp_ge_f32_e64 s[0:1], 1.0, v33
	s_and_b64 s[56:57], vcc, s[0:1]
	s_mov_b64 s[0:1], 0
	s_and_saveexec_b64 s[58:59], s[56:57]
	s_xor_b64 s[56:57], exec, s[58:59]
	s_cbranch_execz .LBB120_103
; %bb.102:                              ;   in Loop: Header=BB120_3 Depth=1
	v_cvt_f32_u32_e32 v13, v13
	v_mov_b32_e32 v14, 0x2f800000
	v_mov_b32_e32 v15, s25
	v_add_co_u32_e32 v10, vcc, s24, v10
	v_fmac_f32_e32 v14, 0x2f800000, v13
	v_addc_co_u32_e32 v11, vcc, v15, v11, vcc
	v_cmp_le_f32_e32 vcc, v14, v33
	v_cndmask_b32_e64 v13, 0, 1, vcc
	s_mov_b64 s[0:1], exec
	global_store_byte v[10:11], v13, off
.LBB120_103:                            ;   in Loop: Header=BB120_3 Depth=1
	s_or_b64 exec, exec, s[56:57]
	s_andn2_b64 s[56:57], s[54:55], exec
	s_or_b64 s[54:55], s[54:55], exec
	s_andn2_b64 s[52:53], s[52:53], exec
	s_andn2_b64 s[6:7], s[6:7], exec
	s_and_b64 s[0:1], s[0:1], exec
	s_andn2_b64 s[2:3], s[2:3], exec
	s_or_b64 exec, exec, s[60:61]
	s_and_saveexec_b64 s[58:59], s[2:3]
	s_cbranch_execz .LBB120_95
.LBB120_104:                            ;   in Loop: Header=BB120_3 Depth=1
	v_cmp_eq_u32_e32 vcc, 1, v17
	s_andn2_b64 s[0:1], s[0:1], exec
	s_and_b64 s[2:3], vcc, exec
	s_andn2_b64 s[56:57], s[56:57], exec
	s_andn2_b64 s[54:55], s[54:55], exec
	;; [unrolled: 1-line block ×4, first 2 shown]
	s_or_b64 s[4:5], s[4:5], exec
	s_or_b64 s[0:1], s[0:1], s[2:3]
	s_or_b64 exec, exec, s[58:59]
	s_and_saveexec_b64 s[2:3], s[0:1]
	s_cbranch_execz .LBB120_108
.LBB120_105:                            ;   in Loop: Header=BB120_3 Depth=1
	s_waitcnt vmcnt(3)
	v_cmp_le_f32_e32 vcc, 0, v3
	v_cmp_ge_f32_e64 s[0:1], 1.0, v3
	s_and_b64 s[60:61], vcc, s[0:1]
	s_mov_b64 s[0:1], 0
	s_and_saveexec_b64 s[58:59], s[60:61]
	s_cbranch_execz .LBB120_107
; %bb.106:                              ;   in Loop: Header=BB120_3 Depth=1
	v_cvt_f32_u32_e32 v10, v12
	v_mov_b32_e32 v11, 0x2f800000
	v_mov_b32_e32 v12, s25
	v_add_co_u32_e32 v8, vcc, s24, v8
	v_fmac_f32_e32 v11, 0x2f800000, v10
	v_addc_co_u32_e32 v9, vcc, v12, v9, vcc
	v_cmp_le_f32_e32 vcc, v11, v3
	s_mov_b64 s[0:1], exec
	v_cndmask_b32_e64 v3, 0, 1, vcc
	global_store_byte v[8:9], v3, off
.LBB120_107:                            ;   in Loop: Header=BB120_3 Depth=1
	s_or_b64 exec, exec, s[58:59]
	s_andn2_b64 s[4:5], s[4:5], exec
	s_and_b64 s[0:1], s[0:1], exec
	s_or_b64 s[56:57], s[56:57], exec
	s_andn2_b64 s[54:55], s[54:55], exec
	s_andn2_b64 s[52:53], s[52:53], exec
	;; [unrolled: 1-line block ×3, first 2 shown]
	s_or_b64 s[4:5], s[4:5], s[0:1]
.LBB120_108:                            ;   in Loop: Header=BB120_3 Depth=1
	s_or_b64 exec, exec, s[2:3]
	s_andn2_b64 s[2:3], s[50:51], exec
	s_and_b64 s[50:51], s[56:57], exec
	s_or_b64 s[50:51], s[2:3], s[50:51]
	s_andn2_b64 s[2:3], s[48:49], exec
	s_and_b64 s[48:49], s[54:55], exec
	s_or_b64 s[48:49], s[2:3], s[48:49]
	;; [unrolled: 3-line block ×3, first 2 shown]
	s_andn2_b64 s[2:3], s[44:45], exec
	s_and_b64 s[6:7], s[6:7], exec
	s_mov_b64 s[0:1], -1
	s_or_b64 s[44:45], s[2:3], s[6:7]
	s_and_saveexec_b64 s[2:3], s[4:5]
	s_cbranch_execz .LBB120_2
; %bb.109:                              ;   in Loop: Header=BB120_3 Depth=1
	s_waitcnt vmcnt(3)
	v_mov_b32_e32 v3, s63
	v_add_co_u32_e32 v0, vcc, s62, v0
	v_addc_co_u32_e32 v1, vcc, v1, v3, vcc
	v_cmp_le_u64_e32 vcc, s[8:9], v[0:1]
	s_andn2_b64 s[50:51], s[50:51], exec
	s_andn2_b64 s[48:49], s[48:49], exec
	;; [unrolled: 1-line block ×4, first 2 shown]
	s_orn2_b64 s[0:1], vcc, exec
	s_branch .LBB120_2
.LBB120_110:
	s_or_b64 exec, exec, s[36:37]
	s_xor_b64 s[6:7], s[42:43], -1
	s_xor_b64 s[8:9], s[40:41], -1
	;; [unrolled: 1-line block ×3, first 2 shown]
	s_mov_b64 s[2:3], 0
	s_and_saveexec_b64 s[4:5], s[0:1]
	s_xor_b64 s[0:1], exec, s[4:5]
	s_cbranch_execnz .LBB120_115
; %bb.111:
	s_andn2_saveexec_b64 s[0:1], s[0:1]
	s_cbranch_execnz .LBB120_123
.LBB120_112:
	s_or_b64 exec, exec, s[0:1]
	s_and_b64 exec, exec, s[2:3]
.LBB120_113:
	; divergent unreachable
.LBB120_114:
	s_endpgm
.LBB120_115:
	s_mov_b64 s[4:5], 0
	s_and_saveexec_b64 s[2:3], s[8:9]
	s_xor_b64 s[2:3], exec, s[2:3]
	s_cbranch_execz .LBB120_121
; %bb.116:
	s_and_saveexec_b64 s[8:9], s[6:7]
	s_xor_b64 s[6:7], exec, s[8:9]
	s_cbranch_execz .LBB120_119
; %bb.117:
	s_and_saveexec_b64 s[8:9], s[28:29]
	s_xor_b64 s[8:9], exec, s[8:9]
	s_cbranch_execnz .LBB120_126
.LBB120_118:
	s_or_b64 exec, exec, s[8:9]
	s_and_b64 s[4:5], s[4:5], exec
.LBB120_119:
	s_andn2_saveexec_b64 s[6:7], s[6:7]
	s_cbranch_execnz .LBB120_125
.LBB120_120:
	s_or_b64 exec, exec, s[6:7]
	s_and_b64 s[4:5], s[4:5], exec
.LBB120_121:
	s_andn2_saveexec_b64 s[2:3], s[2:3]
	s_cbranch_execnz .LBB120_124
.LBB120_122:
	s_or_b64 exec, exec, s[2:3]
	s_and_b64 s[2:3], s[4:5], exec
	s_andn2_saveexec_b64 s[0:1], s[0:1]
	s_cbranch_execz .LBB120_112
.LBB120_123:
	s_or_b64 s[2:3], s[2:3], exec
	s_trap 2
	s_or_b64 exec, exec, s[0:1]
	s_and_b64 exec, exec, s[2:3]
	s_cbranch_execnz .LBB120_113
	s_branch .LBB120_114
.LBB120_124:
	s_or_b64 s[4:5], s[4:5], exec
	s_trap 2
	s_branch .LBB120_122
.LBB120_125:
	s_trap 2
	s_or_b64 s[4:5], s[4:5], exec
	s_branch .LBB120_120
.LBB120_126:
	s_mov_b64 s[4:5], exec
	s_trap 2
	s_branch .LBB120_118
	.section	.rodata,"a",@progbits
	.p2align	6, 0x0
	.amdhsa_kernel _ZN2at4cuda12_GLOBAL__N_121kernelPointwiseApply2IZNS_6native9templates4cuda28bernoulli_tensor_cuda_kernelIbfEEvRKNS_10TensorBaseES9_NS_15PhiloxCudaStateEEUliRbSB_SB_SB_RKfSD_SD_SD_E_bSC_mLin1ELin1ELi4ELi512ELi2EEEvNS0_6detail10TensorInfoIT0_T2_EENSG_IT1_SI_EESI_T_
		.amdhsa_group_segment_fixed_size 0
		.amdhsa_private_segment_fixed_size 0
		.amdhsa_kernarg_size 1128
		.amdhsa_user_sgpr_count 6
		.amdhsa_user_sgpr_private_segment_buffer 1
		.amdhsa_user_sgpr_dispatch_ptr 0
		.amdhsa_user_sgpr_queue_ptr 0
		.amdhsa_user_sgpr_kernarg_segment_ptr 1
		.amdhsa_user_sgpr_dispatch_id 0
		.amdhsa_user_sgpr_flat_scratch_init 0
		.amdhsa_user_sgpr_kernarg_preload_length 0
		.amdhsa_user_sgpr_kernarg_preload_offset 0
		.amdhsa_user_sgpr_private_segment_size 0
		.amdhsa_uses_dynamic_stack 0
		.amdhsa_system_sgpr_private_segment_wavefront_offset 0
		.amdhsa_system_sgpr_workgroup_id_x 1
		.amdhsa_system_sgpr_workgroup_id_y 0
		.amdhsa_system_sgpr_workgroup_id_z 0
		.amdhsa_system_sgpr_workgroup_info 0
		.amdhsa_system_vgpr_workitem_id 0
		.amdhsa_next_free_vgpr 54
		.amdhsa_next_free_sgpr 68
		.amdhsa_accum_offset 56
		.amdhsa_reserve_vcc 1
		.amdhsa_reserve_flat_scratch 0
		.amdhsa_float_round_mode_32 0
		.amdhsa_float_round_mode_16_64 0
		.amdhsa_float_denorm_mode_32 3
		.amdhsa_float_denorm_mode_16_64 3
		.amdhsa_dx10_clamp 1
		.amdhsa_ieee_mode 1
		.amdhsa_fp16_overflow 0
		.amdhsa_tg_split 0
		.amdhsa_exception_fp_ieee_invalid_op 0
		.amdhsa_exception_fp_denorm_src 0
		.amdhsa_exception_fp_ieee_div_zero 0
		.amdhsa_exception_fp_ieee_overflow 0
		.amdhsa_exception_fp_ieee_underflow 0
		.amdhsa_exception_fp_ieee_inexact 0
		.amdhsa_exception_int_div_zero 0
	.end_amdhsa_kernel
	.section	.text._ZN2at4cuda12_GLOBAL__N_121kernelPointwiseApply2IZNS_6native9templates4cuda28bernoulli_tensor_cuda_kernelIbfEEvRKNS_10TensorBaseES9_NS_15PhiloxCudaStateEEUliRbSB_SB_SB_RKfSD_SD_SD_E_bSC_mLin1ELin1ELi4ELi512ELi2EEEvNS0_6detail10TensorInfoIT0_T2_EENSG_IT1_SI_EESI_T_,"axG",@progbits,_ZN2at4cuda12_GLOBAL__N_121kernelPointwiseApply2IZNS_6native9templates4cuda28bernoulli_tensor_cuda_kernelIbfEEvRKNS_10TensorBaseES9_NS_15PhiloxCudaStateEEUliRbSB_SB_SB_RKfSD_SD_SD_E_bSC_mLin1ELin1ELi4ELi512ELi2EEEvNS0_6detail10TensorInfoIT0_T2_EENSG_IT1_SI_EESI_T_,comdat
.Lfunc_end120:
	.size	_ZN2at4cuda12_GLOBAL__N_121kernelPointwiseApply2IZNS_6native9templates4cuda28bernoulli_tensor_cuda_kernelIbfEEvRKNS_10TensorBaseES9_NS_15PhiloxCudaStateEEUliRbSB_SB_SB_RKfSD_SD_SD_E_bSC_mLin1ELin1ELi4ELi512ELi2EEEvNS0_6detail10TensorInfoIT0_T2_EENSG_IT1_SI_EESI_T_, .Lfunc_end120-_ZN2at4cuda12_GLOBAL__N_121kernelPointwiseApply2IZNS_6native9templates4cuda28bernoulli_tensor_cuda_kernelIbfEEvRKNS_10TensorBaseES9_NS_15PhiloxCudaStateEEUliRbSB_SB_SB_RKfSD_SD_SD_E_bSC_mLin1ELin1ELi4ELi512ELi2EEEvNS0_6detail10TensorInfoIT0_T2_EENSG_IT1_SI_EESI_T_
                                        ; -- End function
	.section	.AMDGPU.csdata,"",@progbits
; Kernel info:
; codeLenInByte = 10256
; NumSgprs: 72
; NumVgprs: 54
; NumAgprs: 0
; TotalNumVgprs: 54
; ScratchSize: 0
; MemoryBound: 0
; FloatMode: 240
; IeeeMode: 1
; LDSByteSize: 0 bytes/workgroup (compile time only)
; SGPRBlocks: 8
; VGPRBlocks: 6
; NumSGPRsForWavesPerEU: 72
; NumVGPRsForWavesPerEU: 54
; AccumOffset: 56
; Occupancy: 8
; WaveLimiterHint : 1
; COMPUTE_PGM_RSRC2:SCRATCH_EN: 0
; COMPUTE_PGM_RSRC2:USER_SGPR: 6
; COMPUTE_PGM_RSRC2:TRAP_HANDLER: 0
; COMPUTE_PGM_RSRC2:TGID_X_EN: 1
; COMPUTE_PGM_RSRC2:TGID_Y_EN: 0
; COMPUTE_PGM_RSRC2:TGID_Z_EN: 0
; COMPUTE_PGM_RSRC2:TIDIG_COMP_CNT: 0
; COMPUTE_PGM_RSRC3_GFX90A:ACCUM_OFFSET: 13
; COMPUTE_PGM_RSRC3_GFX90A:TG_SPLIT: 0
	.section	.text._ZN2at6native12_GLOBAL__N_143distribution_elementwise_grid_stride_kernelIfLi4EZNS0_9templates4cuda21uniform_and_transformIhfPNS_17CUDAGeneratorImplEZZZNS4_16bernoulli_kernelIS7_EEvRNS_18TensorIteratorBaseEdT_ENKUlvE_clEvENKUlvE_clEvEUlfE_EEvSA_T1_T2_EUlP25hiprandStatePhilox4_32_10E_ZNS1_27distribution_nullary_kernelIhf15HIP_vector_typeIdLj2EES7_SJ_SE_EEvSA_SG_RKT3_T4_EUlifE_EEvlNS_15PhiloxCudaStateESF_SG_,"axG",@progbits,_ZN2at6native12_GLOBAL__N_143distribution_elementwise_grid_stride_kernelIfLi4EZNS0_9templates4cuda21uniform_and_transformIhfPNS_17CUDAGeneratorImplEZZZNS4_16bernoulli_kernelIS7_EEvRNS_18TensorIteratorBaseEdT_ENKUlvE_clEvENKUlvE_clEvEUlfE_EEvSA_T1_T2_EUlP25hiprandStatePhilox4_32_10E_ZNS1_27distribution_nullary_kernelIhf15HIP_vector_typeIdLj2EES7_SJ_SE_EEvSA_SG_RKT3_T4_EUlifE_EEvlNS_15PhiloxCudaStateESF_SG_,comdat
	.globl	_ZN2at6native12_GLOBAL__N_143distribution_elementwise_grid_stride_kernelIfLi4EZNS0_9templates4cuda21uniform_and_transformIhfPNS_17CUDAGeneratorImplEZZZNS4_16bernoulli_kernelIS7_EEvRNS_18TensorIteratorBaseEdT_ENKUlvE_clEvENKUlvE_clEvEUlfE_EEvSA_T1_T2_EUlP25hiprandStatePhilox4_32_10E_ZNS1_27distribution_nullary_kernelIhf15HIP_vector_typeIdLj2EES7_SJ_SE_EEvSA_SG_RKT3_T4_EUlifE_EEvlNS_15PhiloxCudaStateESF_SG_ ; -- Begin function _ZN2at6native12_GLOBAL__N_143distribution_elementwise_grid_stride_kernelIfLi4EZNS0_9templates4cuda21uniform_and_transformIhfPNS_17CUDAGeneratorImplEZZZNS4_16bernoulli_kernelIS7_EEvRNS_18TensorIteratorBaseEdT_ENKUlvE_clEvENKUlvE_clEvEUlfE_EEvSA_T1_T2_EUlP25hiprandStatePhilox4_32_10E_ZNS1_27distribution_nullary_kernelIhf15HIP_vector_typeIdLj2EES7_SJ_SE_EEvSA_SG_RKT3_T4_EUlifE_EEvlNS_15PhiloxCudaStateESF_SG_
	.p2align	8
	.type	_ZN2at6native12_GLOBAL__N_143distribution_elementwise_grid_stride_kernelIfLi4EZNS0_9templates4cuda21uniform_and_transformIhfPNS_17CUDAGeneratorImplEZZZNS4_16bernoulli_kernelIS7_EEvRNS_18TensorIteratorBaseEdT_ENKUlvE_clEvENKUlvE_clEvEUlfE_EEvSA_T1_T2_EUlP25hiprandStatePhilox4_32_10E_ZNS1_27distribution_nullary_kernelIhf15HIP_vector_typeIdLj2EES7_SJ_SE_EEvSA_SG_RKT3_T4_EUlifE_EEvlNS_15PhiloxCudaStateESF_SG_,@function
_ZN2at6native12_GLOBAL__N_143distribution_elementwise_grid_stride_kernelIfLi4EZNS0_9templates4cuda21uniform_and_transformIhfPNS_17CUDAGeneratorImplEZZZNS4_16bernoulli_kernelIS7_EEvRNS_18TensorIteratorBaseEdT_ENKUlvE_clEvENKUlvE_clEvEUlfE_EEvSA_T1_T2_EUlP25hiprandStatePhilox4_32_10E_ZNS1_27distribution_nullary_kernelIhf15HIP_vector_typeIdLj2EES7_SJ_SE_EEvSA_SG_RKT3_T4_EUlifE_EEvlNS_15PhiloxCudaStateESF_SG_: ; @_ZN2at6native12_GLOBAL__N_143distribution_elementwise_grid_stride_kernelIfLi4EZNS0_9templates4cuda21uniform_and_transformIhfPNS_17CUDAGeneratorImplEZZZNS4_16bernoulli_kernelIS7_EEvRNS_18TensorIteratorBaseEdT_ENKUlvE_clEvENKUlvE_clEvEUlfE_EEvSA_T1_T2_EUlP25hiprandStatePhilox4_32_10E_ZNS1_27distribution_nullary_kernelIhf15HIP_vector_typeIdLj2EES7_SJ_SE_EEvSA_SG_RKT3_T4_EUlifE_EEvlNS_15PhiloxCudaStateESF_SG_
; %bb.0:
	s_load_dword s7, s[4:5], 0x20
	s_load_dwordx2 s[10:11], s[4:5], 0x10
	s_load_dwordx4 s[0:3], s[4:5], 0x0
	s_mov_b32 s8, 0
	s_waitcnt lgkmcnt(0)
	s_bitcmp0_b32 s7, 0
	v_pk_mov_b32 v[2:3], s[10:11], s[10:11] op_sel:[0,1]
	v_pk_mov_b32 v[14:15], s[2:3], s[2:3] op_sel:[0,1]
	s_cbranch_scc1 .LBB121_2
; %bb.1:
	v_pk_mov_b32 v[2:3], s[10:11], s[10:11] op_sel:[0,1]
	flat_load_dwordx2 v[2:3], v[2:3]
	v_pk_mov_b32 v[4:5], s[2:3], s[2:3] op_sel:[0,1]
	flat_load_dwordx2 v[14:15], v[4:5]
	s_load_dwordx2 s[2:3], s[4:5], 0x18
	s_waitcnt lgkmcnt(0)
	v_mov_b32_e32 v1, s3
	s_waitcnt vmcnt(0)
	v_add_co_u32_e32 v2, vcc, s2, v2
	v_addc_co_u32_e32 v3, vcc, v3, v1, vcc
.LBB121_2:
	s_load_dword s2, s[4:5], 0x54
	s_load_dword s17, s[4:5], 0x48
	s_waitcnt lgkmcnt(0)
	s_and_b32 s7, s2, 0xffff
	s_add_u32 s10, s0, -1
	s_mul_i32 s12, s17, s7
	s_addc_u32 s9, s1, -1
	s_lshl_b32 s13, s12, 2
	s_cmp_lg_u64 s[8:9], 0
	s_mov_b64 s[2:3], -1
	s_cbranch_scc0 .LBB121_23
; %bb.3:
	v_cvt_f32_u32_e32 v1, s13
	v_cvt_f32_ubyte0_e32 v4, 0
	s_sub_u32 s8, 0, s13
	s_subb_u32 s11, 0, 0
	v_madmk_f32 v1, v4, 0x4f800000, v1
	v_rcp_f32_e32 v1, v1
	v_mul_f32_e32 v1, 0x5f7ffffc, v1
	v_mul_f32_e32 v4, 0x2f800000, v1
	v_trunc_f32_e32 v4, v4
	v_madmk_f32 v1, v4, 0xcf800000, v1
	v_cvt_u32_f32_e32 v4, v4
	v_cvt_u32_f32_e32 v1, v1
	v_readfirstlane_b32 s14, v4
	v_readfirstlane_b32 s15, v1
	s_mul_i32 s16, s8, s14
	s_mul_hi_u32 s19, s8, s15
	s_mul_i32 s18, s11, s15
	s_add_i32 s16, s19, s16
	s_add_i32 s16, s16, s18
	s_mul_i32 s20, s8, s15
	s_mul_hi_u32 s18, s15, s16
	s_mul_i32 s19, s15, s16
	s_mul_hi_u32 s15, s15, s20
	s_add_u32 s15, s15, s19
	s_addc_u32 s18, 0, s18
	s_mul_hi_u32 s21, s14, s20
	s_mul_i32 s20, s14, s20
	s_add_u32 s15, s15, s20
	s_mul_hi_u32 s19, s14, s16
	s_addc_u32 s15, s18, s21
	s_addc_u32 s18, s19, 0
	s_mul_i32 s16, s14, s16
	s_add_u32 s15, s15, s16
	s_addc_u32 s16, 0, s18
	v_add_co_u32_e32 v1, vcc, s15, v1
	s_cmp_lg_u64 vcc, 0
	s_addc_u32 s14, s14, s16
	v_readfirstlane_b32 s16, v1
	s_mul_i32 s15, s8, s14
	s_mul_hi_u32 s18, s8, s16
	s_add_i32 s15, s18, s15
	s_mul_i32 s11, s11, s16
	s_add_i32 s15, s15, s11
	s_mul_i32 s8, s8, s16
	s_mul_hi_u32 s18, s14, s8
	s_mul_i32 s19, s14, s8
	s_mul_i32 s21, s16, s15
	s_mul_hi_u32 s8, s16, s8
	s_mul_hi_u32 s20, s16, s15
	s_add_u32 s8, s8, s21
	s_addc_u32 s16, 0, s20
	s_add_u32 s8, s8, s19
	s_mul_hi_u32 s11, s14, s15
	s_addc_u32 s8, s16, s18
	s_addc_u32 s11, s11, 0
	s_mul_i32 s15, s14, s15
	s_add_u32 s8, s8, s15
	s_addc_u32 s11, 0, s11
	v_add_co_u32_e32 v1, vcc, s8, v1
	s_cmp_lg_u64 vcc, 0
	s_addc_u32 s11, s14, s11
	s_ashr_i32 s14, s9, 31
	s_add_u32 s8, s10, s14
	s_mov_b32 s15, s14
	s_addc_u32 s9, s9, s14
	s_xor_b64 s[8:9], s[8:9], s[14:15]
	v_readfirstlane_b32 s19, v1
	s_mul_i32 s18, s8, s11
	s_mul_hi_u32 s20, s8, s19
	s_mul_hi_u32 s16, s8, s11
	s_add_u32 s18, s20, s18
	s_addc_u32 s16, 0, s16
	s_mul_hi_u32 s21, s9, s19
	s_mul_i32 s19, s9, s19
	s_add_u32 s18, s18, s19
	s_mul_hi_u32 s20, s9, s11
	s_addc_u32 s16, s16, s21
	s_addc_u32 s18, s20, 0
	s_mul_i32 s11, s9, s11
	s_add_u32 s11, s16, s11
	s_addc_u32 s16, 0, s18
	s_add_u32 s18, s11, 1
	s_addc_u32 s19, s16, 0
	s_add_u32 s20, s11, 2
	s_mul_i32 s22, s13, s16
	s_mul_hi_u32 s23, s13, s11
	s_addc_u32 s21, s16, 0
	s_add_i32 s23, s23, s22
	s_mul_i32 s22, s13, s11
	v_mov_b32_e32 v1, s22
	v_sub_co_u32_e32 v1, vcc, s8, v1
	s_cmp_lg_u64 vcc, 0
	s_subb_u32 s8, s9, s23
	v_subrev_co_u32_e32 v4, vcc, s13, v1
	s_cmp_lg_u64 vcc, 0
	s_subb_u32 s9, s8, 0
	v_readfirstlane_b32 s22, v4
	s_cmp_ge_u32 s22, s13
	s_cselect_b32 s22, -1, 0
	s_cmp_eq_u32 s9, 0
	s_cselect_b32 s9, s22, -1
	s_cmp_lg_u32 s9, 0
	s_cselect_b32 s9, s21, s19
	v_readfirstlane_b32 s19, v1
	s_cselect_b32 s18, s20, s18
	s_cmp_ge_u32 s19, s13
	s_cselect_b32 s19, -1, 0
	s_cmp_eq_u32 s8, 0
	s_cselect_b32 s8, s19, -1
	s_cmp_lg_u32 s8, 0
	s_cselect_b32 s9, s9, s16
	s_cselect_b32 s8, s18, s11
	s_xor_b64 s[8:9], s[8:9], s[14:15]
	s_sub_u32 s8, s8, s14
	s_subb_u32 s9, s9, s14
	s_cbranch_execnz .LBB121_5
.LBB121_4:
	v_cvt_f32_u32_e32 v1, s13
	s_sub_i32 s2, 0, s13
	s_mov_b32 s9, 0
	v_rcp_iflag_f32_e32 v1, v1
	v_mul_f32_e32 v1, 0x4f7ffffe, v1
	v_cvt_u32_f32_e32 v1, v1
	v_readfirstlane_b32 s3, v1
	s_mul_i32 s2, s2, s3
	s_mul_hi_u32 s2, s3, s2
	s_add_i32 s3, s3, s2
	s_mul_hi_u32 s2, s10, s3
	s_mul_i32 s8, s2, s13
	s_sub_i32 s8, s10, s8
	s_add_i32 s3, s2, 1
	s_sub_i32 s10, s8, s13
	s_cmp_ge_u32 s8, s13
	s_cselect_b32 s2, s3, s2
	s_cselect_b32 s8, s10, s8
	s_add_i32 s3, s2, 1
	s_cmp_ge_u32 s8, s13
	s_cselect_b32 s8, s3, s2
.LBB121_5:
	v_mov_b32_e32 v1, 0
	v_mov_b32_e32 v4, s6
	v_mad_u64_u32 v[16:17], s[2:3], s7, v4, v[0:1]
	s_add_u32 s2, s8, 1
	s_addc_u32 s3, s9, 0
	s_mul_hi_u32 s8, s17, s7
	s_mul_i32 s3, s12, s3
	s_mul_hi_u32 s9, s12, s2
	s_add_i32 s3, s9, s3
	s_mul_i32 s8, s8, s2
	s_add_i32 s3, s3, s8
	s_mul_i32 s2, s12, s2
	s_lshl_b64 s[2:3], s[2:3], 2
	v_cmp_gt_i64_e32 vcc, s[2:3], v[16:17]
	s_and_saveexec_b64 s[8:9], vcc
	s_cbranch_execz .LBB121_22
; %bb.6:
	s_load_dwordx2 s[8:9], s[4:5], 0x30
	s_load_dword s19, s[4:5], 0x38
	s_load_dwordx2 s[10:11], s[4:5], 0x40
	s_mov_b32 s4, 0x5384540f
	v_mov_b32_e32 v4, v15
	v_add_co_u32_e32 v22, vcc, s4, v14
	s_mov_b32 s4, 0x646e171e
	v_add_co_u32_e32 v23, vcc, s4, v4
	s_mov_b32 s4, 0x1715609d
	;; [unrolled: 2-line block ×6, first 2 shown]
	v_alignbit_b32 v29, v3, v2, 2
	s_mov_b32 s15, 0xd2511f53
	v_add_co_u32_e32 v28, vcc, s4, v14
	v_mad_u64_u32 v[6:7], s[4:5], v29, s15, 0
	v_xor_b32_e32 v1, v7, v15
	v_xor_b32_e32 v1, v1, v17
	s_mov_b32 s16, 0xcd9e8d57
	v_mad_u64_u32 v[8:9], s[4:5], v1, s16, 0
	v_xor_b32_e32 v1, v28, v9
	v_mad_u64_u32 v[10:11], s[4:5], v16, s16, 0
	v_and_b32_e32 v18, 3, v2
	v_xor_b32_e32 v1, v1, v10
	v_xor_b32_e32 v2, v14, v11
	v_lshrrev_b32_e32 v30, 2, v3
	v_mad_u64_u32 v[12:13], s[4:5], v1, s15, 0
	v_xor_b32_e32 v2, v2, v30
	v_xor_b32_e32 v1, v27, v13
	v_mad_u64_u32 v[2:3], s[4:5], v2, s15, 0
	v_xor_b32_e32 v1, v1, v2
	v_mad_u64_u32 v[10:11], s[4:5], v1, s16, 0
	s_mov_b32 s4, 0xbb67ae85
	v_add_co_u32_e32 v31, vcc, s4, v4
	v_xor_b32_e32 v2, v31, v3
	v_xor_b32_e32 v2, v2, v6
	v_xor_b32_e32 v1, v26, v11
	v_mad_u64_u32 v[2:3], s[4:5], v2, s16, 0
	v_xor_b32_e32 v1, v1, v2
	v_mad_u64_u32 v[6:7], s[4:5], v1, s15, 0
	s_mov_b32 s4, 0x3c6ef372
	v_add_co_u32_e32 v32, vcc, s4, v14
	v_xor_b32_e32 v2, v32, v3
	;; [unrolled: 8-line block ×6, first 2 shown]
	v_add_co_u32_e32 v21, vcc, 0xdb3d7428, v4
	v_xor_b32_e32 v2, v2, v8
	v_xor_b32_e32 v1, v21, v7
	v_mad_u64_u32 v[2:3], s[4:5], v2, s15, 0
	v_xor_b32_e32 v1, v1, v2
	v_mad_u64_u32 v[8:9], s[4:5], v1, s16, 0
	s_mov_b32 s4, 0x1fd5c5a3
	v_add_co_u32_e32 v37, vcc, s4, v4
	v_xor_b32_e32 v1, v37, v3
	v_xor_b32_e32 v1, v1, v12
	v_mad_u64_u32 v[2:3], s[4:5], v1, s16, 0
	s_mov_b32 s4, 0xf1bbcdc8
	v_add_u32_e32 v19, 0x8ff34781, v14
	v_xor_b32_e32 v1, v9, v2
	v_add_co_u32_e32 v38, vcc, s4, v14
	v_xor_b32_e32 v2, v19, v1
	v_xor_b32_e32 v1, v38, v3
	;; [unrolled: 1-line block ×3, first 2 shown]
	v_mad_u64_u32 v[10:11], s[4:5], v1, s15, 0
	v_add_u32_e32 v20, 0x96a522ad, v15
	v_xor_b32_e32 v1, v11, v6
	s_mul_i32 s4, s6, s7
	v_xor_b32_e32 v4, v20, v1
	v_add_u32_e32 v1, s4, v0
	s_waitcnt lgkmcnt(0)
	s_mul_i32 s4, s17, s19
	s_mul_i32 s4, s4, s7
	s_lshl_b32 s18, s4, 2
	s_add_i32 s4, s6, s17
	s_mul_i32 s4, s4, s7
	s_mov_b32 s14, 0
	v_add_u32_e32 v0, s4, v0
	v_mov_b32_e32 v3, v8
	v_mov_b32_e32 v5, v10
	v_cvt_f32_f64_e32 v39, s[10:11]
	v_mul_lo_u32 v40, s19, v1
	v_mul_lo_u32 v41, s19, v0
	s_mov_b64 s[4:5], 0
	s_mov_b32 s17, s14
	v_mov_b32_e32 v42, v16
	v_mov_b32_e32 v43, v17
	s_branch .LBB121_8
.LBB121_7:                              ;   in Loop: Header=BB121_8 Depth=1
	s_or_b64 exec, exec, s[6:7]
	v_add_co_u32_e32 v16, vcc, s13, v16
	v_addc_co_u32_e32 v17, vcc, 0, v17, vcc
	v_mov_b32_e32 v9, v0
	s_add_i32 s17, s17, s18
	v_cmp_le_i64_e32 vcc, s[2:3], v[16:17]
	v_pk_mov_b32 v[2:3], v[6:7], v[6:7] op_sel:[0,1]
	s_or_b64 s[4:5], vcc, s[4:5]
	v_pk_mov_b32 v[4:5], v[8:9], v[8:9] op_sel:[0,1]
	s_barrier
	s_andn2_b64 exec, exec, s[4:5]
	s_cbranch_execz .LBB121_22
.LBB121_8:                              ; =>This Inner Loop Header: Depth=1
	v_add_co_u32_e32 v29, vcc, 1, v29
	v_cndmask_b32_e64 v0, 0, 1, vcc
	v_addc_co_u32_e32 v30, vcc, 0, v30, vcc
	v_cmp_eq_u32_e32 vcc, 0, v30
	v_cndmask_b32_e32 v0, 0, v0, vcc
	v_add_u32_e32 v42, v0, v42
	v_cmp_eq_u32_e32 vcc, 0, v42
	v_cndmask_b32_e32 v0, 0, v0, vcc
	v_add_u32_e32 v43, v0, v43
	v_mad_u64_u32 v[0:1], s[6:7], v29, s15, 0
	v_mad_u64_u32 v[6:7], s[6:7], v42, s16, 0
	v_xor_b32_e32 v1, v1, v15
	v_xor_b32_e32 v7, v7, v14
	v_xor_b32_e32 v1, v43, v1
	v_xor_b32_e32 v7, v30, v7
	v_mad_u64_u32 v[10:11], s[6:7], v1, s16, 0
	v_mad_u64_u32 v[8:9], s[6:7], v7, s15, 0
	v_xor_b32_e32 v1, v28, v11
	v_xor_b32_e32 v1, v1, v6
	v_xor_b32_e32 v6, v31, v9
	v_xor_b32_e32 v6, v6, v0
	;; [unrolled: 6-line block ×10, first 2 shown]
	v_mov_b32_e32 v7, v12
	v_mov_b32_e32 v8, v13
	v_cmp_lt_i32_e32 vcc, 1, v18
	s_and_saveexec_b64 s[6:7], vcc
	s_xor_b64 s[6:7], exec, s[6:7]
	s_cbranch_execnz .LBB121_14
; %bb.9:                                ;   in Loop: Header=BB121_8 Depth=1
	s_andn2_saveexec_b64 s[6:7], s[6:7]
	s_cbranch_execnz .LBB121_19
.LBB121_10:                             ;   in Loop: Header=BB121_8 Depth=1
	s_or_b64 exec, exec, s[6:7]
	v_cmp_gt_i64_e32 vcc, s[0:1], v[16:17]
	s_and_saveexec_b64 s[6:7], vcc
	s_cbranch_execz .LBB121_12
.LBB121_11:                             ;   in Loop: Header=BB121_8 Depth=1
	v_lshrrev_b32_e32 v1, 11, v3
	v_cvt_f64_u32_e32 v[10:11], v1
	v_ldexp_f64 v[10:11], v[10:11], 32
	v_cvt_f64_u32_e32 v[2:3], v2
	v_add_f64 v[2:3], v[10:11], v[2:3]
	v_mov_b32_e32 v10, 0
	v_mov_b32_e32 v11, 0x3ca00000
	v_fmac_f64_e32 v[10:11], 0x3ca00000, v[2:3]
	v_add_u32_e32 v2, s17, v40
	v_ashrrev_i32_e32 v3, 31, v2
	v_mov_b32_e32 v9, s9
	v_add_co_u32_e32 v2, vcc, s8, v2
	v_cvt_f32_f64_e32 v1, v[10:11]
	v_addc_co_u32_e32 v3, vcc, v9, v3, vcc
	v_cmp_gt_f32_e32 vcc, v39, v1
	v_cndmask_b32_e64 v1, 0, 1, vcc
	global_store_byte v[2:3], v1, off
.LBB121_12:                             ;   in Loop: Header=BB121_8 Depth=1
	s_or_b64 exec, exec, s[6:7]
	v_mov_b32_e32 v1, s14
	v_add_co_u32_e32 v2, vcc, s12, v16
	v_addc_co_u32_e32 v3, vcc, v1, v17, vcc
	v_cmp_gt_i64_e32 vcc, s[0:1], v[2:3]
	s_and_saveexec_b64 s[6:7], vcc
	s_cbranch_execz .LBB121_7
; %bb.13:                               ;   in Loop: Header=BB121_8 Depth=1
	v_lshrrev_b32_e32 v1, 11, v5
	v_cvt_f64_u32_e32 v[2:3], v1
	v_ldexp_f64 v[2:3], v[2:3], 32
	v_cvt_f64_u32_e32 v[4:5], v4
	v_add_f64 v[2:3], v[2:3], v[4:5]
	v_mov_b32_e32 v4, 0
	v_mov_b32_e32 v5, 0x3ca00000
	v_fmac_f64_e32 v[4:5], 0x3ca00000, v[2:3]
	v_add_u32_e32 v2, s17, v41
	v_cvt_f32_f64_e32 v1, v[4:5]
	v_ashrrev_i32_e32 v3, 31, v2
	v_mov_b32_e32 v4, s9
	v_add_co_u32_e32 v2, vcc, s8, v2
	v_addc_co_u32_e32 v3, vcc, v4, v3, vcc
	v_cmp_gt_f32_e32 vcc, v39, v1
	v_cndmask_b32_e64 v1, 0, 1, vcc
	global_store_byte v[2:3], v1, off
	s_branch .LBB121_7
.LBB121_14:                             ;   in Loop: Header=BB121_8 Depth=1
	v_cmp_lt_i32_e32 vcc, 2, v18
	s_and_saveexec_b64 s[10:11], vcc
	s_xor_b64 s[10:11], exec, s[10:11]
; %bb.15:                               ;   in Loop: Header=BB121_8 Depth=1
	v_mov_b32_e32 v10, v5
	v_mov_b32_e32 v11, v6
	v_pk_mov_b32 v[2:3], v[10:11], v[10:11] op_sel:[0,1]
	v_pk_mov_b32 v[4:5], v[12:13], v[12:13] op_sel:[0,1]
                                        ; implicit-def: $vgpr12_vgpr13
; %bb.16:                               ;   in Loop: Header=BB121_8 Depth=1
	s_andn2_saveexec_b64 s[10:11], s[10:11]
; %bb.17:                               ;   in Loop: Header=BB121_8 Depth=1
	v_mov_b32_e32 v2, v4
	v_mov_b32_e32 v3, v5
	;; [unrolled: 1-line block ×4, first 2 shown]
; %bb.18:                               ;   in Loop: Header=BB121_8 Depth=1
	s_or_b64 exec, exec, s[10:11]
	s_andn2_saveexec_b64 s[6:7], s[6:7]
	s_cbranch_execz .LBB121_10
.LBB121_19:                             ;   in Loop: Header=BB121_8 Depth=1
	v_cmp_eq_u32_e32 vcc, 1, v18
	s_and_saveexec_b64 s[10:11], vcc
; %bb.20:                               ;   in Loop: Header=BB121_8 Depth=1
	v_mov_b32_e32 v2, v3
	v_mov_b32_e32 v3, v4
	;; [unrolled: 1-line block ×4, first 2 shown]
; %bb.21:                               ;   in Loop: Header=BB121_8 Depth=1
	s_or_b64 exec, exec, s[10:11]
	s_or_b64 exec, exec, s[6:7]
	v_cmp_gt_i64_e32 vcc, s[0:1], v[16:17]
	s_and_saveexec_b64 s[6:7], vcc
	s_cbranch_execnz .LBB121_11
	s_branch .LBB121_12
.LBB121_22:
	s_endpgm
.LBB121_23:
                                        ; implicit-def: $sgpr8_sgpr9
	s_andn2_b64 vcc, exec, s[2:3]
	s_cbranch_vccz .LBB121_4
	s_branch .LBB121_5
	.section	.rodata,"a",@progbits
	.p2align	6, 0x0
	.amdhsa_kernel _ZN2at6native12_GLOBAL__N_143distribution_elementwise_grid_stride_kernelIfLi4EZNS0_9templates4cuda21uniform_and_transformIhfPNS_17CUDAGeneratorImplEZZZNS4_16bernoulli_kernelIS7_EEvRNS_18TensorIteratorBaseEdT_ENKUlvE_clEvENKUlvE_clEvEUlfE_EEvSA_T1_T2_EUlP25hiprandStatePhilox4_32_10E_ZNS1_27distribution_nullary_kernelIhf15HIP_vector_typeIdLj2EES7_SJ_SE_EEvSA_SG_RKT3_T4_EUlifE_EEvlNS_15PhiloxCudaStateESF_SG_
		.amdhsa_group_segment_fixed_size 0
		.amdhsa_private_segment_fixed_size 0
		.amdhsa_kernarg_size 328
		.amdhsa_user_sgpr_count 6
		.amdhsa_user_sgpr_private_segment_buffer 1
		.amdhsa_user_sgpr_dispatch_ptr 0
		.amdhsa_user_sgpr_queue_ptr 0
		.amdhsa_user_sgpr_kernarg_segment_ptr 1
		.amdhsa_user_sgpr_dispatch_id 0
		.amdhsa_user_sgpr_flat_scratch_init 0
		.amdhsa_user_sgpr_kernarg_preload_length 0
		.amdhsa_user_sgpr_kernarg_preload_offset 0
		.amdhsa_user_sgpr_private_segment_size 0
		.amdhsa_uses_dynamic_stack 0
		.amdhsa_system_sgpr_private_segment_wavefront_offset 0
		.amdhsa_system_sgpr_workgroup_id_x 1
		.amdhsa_system_sgpr_workgroup_id_y 0
		.amdhsa_system_sgpr_workgroup_id_z 0
		.amdhsa_system_sgpr_workgroup_info 0
		.amdhsa_system_vgpr_workitem_id 0
		.amdhsa_next_free_vgpr 46
		.amdhsa_next_free_sgpr 24
		.amdhsa_accum_offset 48
		.amdhsa_reserve_vcc 1
		.amdhsa_reserve_flat_scratch 0
		.amdhsa_float_round_mode_32 0
		.amdhsa_float_round_mode_16_64 0
		.amdhsa_float_denorm_mode_32 3
		.amdhsa_float_denorm_mode_16_64 3
		.amdhsa_dx10_clamp 1
		.amdhsa_ieee_mode 1
		.amdhsa_fp16_overflow 0
		.amdhsa_tg_split 0
		.amdhsa_exception_fp_ieee_invalid_op 0
		.amdhsa_exception_fp_denorm_src 0
		.amdhsa_exception_fp_ieee_div_zero 0
		.amdhsa_exception_fp_ieee_overflow 0
		.amdhsa_exception_fp_ieee_underflow 0
		.amdhsa_exception_fp_ieee_inexact 0
		.amdhsa_exception_int_div_zero 0
	.end_amdhsa_kernel
	.section	.text._ZN2at6native12_GLOBAL__N_143distribution_elementwise_grid_stride_kernelIfLi4EZNS0_9templates4cuda21uniform_and_transformIhfPNS_17CUDAGeneratorImplEZZZNS4_16bernoulli_kernelIS7_EEvRNS_18TensorIteratorBaseEdT_ENKUlvE_clEvENKUlvE_clEvEUlfE_EEvSA_T1_T2_EUlP25hiprandStatePhilox4_32_10E_ZNS1_27distribution_nullary_kernelIhf15HIP_vector_typeIdLj2EES7_SJ_SE_EEvSA_SG_RKT3_T4_EUlifE_EEvlNS_15PhiloxCudaStateESF_SG_,"axG",@progbits,_ZN2at6native12_GLOBAL__N_143distribution_elementwise_grid_stride_kernelIfLi4EZNS0_9templates4cuda21uniform_and_transformIhfPNS_17CUDAGeneratorImplEZZZNS4_16bernoulli_kernelIS7_EEvRNS_18TensorIteratorBaseEdT_ENKUlvE_clEvENKUlvE_clEvEUlfE_EEvSA_T1_T2_EUlP25hiprandStatePhilox4_32_10E_ZNS1_27distribution_nullary_kernelIhf15HIP_vector_typeIdLj2EES7_SJ_SE_EEvSA_SG_RKT3_T4_EUlifE_EEvlNS_15PhiloxCudaStateESF_SG_,comdat
.Lfunc_end121:
	.size	_ZN2at6native12_GLOBAL__N_143distribution_elementwise_grid_stride_kernelIfLi4EZNS0_9templates4cuda21uniform_and_transformIhfPNS_17CUDAGeneratorImplEZZZNS4_16bernoulli_kernelIS7_EEvRNS_18TensorIteratorBaseEdT_ENKUlvE_clEvENKUlvE_clEvEUlfE_EEvSA_T1_T2_EUlP25hiprandStatePhilox4_32_10E_ZNS1_27distribution_nullary_kernelIhf15HIP_vector_typeIdLj2EES7_SJ_SE_EEvSA_SG_RKT3_T4_EUlifE_EEvlNS_15PhiloxCudaStateESF_SG_, .Lfunc_end121-_ZN2at6native12_GLOBAL__N_143distribution_elementwise_grid_stride_kernelIfLi4EZNS0_9templates4cuda21uniform_and_transformIhfPNS_17CUDAGeneratorImplEZZZNS4_16bernoulli_kernelIS7_EEvRNS_18TensorIteratorBaseEdT_ENKUlvE_clEvENKUlvE_clEvEUlfE_EEvSA_T1_T2_EUlP25hiprandStatePhilox4_32_10E_ZNS1_27distribution_nullary_kernelIhf15HIP_vector_typeIdLj2EES7_SJ_SE_EEvSA_SG_RKT3_T4_EUlifE_EEvlNS_15PhiloxCudaStateESF_SG_
                                        ; -- End function
	.section	.AMDGPU.csdata,"",@progbits
; Kernel info:
; codeLenInByte = 2300
; NumSgprs: 28
; NumVgprs: 46
; NumAgprs: 0
; TotalNumVgprs: 46
; ScratchSize: 0
; MemoryBound: 0
; FloatMode: 240
; IeeeMode: 1
; LDSByteSize: 0 bytes/workgroup (compile time only)
; SGPRBlocks: 3
; VGPRBlocks: 5
; NumSGPRsForWavesPerEU: 28
; NumVGPRsForWavesPerEU: 46
; AccumOffset: 48
; Occupancy: 8
; WaveLimiterHint : 0
; COMPUTE_PGM_RSRC2:SCRATCH_EN: 0
; COMPUTE_PGM_RSRC2:USER_SGPR: 6
; COMPUTE_PGM_RSRC2:TRAP_HANDLER: 0
; COMPUTE_PGM_RSRC2:TGID_X_EN: 1
; COMPUTE_PGM_RSRC2:TGID_Y_EN: 0
; COMPUTE_PGM_RSRC2:TGID_Z_EN: 0
; COMPUTE_PGM_RSRC2:TIDIG_COMP_CNT: 0
; COMPUTE_PGM_RSRC3_GFX90A:ACCUM_OFFSET: 11
; COMPUTE_PGM_RSRC3_GFX90A:TG_SPLIT: 0
	.section	.text._ZN2at6native12_GLOBAL__N_143distribution_elementwise_grid_stride_kernelIfLi4EZNS0_9templates4cuda21uniform_and_transformIhfPNS_17CUDAGeneratorImplEZZZNS4_16bernoulli_kernelIS7_EEvRNS_18TensorIteratorBaseEdT_ENKUlvE_clEvENKUlvE_clEvEUlfE_EEvSA_T1_T2_EUlP25hiprandStatePhilox4_32_10E_ZNS1_27distribution_nullary_kernelIhf15HIP_vector_typeIdLj2EES7_SJ_SE_EEvSA_SG_RKT3_T4_EUlifE0_EEvlNS_15PhiloxCudaStateESF_SG_,"axG",@progbits,_ZN2at6native12_GLOBAL__N_143distribution_elementwise_grid_stride_kernelIfLi4EZNS0_9templates4cuda21uniform_and_transformIhfPNS_17CUDAGeneratorImplEZZZNS4_16bernoulli_kernelIS7_EEvRNS_18TensorIteratorBaseEdT_ENKUlvE_clEvENKUlvE_clEvEUlfE_EEvSA_T1_T2_EUlP25hiprandStatePhilox4_32_10E_ZNS1_27distribution_nullary_kernelIhf15HIP_vector_typeIdLj2EES7_SJ_SE_EEvSA_SG_RKT3_T4_EUlifE0_EEvlNS_15PhiloxCudaStateESF_SG_,comdat
	.globl	_ZN2at6native12_GLOBAL__N_143distribution_elementwise_grid_stride_kernelIfLi4EZNS0_9templates4cuda21uniform_and_transformIhfPNS_17CUDAGeneratorImplEZZZNS4_16bernoulli_kernelIS7_EEvRNS_18TensorIteratorBaseEdT_ENKUlvE_clEvENKUlvE_clEvEUlfE_EEvSA_T1_T2_EUlP25hiprandStatePhilox4_32_10E_ZNS1_27distribution_nullary_kernelIhf15HIP_vector_typeIdLj2EES7_SJ_SE_EEvSA_SG_RKT3_T4_EUlifE0_EEvlNS_15PhiloxCudaStateESF_SG_ ; -- Begin function _ZN2at6native12_GLOBAL__N_143distribution_elementwise_grid_stride_kernelIfLi4EZNS0_9templates4cuda21uniform_and_transformIhfPNS_17CUDAGeneratorImplEZZZNS4_16bernoulli_kernelIS7_EEvRNS_18TensorIteratorBaseEdT_ENKUlvE_clEvENKUlvE_clEvEUlfE_EEvSA_T1_T2_EUlP25hiprandStatePhilox4_32_10E_ZNS1_27distribution_nullary_kernelIhf15HIP_vector_typeIdLj2EES7_SJ_SE_EEvSA_SG_RKT3_T4_EUlifE0_EEvlNS_15PhiloxCudaStateESF_SG_
	.p2align	8
	.type	_ZN2at6native12_GLOBAL__N_143distribution_elementwise_grid_stride_kernelIfLi4EZNS0_9templates4cuda21uniform_and_transformIhfPNS_17CUDAGeneratorImplEZZZNS4_16bernoulli_kernelIS7_EEvRNS_18TensorIteratorBaseEdT_ENKUlvE_clEvENKUlvE_clEvEUlfE_EEvSA_T1_T2_EUlP25hiprandStatePhilox4_32_10E_ZNS1_27distribution_nullary_kernelIhf15HIP_vector_typeIdLj2EES7_SJ_SE_EEvSA_SG_RKT3_T4_EUlifE0_EEvlNS_15PhiloxCudaStateESF_SG_,@function
_ZN2at6native12_GLOBAL__N_143distribution_elementwise_grid_stride_kernelIfLi4EZNS0_9templates4cuda21uniform_and_transformIhfPNS_17CUDAGeneratorImplEZZZNS4_16bernoulli_kernelIS7_EEvRNS_18TensorIteratorBaseEdT_ENKUlvE_clEvENKUlvE_clEvEUlfE_EEvSA_T1_T2_EUlP25hiprandStatePhilox4_32_10E_ZNS1_27distribution_nullary_kernelIhf15HIP_vector_typeIdLj2EES7_SJ_SE_EEvSA_SG_RKT3_T4_EUlifE0_EEvlNS_15PhiloxCudaStateESF_SG_: ; @_ZN2at6native12_GLOBAL__N_143distribution_elementwise_grid_stride_kernelIfLi4EZNS0_9templates4cuda21uniform_and_transformIhfPNS_17CUDAGeneratorImplEZZZNS4_16bernoulli_kernelIS7_EEvRNS_18TensorIteratorBaseEdT_ENKUlvE_clEvENKUlvE_clEvEUlfE_EEvSA_T1_T2_EUlP25hiprandStatePhilox4_32_10E_ZNS1_27distribution_nullary_kernelIhf15HIP_vector_typeIdLj2EES7_SJ_SE_EEvSA_SG_RKT3_T4_EUlifE0_EEvlNS_15PhiloxCudaStateESF_SG_
; %bb.0:
	s_load_dword s2, s[4:5], 0x20
	s_load_dwordx2 s[0:1], s[4:5], 0x10
	s_load_dwordx4 s[24:27], s[4:5], 0x0
	s_waitcnt lgkmcnt(0)
	s_bitcmp0_b32 s2, 0
	s_mov_b32 s2, 0
	v_pk_mov_b32 v[2:3], s[0:1], s[0:1] op_sel:[0,1]
	v_pk_mov_b32 v[12:13], s[26:27], s[26:27] op_sel:[0,1]
	s_cbranch_scc1 .LBB122_2
; %bb.1:
	v_pk_mov_b32 v[2:3], s[0:1], s[0:1] op_sel:[0,1]
	flat_load_dwordx2 v[2:3], v[2:3]
	v_pk_mov_b32 v[4:5], s[26:27], s[26:27] op_sel:[0,1]
	flat_load_dwordx2 v[12:13], v[4:5]
	s_load_dwordx2 s[0:1], s[4:5], 0x18
	s_waitcnt lgkmcnt(0)
	v_mov_b32_e32 v1, s1
	s_waitcnt vmcnt(0)
	v_add_co_u32_e32 v2, vcc, s0, v2
	v_addc_co_u32_e32 v3, vcc, v3, v1, vcc
.LBB122_2:
	s_load_dword s0, s[4:5], 0x154
	s_load_dword s7, s[4:5], 0x148
	s_waitcnt lgkmcnt(0)
	s_and_b32 s8, s0, 0xffff
	s_add_u32 s9, s24, -1
	s_mul_i32 s33, s7, s8
	s_addc_u32 s3, s25, -1
	s_lshl_b32 s58, s33, 2
	s_cmp_lg_u64 s[2:3], 0
	s_mov_b64 s[0:1], -1
	s_cbranch_scc0 .LBB122_51
; %bb.3:
	v_cvt_f32_u32_e32 v1, s58
	v_cvt_f32_ubyte0_e32 v4, 0
	s_sub_u32 s2, 0, s58
	s_subb_u32 s10, 0, 0
	v_madmk_f32 v1, v4, 0x4f800000, v1
	v_rcp_f32_e32 v1, v1
	v_mul_f32_e32 v1, 0x5f7ffffc, v1
	v_mul_f32_e32 v4, 0x2f800000, v1
	v_trunc_f32_e32 v4, v4
	v_madmk_f32 v1, v4, 0xcf800000, v1
	v_cvt_u32_f32_e32 v4, v4
	v_cvt_u32_f32_e32 v1, v1
	v_readfirstlane_b32 s11, v4
	v_readfirstlane_b32 s12, v1
	s_mul_i32 s13, s2, s11
	s_mul_hi_u32 s15, s2, s12
	s_mul_i32 s14, s10, s12
	s_add_i32 s13, s15, s13
	s_add_i32 s13, s13, s14
	s_mul_i32 s16, s2, s12
	s_mul_hi_u32 s14, s12, s13
	s_mul_i32 s15, s12, s13
	s_mul_hi_u32 s12, s12, s16
	s_add_u32 s12, s12, s15
	s_addc_u32 s14, 0, s14
	s_mul_hi_u32 s17, s11, s16
	s_mul_i32 s16, s11, s16
	s_add_u32 s12, s12, s16
	s_mul_hi_u32 s15, s11, s13
	s_addc_u32 s12, s14, s17
	s_addc_u32 s14, s15, 0
	s_mul_i32 s13, s11, s13
	s_add_u32 s12, s12, s13
	s_addc_u32 s13, 0, s14
	v_add_co_u32_e32 v1, vcc, s12, v1
	s_cmp_lg_u64 vcc, 0
	s_addc_u32 s11, s11, s13
	v_readfirstlane_b32 s13, v1
	s_mul_i32 s12, s2, s11
	s_mul_hi_u32 s14, s2, s13
	s_add_i32 s12, s14, s12
	s_mul_i32 s10, s10, s13
	s_add_i32 s12, s12, s10
	s_mul_i32 s2, s2, s13
	s_mul_hi_u32 s14, s11, s2
	s_mul_i32 s15, s11, s2
	s_mul_i32 s17, s13, s12
	s_mul_hi_u32 s2, s13, s2
	s_mul_hi_u32 s16, s13, s12
	s_add_u32 s2, s2, s17
	s_addc_u32 s13, 0, s16
	s_add_u32 s2, s2, s15
	s_mul_hi_u32 s10, s11, s12
	s_addc_u32 s2, s13, s14
	s_addc_u32 s10, s10, 0
	s_mul_i32 s12, s11, s12
	s_add_u32 s2, s2, s12
	s_addc_u32 s10, 0, s10
	v_add_co_u32_e32 v1, vcc, s2, v1
	s_cmp_lg_u64 vcc, 0
	s_addc_u32 s12, s11, s10
	s_ashr_i32 s10, s3, 31
	s_add_u32 s2, s9, s10
	s_mov_b32 s11, s10
	s_addc_u32 s3, s3, s10
	s_xor_b64 s[2:3], s[2:3], s[10:11]
	v_readfirstlane_b32 s15, v1
	s_mul_i32 s14, s2, s12
	s_mul_hi_u32 s16, s2, s15
	s_mul_hi_u32 s13, s2, s12
	s_add_u32 s14, s16, s14
	s_addc_u32 s13, 0, s13
	s_mul_hi_u32 s17, s3, s15
	s_mul_i32 s15, s3, s15
	s_add_u32 s14, s14, s15
	s_mul_hi_u32 s16, s3, s12
	s_addc_u32 s13, s13, s17
	s_addc_u32 s14, s16, 0
	s_mul_i32 s12, s3, s12
	s_add_u32 s12, s13, s12
	s_addc_u32 s13, 0, s14
	s_add_u32 s14, s12, 1
	s_addc_u32 s15, s13, 0
	s_add_u32 s16, s12, 2
	s_mul_i32 s18, s58, s13
	s_mul_hi_u32 s19, s58, s12
	s_addc_u32 s17, s13, 0
	s_add_i32 s19, s19, s18
	s_mul_i32 s18, s58, s12
	v_mov_b32_e32 v1, s18
	v_sub_co_u32_e32 v1, vcc, s2, v1
	s_cmp_lg_u64 vcc, 0
	s_subb_u32 s2, s3, s19
	v_subrev_co_u32_e32 v4, vcc, s58, v1
	s_cmp_lg_u64 vcc, 0
	s_subb_u32 s3, s2, 0
	v_readfirstlane_b32 s18, v4
	s_cmp_ge_u32 s18, s58
	s_cselect_b32 s18, -1, 0
	s_cmp_eq_u32 s3, 0
	s_cselect_b32 s3, s18, -1
	s_cmp_lg_u32 s3, 0
	s_cselect_b32 s3, s17, s15
	v_readfirstlane_b32 s15, v1
	s_cselect_b32 s14, s16, s14
	s_cmp_ge_u32 s15, s58
	s_cselect_b32 s15, -1, 0
	s_cmp_eq_u32 s2, 0
	s_cselect_b32 s2, s15, -1
	s_cmp_lg_u32 s2, 0
	s_cselect_b32 s3, s3, s13
	s_cselect_b32 s2, s14, s12
	s_xor_b64 s[2:3], s[2:3], s[10:11]
	s_sub_u32 s2, s2, s10
	s_subb_u32 s3, s3, s10
	s_cbranch_execnz .LBB122_5
.LBB122_4:
	v_cvt_f32_u32_e32 v1, s58
	s_sub_i32 s0, 0, s58
	s_mov_b32 s3, 0
	v_rcp_iflag_f32_e32 v1, v1
	v_mul_f32_e32 v1, 0x4f7ffffe, v1
	v_cvt_u32_f32_e32 v1, v1
	v_readfirstlane_b32 s1, v1
	s_mul_i32 s0, s0, s1
	s_mul_hi_u32 s0, s1, s0
	s_add_i32 s1, s1, s0
	s_mul_hi_u32 s0, s9, s1
	s_mul_i32 s2, s0, s58
	s_sub_i32 s2, s9, s2
	s_add_i32 s1, s0, 1
	s_sub_i32 s9, s2, s58
	s_cmp_ge_u32 s2, s58
	s_cselect_b32 s0, s1, s0
	s_cselect_b32 s2, s9, s2
	s_add_i32 s1, s0, 1
	s_cmp_ge_u32 s2, s58
	s_cselect_b32 s2, s1, s0
.LBB122_5:
	v_mov_b32_e32 v1, 0
	v_mov_b32_e32 v4, s6
	v_mad_u64_u32 v[14:15], s[0:1], s8, v4, v[0:1]
	s_add_u32 s0, s2, 1
	s_addc_u32 s1, s3, 0
	s_mul_hi_u32 s2, s7, s8
	s_mul_i32 s1, s33, s1
	s_mul_hi_u32 s3, s33, s0
	s_add_i32 s1, s3, s1
	s_mul_i32 s2, s2, s0
	s_add_i32 s1, s1, s2
	s_mul_i32 s0, s33, s0
	s_lshl_b64 s[26:27], s[0:1], 2
	v_cmp_gt_i64_e32 vcc, s[26:27], v[14:15]
	s_and_saveexec_b64 s[0:1], vcc
	s_cbranch_execz .LBB122_50
; %bb.6:
	s_mov_b32 s0, 0x5384540f
	v_mov_b32_e32 v0, v13
	v_add_co_u32_e32 v22, vcc, s0, v12
	s_mov_b32 s0, 0x646e171e
	v_add_co_u32_e32 v23, vcc, s0, v0
	s_mov_b32 s0, 0x1715609d
	;; [unrolled: 2-line block ×6, first 2 shown]
	v_alignbit_b32 v29, v3, v2, 2
	s_mov_b32 s60, 0xd2511f53
	v_add_co_u32_e32 v28, vcc, s0, v12
	v_mad_u64_u32 v[4:5], s[0:1], v29, s60, 0
	v_xor_b32_e32 v1, v5, v13
	v_xor_b32_e32 v1, v1, v15
	s_mov_b32 s61, 0xcd9e8d57
	v_mad_u64_u32 v[6:7], s[0:1], v1, s61, 0
	v_xor_b32_e32 v1, v28, v7
	v_mad_u64_u32 v[8:9], s[0:1], v14, s61, 0
	v_and_b32_e32 v18, 3, v2
	v_xor_b32_e32 v1, v1, v8
	v_xor_b32_e32 v2, v12, v9
	v_lshrrev_b32_e32 v30, 2, v3
	v_mad_u64_u32 v[10:11], s[0:1], v1, s60, 0
	v_xor_b32_e32 v2, v2, v30
	v_xor_b32_e32 v1, v27, v11
	v_mad_u64_u32 v[2:3], s[0:1], v2, s60, 0
	v_xor_b32_e32 v1, v1, v2
	v_mad_u64_u32 v[8:9], s[0:1], v1, s61, 0
	s_mov_b32 s0, 0xbb67ae85
	v_add_co_u32_e32 v31, vcc, s0, v0
	v_xor_b32_e32 v2, v31, v3
	v_xor_b32_e32 v2, v2, v4
	v_xor_b32_e32 v1, v26, v9
	v_mad_u64_u32 v[2:3], s[0:1], v2, s61, 0
	v_xor_b32_e32 v1, v1, v2
	v_mad_u64_u32 v[4:5], s[0:1], v1, s60, 0
	s_mov_b32 s0, 0x3c6ef372
	v_add_co_u32_e32 v32, vcc, s0, v12
	v_xor_b32_e32 v2, v32, v3
	;; [unrolled: 8-line block ×6, first 2 shown]
	v_add_co_u32_e32 v21, vcc, 0xdb3d7428, v0
	v_xor_b32_e32 v2, v2, v6
	v_xor_b32_e32 v1, v21, v5
	v_mad_u64_u32 v[2:3], s[0:1], v2, s60, 0
	v_xor_b32_e32 v1, v1, v2
	v_mad_u64_u32 v[6:7], s[0:1], v1, s61, 0
	s_mov_b32 s0, 0x1fd5c5a3
	v_add_co_u32_e32 v37, vcc, s0, v0
	v_xor_b32_e32 v0, v37, v3
	v_xor_b32_e32 v0, v0, v10
	v_mad_u64_u32 v[0:1], s[0:1], v0, s61, 0
	s_mov_b32 s0, 0xf1bbcdc8
	s_load_dwordx8 s[8:15], s[4:5], 0x30
	v_add_co_u32_e32 v38, vcc, s0, v12
	v_xor_b32_e32 v1, v38, v1
	v_xor_b32_e32 v1, v1, v8
	s_add_u32 s34, s4, 48
	v_mad_u64_u32 v[8:9], s[0:1], v1, s60, 0
	s_addc_u32 s35, s5, 0
	s_waitcnt lgkmcnt(0)
	s_add_i32 s0, s8, -1
	s_cmp_gt_u32 s0, 1
	s_cselect_b64 s[40:41], -1, 0
	s_cmp_lg_u32 s8, 0
	s_cselect_b64 s[42:43], -1, 0
	s_add_u32 s44, s4, 0xf4
	s_addc_u32 s45, s5, 0
	s_load_dwordx2 s[46:47], s[4:5], 0xf4
	s_load_dwordx4 s[28:31], s[4:5], 0x138
	s_min_u32 s1, s0, 15
	s_cmp_gt_u32 s8, 1
	s_cselect_b64 s[48:49], -1, 0
	s_add_i32 s1, s1, 1
	s_mov_b32 s8, s13
	s_and_b32 s13, s1, 3
	s_cmp_lg_u32 s0, 2
	s_waitcnt lgkmcnt(0)
	v_cvt_f32_f64_e32 v39, s[30:31]
	s_cselect_b64 s[30:31], -1, 0
	s_and_b32 s15, s1, 28
	v_add_u32_e32 v19, 0x8ff34781, v12
	v_add_u32_e32 v20, 0x96a522ad, v13
	v_xor_b32_e32 v0, v7, v0
	v_xor_b32_e32 v1, v9, v4
	s_cmp_lg_u32 s13, 0
	s_mov_b32 s59, 0
	v_xor_b32_e32 v0, v19, v0
	v_xor_b32_e32 v2, v20, v1
	v_mov_b32_e32 v1, v6
	v_mov_b32_e32 v3, v8
	s_mov_b64 s[50:51], 0
	s_cselect_b64 s[52:53], -1, 0
	v_mov_b32_e32 v40, v14
	v_mov_b32_e32 v41, v15
	s_branch .LBB122_9
.LBB122_7:                              ;   in Loop: Header=BB122_9 Depth=1
	v_lshrrev_b32_e32 v0, 11, v3
	v_cvt_f64_u32_e32 v[0:1], v0
	v_ldexp_f64 v[0:1], v[0:1], 32
	v_cvt_f64_u32_e32 v[2:3], v2
	v_add_f64 v[0:1], v[0:1], v[2:3]
	v_mov_b32_e32 v2, 0
	v_mov_b32_e32 v3, 0x3ca00000
	v_fmac_f64_e32 v[2:3], 0x3ca00000, v[0:1]
	v_cvt_f32_f64_e32 v0, v[2:3]
	v_cmp_gt_f32_e32 vcc, v39, v0
	v_cndmask_b32_e64 v0, 0, 1, vcc
	global_store_byte v8, v0, s[28:29]
.LBB122_8:                              ;   in Loop: Header=BB122_9 Depth=1
	s_or_b64 exec, exec, s[36:37]
	v_add_co_u32_e32 v14, vcc, s58, v14
	v_addc_co_u32_e32 v15, vcc, 0, v15, vcc
	v_mov_b32_e32 v7, v16
	v_cmp_le_i64_e32 vcc, s[26:27], v[14:15]
	v_pk_mov_b32 v[0:1], v[4:5], v[4:5] op_sel:[0,1]
	s_or_b64 s[50:51], vcc, s[50:51]
	v_pk_mov_b32 v[2:3], v[6:7], v[6:7] op_sel:[0,1]
	s_barrier
	s_andn2_b64 exec, exec, s[50:51]
	s_cbranch_execz .LBB122_50
.LBB122_9:                              ; =>This Loop Header: Depth=1
                                        ;     Child Loop BB122_24 Depth 2
                                        ;     Child Loop BB122_30 Depth 2
	;; [unrolled: 1-line block ×4, first 2 shown]
	v_add_co_u32_e32 v29, vcc, 1, v29
	v_cndmask_b32_e64 v4, 0, 1, vcc
	v_addc_co_u32_e32 v30, vcc, 0, v30, vcc
	v_cmp_eq_u32_e32 vcc, 0, v30
	v_cndmask_b32_e32 v4, 0, v4, vcc
	v_add_u32_e32 v40, v4, v40
	v_cmp_eq_u32_e32 vcc, 0, v40
	v_cndmask_b32_e32 v4, 0, v4, vcc
	v_add_u32_e32 v41, v4, v41
	v_mad_u64_u32 v[4:5], s[0:1], v29, s60, 0
	v_mad_u64_u32 v[6:7], s[0:1], v40, s61, 0
	v_xor_b32_e32 v5, v5, v13
	v_xor_b32_e32 v7, v7, v12
	v_xor_b32_e32 v5, v41, v5
	v_xor_b32_e32 v7, v30, v7
	v_mad_u64_u32 v[10:11], s[0:1], v5, s61, 0
	v_mad_u64_u32 v[8:9], s[0:1], v7, s60, 0
	v_xor_b32_e32 v5, v28, v11
	v_xor_b32_e32 v5, v5, v6
	v_xor_b32_e32 v6, v31, v9
	v_xor_b32_e32 v6, v6, v4
	;; [unrolled: 6-line block ×10, first 2 shown]
	v_mov_b32_e32 v5, v10
	v_mov_b32_e32 v6, v11
	v_cmp_lt_i32_e32 vcc, 1, v18
	s_and_saveexec_b64 s[0:1], vcc
	s_xor_b64 s[0:1], exec, s[0:1]
	s_cbranch_execz .LBB122_15
; %bb.10:                               ;   in Loop: Header=BB122_9 Depth=1
	v_cmp_lt_i32_e32 vcc, 2, v18
	s_and_saveexec_b64 s[2:3], vcc
	s_xor_b64 s[2:3], exec, s[2:3]
; %bb.11:                               ;   in Loop: Header=BB122_9 Depth=1
	v_mov_b32_e32 v8, v3
	v_mov_b32_e32 v9, v4
	v_pk_mov_b32 v[0:1], v[8:9], v[8:9] op_sel:[0,1]
	v_pk_mov_b32 v[2:3], v[10:11], v[10:11] op_sel:[0,1]
                                        ; implicit-def: $vgpr10_vgpr11
; %bb.12:                               ;   in Loop: Header=BB122_9 Depth=1
	s_andn2_saveexec_b64 s[2:3], s[2:3]
; %bb.13:                               ;   in Loop: Header=BB122_9 Depth=1
	v_mov_b32_e32 v0, v2
	v_mov_b32_e32 v1, v3
	;; [unrolled: 1-line block ×4, first 2 shown]
; %bb.14:                               ;   in Loop: Header=BB122_9 Depth=1
	s_or_b64 exec, exec, s[2:3]
.LBB122_15:                             ;   in Loop: Header=BB122_9 Depth=1
	s_andn2_saveexec_b64 s[0:1], s[0:1]
	s_cbranch_execz .LBB122_19
; %bb.16:                               ;   in Loop: Header=BB122_9 Depth=1
	v_cmp_eq_u32_e32 vcc, 1, v18
	s_and_saveexec_b64 s[2:3], vcc
; %bb.17:                               ;   in Loop: Header=BB122_9 Depth=1
	v_mov_b32_e32 v0, v1
	v_mov_b32_e32 v1, v2
	;; [unrolled: 1-line block ×4, first 2 shown]
; %bb.18:                               ;   in Loop: Header=BB122_9 Depth=1
	s_or_b64 exec, exec, s[2:3]
.LBB122_19:                             ;   in Loop: Header=BB122_9 Depth=1
	s_or_b64 exec, exec, s[0:1]
	v_cndmask_b32_e64 v7, 0, 1, s[40:41]
	v_cmp_gt_i64_e32 vcc, s[24:25], v[14:15]
	v_cmp_ne_u32_e64 s[0:1], 1, v7
	s_and_saveexec_b64 s[2:3], vcc
	s_cbranch_execz .LBB122_35
; %bb.20:                               ;   in Loop: Header=BB122_9 Depth=1
	s_and_b64 vcc, exec, s[0:1]
	s_cbranch_vccnz .LBB122_26
; %bb.21:                               ;   in Loop: Header=BB122_9 Depth=1
	s_andn2_b64 vcc, exec, s[42:43]
	s_cbranch_vccnz .LBB122_27
; %bb.22:                               ;   in Loop: Header=BB122_9 Depth=1
	s_mov_b32 s6, 0
	s_andn2_b64 vcc, exec, s[30:31]
	v_mov_b32_e32 v8, 0
	s_cbranch_vccnz .LBB122_28
; %bb.23:                               ;   in Loop: Header=BB122_9 Depth=1
	s_mov_b32 s62, 0
	v_mov_b32_e32 v8, 0
	s_mov_b64 s[54:55], s[34:35]
	s_mov_b64 s[56:57], s[44:45]
	v_mov_b32_e32 v7, v14
.LBB122_24:                             ;   Parent Loop BB122_9 Depth=1
                                        ; =>  This Inner Loop Header: Depth=2
	s_load_dwordx8 s[16:23], s[54:55], 0x4
	s_load_dwordx4 s[4:7], s[54:55], 0x24
	s_load_dwordx4 s[36:39], s[56:57], 0x0
	s_add_u32 s54, s54, 48
	s_addc_u32 s55, s55, 0
	s_waitcnt lgkmcnt(0)
	v_mul_hi_u32 v9, s17, v7
	v_add_u32_e32 v9, v7, v9
	v_lshrrev_b32_e32 v9, s18, v9
	v_mul_lo_u32 v10, v9, s16
	v_mul_hi_u32 v11, s20, v9
	v_sub_u32_e32 v7, v7, v10
	v_add_u32_e32 v10, v9, v11
	v_lshrrev_b32_e32 v10, s21, v10
	v_mul_lo_u32 v11, v10, s19
	v_mul_hi_u32 v17, s23, v10
	v_sub_u32_e32 v9, v9, v11
	v_add_u32_e32 v11, v10, v17
	v_mul_lo_u32 v7, v7, s36
	v_mul_lo_u32 v9, v9, s37
	v_lshrrev_b32_e32 v11, s4, v11
	v_add3_u32 v8, v7, v8, v9
	v_mul_lo_u32 v7, v11, s22
	v_mul_hi_u32 v9, s6, v11
	v_sub_u32_e32 v7, v10, v7
	v_add_u32_e32 v9, v11, v9
	v_mul_lo_u32 v10, v7, s38
	v_lshrrev_b32_e32 v7, s7, v9
	s_add_i32 s62, s62, 4
	v_mul_lo_u32 v9, v7, s5
	s_add_u32 s56, s56, 16
	v_sub_u32_e32 v9, v11, v9
	s_addc_u32 s57, s57, 0
	v_mul_lo_u32 v9, v9, s39
	s_cmp_lg_u32 s15, s62
	v_add3_u32 v8, v10, v8, v9
	s_cbranch_scc1 .LBB122_24
; %bb.25:                               ;   in Loop: Header=BB122_9 Depth=1
	s_mov_b32 s6, s15
	s_andn2_b64 vcc, exec, s[52:53]
	s_cbranch_vccz .LBB122_29
	s_branch .LBB122_31
.LBB122_26:                             ;   in Loop: Header=BB122_9 Depth=1
                                        ; implicit-def: $vgpr8
	s_branch .LBB122_32
.LBB122_27:                             ;   in Loop: Header=BB122_9 Depth=1
	v_mov_b32_e32 v8, 0
	s_branch .LBB122_31
.LBB122_28:                             ;   in Loop: Header=BB122_9 Depth=1
	v_mov_b32_e32 v7, v14
	s_andn2_b64 vcc, exec, s[52:53]
	s_cbranch_vccnz .LBB122_31
.LBB122_29:                             ;   in Loop: Header=BB122_9 Depth=1
	s_lshl_b32 s4, s6, 2
	s_add_u32 s4, s44, s4
	s_addc_u32 s5, s45, 0
	s_mul_i32 s6, s6, 12
	s_add_u32 s6, s34, s6
	s_addc_u32 s7, s35, 0
	s_mov_b32 s16, s13
.LBB122_30:                             ;   Parent Loop BB122_9 Depth=1
                                        ; =>  This Inner Loop Header: Depth=2
	s_load_dwordx2 s[18:19], s[6:7], 0x4
	s_load_dword s17, s[6:7], 0xc
	s_load_dword s20, s[4:5], 0x0
	s_add_u32 s6, s6, 12
	s_addc_u32 s7, s7, 0
	s_waitcnt lgkmcnt(0)
	v_mul_hi_u32 v9, s19, v7
	v_add_u32_e32 v9, v7, v9
	v_lshrrev_b32_e32 v9, s17, v9
	s_add_u32 s4, s4, 4
	v_mul_lo_u32 v10, v9, s18
	s_addc_u32 s5, s5, 0
	s_add_i32 s16, s16, -1
	v_sub_u32_e32 v10, v7, v10
	s_cmp_lg_u32 s16, 0
	v_mov_b32_e32 v7, v9
	v_mad_u64_u32 v[8:9], s[18:19], v10, s20, v[8:9]
	s_cbranch_scc1 .LBB122_30
.LBB122_31:                             ;   in Loop: Header=BB122_9 Depth=1
	s_cbranch_execnz .LBB122_34
.LBB122_32:                             ;   in Loop: Header=BB122_9 Depth=1
	v_mul_hi_u32 v7, v14, s10
	v_add_u32_e32 v7, v7, v14
	v_lshrrev_b32_e32 v7, s11, v7
	v_mul_lo_u32 v8, v7, s9
	v_sub_u32_e32 v8, v14, v8
	s_andn2_b64 vcc, exec, s[48:49]
	v_mul_lo_u32 v8, v8, s46
	s_cbranch_vccnz .LBB122_34
; %bb.33:                               ;   in Loop: Header=BB122_9 Depth=1
	v_mul_hi_u32 v9, s8, v7
	v_add_u32_e32 v9, v7, v9
	v_lshrrev_b32_e32 v9, s14, v9
	v_mul_lo_u32 v9, v9, s12
	v_sub_u32_e32 v7, v7, v9
	v_mad_u64_u32 v[8:9], s[4:5], v7, s47, v[8:9]
.LBB122_34:                             ;   in Loop: Header=BB122_9 Depth=1
	v_lshrrev_b32_e32 v1, 11, v1
	v_cvt_f64_u32_e32 v[10:11], v1
	v_ldexp_f64 v[10:11], v[10:11], 32
	v_cvt_f64_u32_e32 v[0:1], v0
	v_add_f64 v[0:1], v[10:11], v[0:1]
	v_mov_b32_e32 v10, 0
	v_mov_b32_e32 v11, 0x3ca00000
	v_fmac_f64_e32 v[10:11], 0x3ca00000, v[0:1]
	v_cvt_f32_f64_e32 v0, v[10:11]
	v_cmp_gt_f32_e32 vcc, v39, v0
	v_cndmask_b32_e64 v0, 0, 1, vcc
	global_store_byte v8, v0, s[28:29]
.LBB122_35:                             ;   in Loop: Header=BB122_9 Depth=1
	s_or_b64 exec, exec, s[2:3]
	v_mov_b32_e32 v1, s59
	v_add_co_u32_e32 v0, vcc, s33, v14
	v_addc_co_u32_e32 v1, vcc, v15, v1, vcc
	v_cmp_gt_i64_e32 vcc, s[24:25], v[0:1]
	s_and_saveexec_b64 s[36:37], vcc
	s_cbranch_execz .LBB122_8
; %bb.36:                               ;   in Loop: Header=BB122_9 Depth=1
	s_and_b64 vcc, exec, s[0:1]
	s_cbranch_vccnz .LBB122_42
; %bb.37:                               ;   in Loop: Header=BB122_9 Depth=1
	s_andn2_b64 vcc, exec, s[42:43]
	s_cbranch_vccnz .LBB122_43
; %bb.38:                               ;   in Loop: Header=BB122_9 Depth=1
	s_mov_b32 s2, 0
	s_andn2_b64 vcc, exec, s[30:31]
	v_mov_b32_e32 v8, 0
	s_cbranch_vccnz .LBB122_44
; %bb.39:                               ;   in Loop: Header=BB122_9 Depth=1
	s_mov_b32 s56, 0
	v_mov_b32_e32 v8, 0
	s_mov_b64 s[38:39], s[34:35]
	s_mov_b64 s[54:55], s[44:45]
	v_mov_b32_e32 v1, v0
.LBB122_40:                             ;   Parent Loop BB122_9 Depth=1
                                        ; =>  This Inner Loop Header: Depth=2
	s_load_dwordx8 s[0:7], s[38:39], 0x4
	s_load_dwordx4 s[16:19], s[38:39], 0x24
	s_load_dwordx4 s[20:23], s[54:55], 0x0
	s_add_u32 s38, s38, 48
	s_addc_u32 s39, s39, 0
	s_waitcnt lgkmcnt(0)
	v_mul_hi_u32 v7, s1, v1
	v_add_u32_e32 v7, v1, v7
	v_lshrrev_b32_e32 v7, s2, v7
	v_mul_lo_u32 v9, v7, s0
	v_mul_hi_u32 v10, s4, v7
	v_sub_u32_e32 v1, v1, v9
	v_add_u32_e32 v9, v7, v10
	v_lshrrev_b32_e32 v9, s5, v9
	v_mul_lo_u32 v10, v9, s3
	v_mul_hi_u32 v11, s7, v9
	v_sub_u32_e32 v7, v7, v10
	v_add_u32_e32 v10, v9, v11
	v_mul_lo_u32 v1, v1, s20
	v_mul_lo_u32 v7, v7, s21
	v_lshrrev_b32_e32 v10, s16, v10
	v_add3_u32 v7, v1, v8, v7
	v_mul_lo_u32 v1, v10, s6
	v_mul_hi_u32 v8, s18, v10
	v_sub_u32_e32 v1, v9, v1
	v_add_u32_e32 v8, v10, v8
	v_mul_lo_u32 v9, v1, s22
	v_lshrrev_b32_e32 v1, s19, v8
	s_add_i32 s56, s56, 4
	v_mul_lo_u32 v8, v1, s17
	s_add_u32 s54, s54, 16
	v_sub_u32_e32 v8, v10, v8
	s_addc_u32 s55, s55, 0
	v_mul_lo_u32 v8, v8, s23
	s_cmp_eq_u32 s15, s56
	v_add3_u32 v8, v9, v7, v8
	s_cbranch_scc0 .LBB122_40
; %bb.41:                               ;   in Loop: Header=BB122_9 Depth=1
	s_mov_b32 s2, s15
	s_andn2_b64 vcc, exec, s[52:53]
	s_cbranch_vccz .LBB122_45
	s_branch .LBB122_47
.LBB122_42:                             ;   in Loop: Header=BB122_9 Depth=1
                                        ; implicit-def: $vgpr8
	s_branch .LBB122_48
.LBB122_43:                             ;   in Loop: Header=BB122_9 Depth=1
	v_mov_b32_e32 v8, 0
	s_branch .LBB122_47
.LBB122_44:                             ;   in Loop: Header=BB122_9 Depth=1
	v_mov_b32_e32 v1, v0
	s_andn2_b64 vcc, exec, s[52:53]
	s_cbranch_vccnz .LBB122_47
.LBB122_45:                             ;   in Loop: Header=BB122_9 Depth=1
	s_lshl_b32 s0, s2, 2
	s_add_u32 s0, s44, s0
	s_addc_u32 s1, s45, 0
	s_mul_i32 s2, s2, 12
	s_add_u32 s2, s34, s2
	s_addc_u32 s3, s35, 0
	s_mov_b32 s4, s13
.LBB122_46:                             ;   Parent Loop BB122_9 Depth=1
                                        ; =>  This Inner Loop Header: Depth=2
	s_load_dwordx2 s[6:7], s[2:3], 0x4
	s_load_dword s5, s[2:3], 0xc
	s_load_dword s16, s[0:1], 0x0
	s_add_u32 s2, s2, 12
	s_addc_u32 s3, s3, 0
	s_waitcnt lgkmcnt(0)
	v_mul_hi_u32 v7, s7, v1
	v_add_u32_e32 v7, v1, v7
	v_lshrrev_b32_e32 v7, s5, v7
	s_add_u32 s0, s0, 4
	v_mul_lo_u32 v9, v7, s6
	s_addc_u32 s1, s1, 0
	s_add_i32 s4, s4, -1
	v_sub_u32_e32 v9, v1, v9
	s_cmp_lg_u32 s4, 0
	v_mov_b32_e32 v1, v7
	v_mad_u64_u32 v[8:9], s[6:7], v9, s16, v[8:9]
	s_cbranch_scc1 .LBB122_46
.LBB122_47:                             ;   in Loop: Header=BB122_9 Depth=1
	s_cbranch_execnz .LBB122_7
.LBB122_48:                             ;   in Loop: Header=BB122_9 Depth=1
	v_mul_hi_u32 v1, v0, s10
	v_add_u32_e32 v1, v1, v0
	v_lshrrev_b32_e32 v1, s11, v1
	v_mul_lo_u32 v7, v1, s9
	v_sub_u32_e32 v0, v0, v7
	s_andn2_b64 vcc, exec, s[48:49]
	v_mul_lo_u32 v8, v0, s46
	s_cbranch_vccnz .LBB122_7
; %bb.49:                               ;   in Loop: Header=BB122_9 Depth=1
	v_mul_hi_u32 v0, s8, v1
	v_add_u32_e32 v0, v1, v0
	v_lshrrev_b32_e32 v0, s14, v0
	v_mul_lo_u32 v0, v0, s12
	v_sub_u32_e32 v0, v1, v0
	v_mad_u64_u32 v[8:9], s[0:1], v0, s47, v[8:9]
	s_branch .LBB122_7
.LBB122_50:
	s_endpgm
.LBB122_51:
                                        ; implicit-def: $sgpr2_sgpr3
	s_andn2_b64 vcc, exec, s[0:1]
	s_cbranch_vccz .LBB122_4
	s_branch .LBB122_5
	.section	.rodata,"a",@progbits
	.p2align	6, 0x0
	.amdhsa_kernel _ZN2at6native12_GLOBAL__N_143distribution_elementwise_grid_stride_kernelIfLi4EZNS0_9templates4cuda21uniform_and_transformIhfPNS_17CUDAGeneratorImplEZZZNS4_16bernoulli_kernelIS7_EEvRNS_18TensorIteratorBaseEdT_ENKUlvE_clEvENKUlvE_clEvEUlfE_EEvSA_T1_T2_EUlP25hiprandStatePhilox4_32_10E_ZNS1_27distribution_nullary_kernelIhf15HIP_vector_typeIdLj2EES7_SJ_SE_EEvSA_SG_RKT3_T4_EUlifE0_EEvlNS_15PhiloxCudaStateESF_SG_
		.amdhsa_group_segment_fixed_size 0
		.amdhsa_private_segment_fixed_size 0
		.amdhsa_kernarg_size 584
		.amdhsa_user_sgpr_count 6
		.amdhsa_user_sgpr_private_segment_buffer 1
		.amdhsa_user_sgpr_dispatch_ptr 0
		.amdhsa_user_sgpr_queue_ptr 0
		.amdhsa_user_sgpr_kernarg_segment_ptr 1
		.amdhsa_user_sgpr_dispatch_id 0
		.amdhsa_user_sgpr_flat_scratch_init 0
		.amdhsa_user_sgpr_kernarg_preload_length 0
		.amdhsa_user_sgpr_kernarg_preload_offset 0
		.amdhsa_user_sgpr_private_segment_size 0
		.amdhsa_uses_dynamic_stack 0
		.amdhsa_system_sgpr_private_segment_wavefront_offset 0
		.amdhsa_system_sgpr_workgroup_id_x 1
		.amdhsa_system_sgpr_workgroup_id_y 0
		.amdhsa_system_sgpr_workgroup_id_z 0
		.amdhsa_system_sgpr_workgroup_info 0
		.amdhsa_system_vgpr_workitem_id 0
		.amdhsa_next_free_vgpr 42
		.amdhsa_next_free_sgpr 63
		.amdhsa_accum_offset 44
		.amdhsa_reserve_vcc 1
		.amdhsa_reserve_flat_scratch 0
		.amdhsa_float_round_mode_32 0
		.amdhsa_float_round_mode_16_64 0
		.amdhsa_float_denorm_mode_32 3
		.amdhsa_float_denorm_mode_16_64 3
		.amdhsa_dx10_clamp 1
		.amdhsa_ieee_mode 1
		.amdhsa_fp16_overflow 0
		.amdhsa_tg_split 0
		.amdhsa_exception_fp_ieee_invalid_op 0
		.amdhsa_exception_fp_denorm_src 0
		.amdhsa_exception_fp_ieee_div_zero 0
		.amdhsa_exception_fp_ieee_overflow 0
		.amdhsa_exception_fp_ieee_underflow 0
		.amdhsa_exception_fp_ieee_inexact 0
		.amdhsa_exception_int_div_zero 0
	.end_amdhsa_kernel
	.section	.text._ZN2at6native12_GLOBAL__N_143distribution_elementwise_grid_stride_kernelIfLi4EZNS0_9templates4cuda21uniform_and_transformIhfPNS_17CUDAGeneratorImplEZZZNS4_16bernoulli_kernelIS7_EEvRNS_18TensorIteratorBaseEdT_ENKUlvE_clEvENKUlvE_clEvEUlfE_EEvSA_T1_T2_EUlP25hiprandStatePhilox4_32_10E_ZNS1_27distribution_nullary_kernelIhf15HIP_vector_typeIdLj2EES7_SJ_SE_EEvSA_SG_RKT3_T4_EUlifE0_EEvlNS_15PhiloxCudaStateESF_SG_,"axG",@progbits,_ZN2at6native12_GLOBAL__N_143distribution_elementwise_grid_stride_kernelIfLi4EZNS0_9templates4cuda21uniform_and_transformIhfPNS_17CUDAGeneratorImplEZZZNS4_16bernoulli_kernelIS7_EEvRNS_18TensorIteratorBaseEdT_ENKUlvE_clEvENKUlvE_clEvEUlfE_EEvSA_T1_T2_EUlP25hiprandStatePhilox4_32_10E_ZNS1_27distribution_nullary_kernelIhf15HIP_vector_typeIdLj2EES7_SJ_SE_EEvSA_SG_RKT3_T4_EUlifE0_EEvlNS_15PhiloxCudaStateESF_SG_,comdat
.Lfunc_end122:
	.size	_ZN2at6native12_GLOBAL__N_143distribution_elementwise_grid_stride_kernelIfLi4EZNS0_9templates4cuda21uniform_and_transformIhfPNS_17CUDAGeneratorImplEZZZNS4_16bernoulli_kernelIS7_EEvRNS_18TensorIteratorBaseEdT_ENKUlvE_clEvENKUlvE_clEvEUlfE_EEvSA_T1_T2_EUlP25hiprandStatePhilox4_32_10E_ZNS1_27distribution_nullary_kernelIhf15HIP_vector_typeIdLj2EES7_SJ_SE_EEvSA_SG_RKT3_T4_EUlifE0_EEvlNS_15PhiloxCudaStateESF_SG_, .Lfunc_end122-_ZN2at6native12_GLOBAL__N_143distribution_elementwise_grid_stride_kernelIfLi4EZNS0_9templates4cuda21uniform_and_transformIhfPNS_17CUDAGeneratorImplEZZZNS4_16bernoulli_kernelIS7_EEvRNS_18TensorIteratorBaseEdT_ENKUlvE_clEvENKUlvE_clEvEUlfE_EEvSA_T1_T2_EUlP25hiprandStatePhilox4_32_10E_ZNS1_27distribution_nullary_kernelIhf15HIP_vector_typeIdLj2EES7_SJ_SE_EEvSA_SG_RKT3_T4_EUlifE0_EEvlNS_15PhiloxCudaStateESF_SG_
                                        ; -- End function
	.section	.AMDGPU.csdata,"",@progbits
; Kernel info:
; codeLenInByte = 3312
; NumSgprs: 67
; NumVgprs: 42
; NumAgprs: 0
; TotalNumVgprs: 42
; ScratchSize: 0
; MemoryBound: 0
; FloatMode: 240
; IeeeMode: 1
; LDSByteSize: 0 bytes/workgroup (compile time only)
; SGPRBlocks: 8
; VGPRBlocks: 5
; NumSGPRsForWavesPerEU: 67
; NumVGPRsForWavesPerEU: 42
; AccumOffset: 44
; Occupancy: 8
; WaveLimiterHint : 1
; COMPUTE_PGM_RSRC2:SCRATCH_EN: 0
; COMPUTE_PGM_RSRC2:USER_SGPR: 6
; COMPUTE_PGM_RSRC2:TRAP_HANDLER: 0
; COMPUTE_PGM_RSRC2:TGID_X_EN: 1
; COMPUTE_PGM_RSRC2:TGID_Y_EN: 0
; COMPUTE_PGM_RSRC2:TGID_Z_EN: 0
; COMPUTE_PGM_RSRC2:TIDIG_COMP_CNT: 0
; COMPUTE_PGM_RSRC3_GFX90A:ACCUM_OFFSET: 10
; COMPUTE_PGM_RSRC3_GFX90A:TG_SPLIT: 0
	.section	.text._ZN2at6native12_GLOBAL__N_143distribution_elementwise_grid_stride_kernelIfLi4EZNS0_9templates4cuda21uniform_and_transformIhfPNS_17CUDAGeneratorImplEZZZNS4_16bernoulli_kernelIS7_EEvRNS_18TensorIteratorBaseEdT_ENKUlvE_clEvENKUlvE_clEvEUlfE_EEvSA_T1_T2_EUlP25hiprandStatePhilox4_32_10E0_ZNS1_27distribution_nullary_kernelIhf15HIP_vector_typeIfLj4EES7_SJ_SE_EEvSA_SG_RKT3_T4_EUlifE_EEvlNS_15PhiloxCudaStateESF_SG_,"axG",@progbits,_ZN2at6native12_GLOBAL__N_143distribution_elementwise_grid_stride_kernelIfLi4EZNS0_9templates4cuda21uniform_and_transformIhfPNS_17CUDAGeneratorImplEZZZNS4_16bernoulli_kernelIS7_EEvRNS_18TensorIteratorBaseEdT_ENKUlvE_clEvENKUlvE_clEvEUlfE_EEvSA_T1_T2_EUlP25hiprandStatePhilox4_32_10E0_ZNS1_27distribution_nullary_kernelIhf15HIP_vector_typeIfLj4EES7_SJ_SE_EEvSA_SG_RKT3_T4_EUlifE_EEvlNS_15PhiloxCudaStateESF_SG_,comdat
	.globl	_ZN2at6native12_GLOBAL__N_143distribution_elementwise_grid_stride_kernelIfLi4EZNS0_9templates4cuda21uniform_and_transformIhfPNS_17CUDAGeneratorImplEZZZNS4_16bernoulli_kernelIS7_EEvRNS_18TensorIteratorBaseEdT_ENKUlvE_clEvENKUlvE_clEvEUlfE_EEvSA_T1_T2_EUlP25hiprandStatePhilox4_32_10E0_ZNS1_27distribution_nullary_kernelIhf15HIP_vector_typeIfLj4EES7_SJ_SE_EEvSA_SG_RKT3_T4_EUlifE_EEvlNS_15PhiloxCudaStateESF_SG_ ; -- Begin function _ZN2at6native12_GLOBAL__N_143distribution_elementwise_grid_stride_kernelIfLi4EZNS0_9templates4cuda21uniform_and_transformIhfPNS_17CUDAGeneratorImplEZZZNS4_16bernoulli_kernelIS7_EEvRNS_18TensorIteratorBaseEdT_ENKUlvE_clEvENKUlvE_clEvEUlfE_EEvSA_T1_T2_EUlP25hiprandStatePhilox4_32_10E0_ZNS1_27distribution_nullary_kernelIhf15HIP_vector_typeIfLj4EES7_SJ_SE_EEvSA_SG_RKT3_T4_EUlifE_EEvlNS_15PhiloxCudaStateESF_SG_
	.p2align	8
	.type	_ZN2at6native12_GLOBAL__N_143distribution_elementwise_grid_stride_kernelIfLi4EZNS0_9templates4cuda21uniform_and_transformIhfPNS_17CUDAGeneratorImplEZZZNS4_16bernoulli_kernelIS7_EEvRNS_18TensorIteratorBaseEdT_ENKUlvE_clEvENKUlvE_clEvEUlfE_EEvSA_T1_T2_EUlP25hiprandStatePhilox4_32_10E0_ZNS1_27distribution_nullary_kernelIhf15HIP_vector_typeIfLj4EES7_SJ_SE_EEvSA_SG_RKT3_T4_EUlifE_EEvlNS_15PhiloxCudaStateESF_SG_,@function
_ZN2at6native12_GLOBAL__N_143distribution_elementwise_grid_stride_kernelIfLi4EZNS0_9templates4cuda21uniform_and_transformIhfPNS_17CUDAGeneratorImplEZZZNS4_16bernoulli_kernelIS7_EEvRNS_18TensorIteratorBaseEdT_ENKUlvE_clEvENKUlvE_clEvEUlfE_EEvSA_T1_T2_EUlP25hiprandStatePhilox4_32_10E0_ZNS1_27distribution_nullary_kernelIhf15HIP_vector_typeIfLj4EES7_SJ_SE_EEvSA_SG_RKT3_T4_EUlifE_EEvlNS_15PhiloxCudaStateESF_SG_: ; @_ZN2at6native12_GLOBAL__N_143distribution_elementwise_grid_stride_kernelIfLi4EZNS0_9templates4cuda21uniform_and_transformIhfPNS_17CUDAGeneratorImplEZZZNS4_16bernoulli_kernelIS7_EEvRNS_18TensorIteratorBaseEdT_ENKUlvE_clEvENKUlvE_clEvEUlfE_EEvSA_T1_T2_EUlP25hiprandStatePhilox4_32_10E0_ZNS1_27distribution_nullary_kernelIhf15HIP_vector_typeIfLj4EES7_SJ_SE_EEvSA_SG_RKT3_T4_EUlifE_EEvlNS_15PhiloxCudaStateESF_SG_
; %bb.0:
	s_load_dword s7, s[4:5], 0x20
	s_load_dwordx2 s[10:11], s[4:5], 0x10
	s_load_dwordx4 s[0:3], s[4:5], 0x0
	s_mov_b32 s8, 0
	s_waitcnt lgkmcnt(0)
	s_bitcmp0_b32 s7, 0
	v_pk_mov_b32 v[2:3], s[10:11], s[10:11] op_sel:[0,1]
	v_pk_mov_b32 v[14:15], s[2:3], s[2:3] op_sel:[0,1]
	s_cbranch_scc1 .LBB123_2
; %bb.1:
	v_pk_mov_b32 v[2:3], s[10:11], s[10:11] op_sel:[0,1]
	flat_load_dwordx2 v[2:3], v[2:3]
	v_pk_mov_b32 v[4:5], s[2:3], s[2:3] op_sel:[0,1]
	flat_load_dwordx2 v[14:15], v[4:5]
	s_load_dwordx2 s[2:3], s[4:5], 0x18
	s_waitcnt lgkmcnt(0)
	v_mov_b32_e32 v1, s3
	s_waitcnt vmcnt(0)
	v_add_co_u32_e32 v2, vcc, s2, v2
	v_addc_co_u32_e32 v3, vcc, v3, v1, vcc
.LBB123_2:
	s_load_dword s2, s[4:5], 0x54
	s_load_dword s17, s[4:5], 0x48
	s_waitcnt lgkmcnt(0)
	s_and_b32 s7, s2, 0xffff
	s_add_u32 s10, s0, -1
	s_mul_i32 s12, s17, s7
	s_addc_u32 s9, s1, -1
	s_lshl_b32 s13, s12, 2
	s_cmp_lg_u64 s[8:9], 0
	s_mov_b64 s[2:3], -1
	s_cbranch_scc0 .LBB123_27
; %bb.3:
	v_cvt_f32_u32_e32 v1, s13
	v_cvt_f32_ubyte0_e32 v4, 0
	s_sub_u32 s8, 0, s13
	s_subb_u32 s11, 0, 0
	v_madmk_f32 v1, v4, 0x4f800000, v1
	v_rcp_f32_e32 v1, v1
	v_mul_f32_e32 v1, 0x5f7ffffc, v1
	v_mul_f32_e32 v4, 0x2f800000, v1
	v_trunc_f32_e32 v4, v4
	v_madmk_f32 v1, v4, 0xcf800000, v1
	v_cvt_u32_f32_e32 v4, v4
	v_cvt_u32_f32_e32 v1, v1
	v_readfirstlane_b32 s14, v4
	v_readfirstlane_b32 s15, v1
	s_mul_i32 s16, s8, s14
	s_mul_hi_u32 s19, s8, s15
	s_mul_i32 s18, s11, s15
	s_add_i32 s16, s19, s16
	s_add_i32 s16, s16, s18
	s_mul_i32 s20, s8, s15
	s_mul_hi_u32 s18, s15, s16
	s_mul_i32 s19, s15, s16
	s_mul_hi_u32 s15, s15, s20
	s_add_u32 s15, s15, s19
	s_addc_u32 s18, 0, s18
	s_mul_hi_u32 s21, s14, s20
	s_mul_i32 s20, s14, s20
	s_add_u32 s15, s15, s20
	s_mul_hi_u32 s19, s14, s16
	s_addc_u32 s15, s18, s21
	s_addc_u32 s18, s19, 0
	s_mul_i32 s16, s14, s16
	s_add_u32 s15, s15, s16
	s_addc_u32 s16, 0, s18
	v_add_co_u32_e32 v1, vcc, s15, v1
	s_cmp_lg_u64 vcc, 0
	s_addc_u32 s14, s14, s16
	v_readfirstlane_b32 s16, v1
	s_mul_i32 s15, s8, s14
	s_mul_hi_u32 s18, s8, s16
	s_add_i32 s15, s18, s15
	s_mul_i32 s11, s11, s16
	s_add_i32 s15, s15, s11
	s_mul_i32 s8, s8, s16
	s_mul_hi_u32 s18, s14, s8
	s_mul_i32 s19, s14, s8
	s_mul_i32 s21, s16, s15
	s_mul_hi_u32 s8, s16, s8
	s_mul_hi_u32 s20, s16, s15
	s_add_u32 s8, s8, s21
	s_addc_u32 s16, 0, s20
	s_add_u32 s8, s8, s19
	s_mul_hi_u32 s11, s14, s15
	s_addc_u32 s8, s16, s18
	s_addc_u32 s11, s11, 0
	s_mul_i32 s15, s14, s15
	s_add_u32 s8, s8, s15
	s_addc_u32 s11, 0, s11
	v_add_co_u32_e32 v1, vcc, s8, v1
	s_cmp_lg_u64 vcc, 0
	s_addc_u32 s11, s14, s11
	s_ashr_i32 s14, s9, 31
	s_add_u32 s8, s10, s14
	s_mov_b32 s15, s14
	s_addc_u32 s9, s9, s14
	s_xor_b64 s[8:9], s[8:9], s[14:15]
	v_readfirstlane_b32 s19, v1
	s_mul_i32 s18, s8, s11
	s_mul_hi_u32 s20, s8, s19
	s_mul_hi_u32 s16, s8, s11
	s_add_u32 s18, s20, s18
	s_addc_u32 s16, 0, s16
	s_mul_hi_u32 s21, s9, s19
	s_mul_i32 s19, s9, s19
	s_add_u32 s18, s18, s19
	s_mul_hi_u32 s20, s9, s11
	s_addc_u32 s16, s16, s21
	s_addc_u32 s18, s20, 0
	s_mul_i32 s11, s9, s11
	s_add_u32 s11, s16, s11
	s_addc_u32 s16, 0, s18
	s_add_u32 s18, s11, 1
	s_addc_u32 s19, s16, 0
	s_add_u32 s20, s11, 2
	s_mul_i32 s22, s13, s16
	s_mul_hi_u32 s23, s13, s11
	s_addc_u32 s21, s16, 0
	s_add_i32 s23, s23, s22
	s_mul_i32 s22, s13, s11
	v_mov_b32_e32 v1, s22
	v_sub_co_u32_e32 v1, vcc, s8, v1
	s_cmp_lg_u64 vcc, 0
	s_subb_u32 s8, s9, s23
	v_subrev_co_u32_e32 v4, vcc, s13, v1
	s_cmp_lg_u64 vcc, 0
	s_subb_u32 s9, s8, 0
	v_readfirstlane_b32 s22, v4
	s_cmp_ge_u32 s22, s13
	s_cselect_b32 s22, -1, 0
	s_cmp_eq_u32 s9, 0
	s_cselect_b32 s9, s22, -1
	s_cmp_lg_u32 s9, 0
	s_cselect_b32 s9, s21, s19
	v_readfirstlane_b32 s19, v1
	s_cselect_b32 s18, s20, s18
	s_cmp_ge_u32 s19, s13
	s_cselect_b32 s19, -1, 0
	s_cmp_eq_u32 s8, 0
	s_cselect_b32 s8, s19, -1
	s_cmp_lg_u32 s8, 0
	s_cselect_b32 s9, s9, s16
	s_cselect_b32 s8, s18, s11
	s_xor_b64 s[8:9], s[8:9], s[14:15]
	s_sub_u32 s8, s8, s14
	s_subb_u32 s9, s9, s14
	s_cbranch_execnz .LBB123_5
.LBB123_4:
	v_cvt_f32_u32_e32 v1, s13
	s_sub_i32 s2, 0, s13
	s_mov_b32 s9, 0
	v_rcp_iflag_f32_e32 v1, v1
	v_mul_f32_e32 v1, 0x4f7ffffe, v1
	v_cvt_u32_f32_e32 v1, v1
	v_readfirstlane_b32 s3, v1
	s_mul_i32 s2, s2, s3
	s_mul_hi_u32 s2, s3, s2
	s_add_i32 s3, s3, s2
	s_mul_hi_u32 s2, s10, s3
	s_mul_i32 s8, s2, s13
	s_sub_i32 s8, s10, s8
	s_add_i32 s3, s2, 1
	s_sub_i32 s10, s8, s13
	s_cmp_ge_u32 s8, s13
	s_cselect_b32 s2, s3, s2
	s_cselect_b32 s8, s10, s8
	s_add_i32 s3, s2, 1
	s_cmp_ge_u32 s8, s13
	s_cselect_b32 s8, s3, s2
.LBB123_5:
	v_mov_b32_e32 v1, 0
	v_mov_b32_e32 v4, s6
	v_mad_u64_u32 v[16:17], s[2:3], s7, v4, v[0:1]
	s_add_u32 s2, s8, 1
	s_addc_u32 s3, s9, 0
	s_mul_hi_u32 s8, s17, s7
	s_mul_i32 s3, s12, s3
	s_mul_hi_u32 s9, s12, s2
	s_add_i32 s3, s9, s3
	s_mul_i32 s8, s8, s2
	s_add_i32 s3, s3, s8
	s_mul_i32 s2, s12, s2
	s_lshl_b64 s[2:3], s[2:3], 2
	v_cmp_gt_i64_e32 vcc, s[2:3], v[16:17]
	s_and_saveexec_b64 s[8:9], vcc
	s_cbranch_execz .LBB123_26
; %bb.6:
	s_load_dwordx2 s[8:9], s[4:5], 0x30
	s_load_dword s23, s[4:5], 0x38
	s_load_dwordx2 s[10:11], s[4:5], 0x40
	s_mov_b32 s4, 0x5384540f
	v_mov_b32_e32 v4, v15
	v_add_co_u32_e32 v22, vcc, s4, v14
	s_mov_b32 s4, 0x646e171e
	v_add_co_u32_e32 v23, vcc, s4, v4
	s_mov_b32 s4, 0x1715609d
	;; [unrolled: 2-line block ×6, first 2 shown]
	v_alignbit_b32 v29, v3, v2, 2
	s_mov_b32 s15, 0xd2511f53
	v_add_co_u32_e32 v28, vcc, s4, v14
	v_mad_u64_u32 v[6:7], s[4:5], v29, s15, 0
	v_xor_b32_e32 v1, v7, v15
	v_xor_b32_e32 v1, v1, v17
	s_mov_b32 s16, 0xcd9e8d57
	v_mad_u64_u32 v[8:9], s[4:5], v1, s16, 0
	v_xor_b32_e32 v1, v28, v9
	v_mad_u64_u32 v[10:11], s[4:5], v16, s16, 0
	v_and_b32_e32 v18, 3, v2
	v_xor_b32_e32 v1, v1, v10
	v_xor_b32_e32 v2, v14, v11
	v_lshrrev_b32_e32 v30, 2, v3
	v_mad_u64_u32 v[12:13], s[4:5], v1, s15, 0
	v_xor_b32_e32 v2, v2, v30
	v_xor_b32_e32 v1, v27, v13
	v_mad_u64_u32 v[2:3], s[4:5], v2, s15, 0
	v_xor_b32_e32 v1, v1, v2
	v_mad_u64_u32 v[10:11], s[4:5], v1, s16, 0
	s_mov_b32 s4, 0xbb67ae85
	v_add_co_u32_e32 v31, vcc, s4, v4
	v_xor_b32_e32 v2, v31, v3
	v_xor_b32_e32 v2, v2, v6
	v_xor_b32_e32 v1, v26, v11
	v_mad_u64_u32 v[2:3], s[4:5], v2, s16, 0
	v_xor_b32_e32 v1, v1, v2
	v_mad_u64_u32 v[6:7], s[4:5], v1, s15, 0
	s_mov_b32 s4, 0x3c6ef372
	v_add_co_u32_e32 v32, vcc, s4, v14
	v_xor_b32_e32 v2, v32, v3
	;; [unrolled: 8-line block ×6, first 2 shown]
	v_add_co_u32_e32 v21, vcc, 0xdb3d7428, v4
	v_xor_b32_e32 v2, v2, v8
	v_xor_b32_e32 v1, v21, v7
	v_mad_u64_u32 v[2:3], s[4:5], v2, s15, 0
	v_xor_b32_e32 v1, v1, v2
	v_mad_u64_u32 v[8:9], s[4:5], v1, s16, 0
	s_mov_b32 s4, 0x1fd5c5a3
	v_add_co_u32_e32 v37, vcc, s4, v4
	v_xor_b32_e32 v1, v37, v3
	v_xor_b32_e32 v1, v1, v12
	v_mad_u64_u32 v[2:3], s[4:5], v1, s16, 0
	s_mov_b32 s4, 0xf1bbcdc8
	v_add_u32_e32 v19, 0x8ff34781, v14
	v_xor_b32_e32 v1, v9, v2
	v_add_co_u32_e32 v38, vcc, s4, v14
	v_xor_b32_e32 v2, v19, v1
	v_xor_b32_e32 v1, v38, v3
	;; [unrolled: 1-line block ×3, first 2 shown]
	v_mad_u64_u32 v[10:11], s[4:5], v1, s15, 0
	v_add_u32_e32 v20, 0x96a522ad, v15
	v_xor_b32_e32 v1, v11, v6
	s_mul_i32 s4, s6, s7
	v_xor_b32_e32 v4, v20, v1
	v_add_u32_e32 v1, s4, v0
	s_waitcnt lgkmcnt(0)
	s_mul_i32 s4, s17, s23
	s_mul_i32 s4, s4, s7
	s_lshl_b32 s22, s4, 2
	s_mul_i32 s4, s17, 3
	s_add_i32 s4, s6, s4
	s_mul_i32 s4, s4, s7
	v_mul_lo_u32 v40, s23, v1
	v_add_u32_e32 v1, s4, v0
	s_lshl_b32 s4, s17, 1
	s_add_i32 s4, s6, s4
	s_mul_i32 s4, s4, s7
	v_mul_lo_u32 v41, s23, v1
	v_add_u32_e32 v1, s4, v0
	s_add_i32 s4, s6, s17
	s_mul_i32 s4, s4, s7
	s_mov_b32 s14, 0
	v_add_u32_e32 v0, s4, v0
	v_mov_b32_e32 v3, v8
	v_mov_b32_e32 v5, v10
	v_cvt_f32_f64_e32 v39, s[10:11]
	s_lshl_b32 s18, s12, 1
	s_mov_b32 s19, s14
	s_mul_i32 s20, s12, 3
	s_mov_b32 s21, s14
	v_mul_lo_u32 v42, s23, v1
	v_mul_lo_u32 v43, s23, v0
	s_mov_b64 s[4:5], 0
	s_mov_b32 s17, s14
	v_mov_b32_e32 v44, v16
	v_mov_b32_e32 v45, v17
	s_branch .LBB123_8
.LBB123_7:                              ;   in Loop: Header=BB123_8 Depth=1
	s_or_b64 exec, exec, s[6:7]
	v_add_co_u32_e32 v16, vcc, s13, v16
	v_addc_co_u32_e32 v17, vcc, 0, v17, vcc
	v_mov_b32_e32 v9, v0
	s_add_i32 s17, s17, s22
	v_cmp_le_i64_e32 vcc, s[2:3], v[16:17]
	v_pk_mov_b32 v[2:3], v[6:7], v[6:7] op_sel:[0,1]
	s_or_b64 s[4:5], vcc, s[4:5]
	v_pk_mov_b32 v[4:5], v[8:9], v[8:9] op_sel:[0,1]
	s_barrier
	s_andn2_b64 exec, exec, s[4:5]
	s_cbranch_execz .LBB123_26
.LBB123_8:                              ; =>This Inner Loop Header: Depth=1
	v_add_co_u32_e32 v29, vcc, 1, v29
	v_cndmask_b32_e64 v0, 0, 1, vcc
	v_addc_co_u32_e32 v30, vcc, 0, v30, vcc
	v_cmp_eq_u32_e32 vcc, 0, v30
	v_cndmask_b32_e32 v0, 0, v0, vcc
	v_add_u32_e32 v44, v0, v44
	v_cmp_eq_u32_e32 vcc, 0, v44
	v_cndmask_b32_e32 v0, 0, v0, vcc
	v_add_u32_e32 v45, v0, v45
	v_mad_u64_u32 v[0:1], s[6:7], v29, s15, 0
	v_mad_u64_u32 v[6:7], s[6:7], v44, s16, 0
	v_xor_b32_e32 v1, v1, v15
	v_xor_b32_e32 v7, v7, v14
	v_xor_b32_e32 v1, v45, v1
	v_xor_b32_e32 v7, v30, v7
	v_mad_u64_u32 v[10:11], s[6:7], v1, s16, 0
	v_mad_u64_u32 v[8:9], s[6:7], v7, s15, 0
	v_xor_b32_e32 v1, v28, v11
	v_xor_b32_e32 v1, v1, v6
	v_xor_b32_e32 v6, v31, v9
	v_xor_b32_e32 v6, v6, v0
	;; [unrolled: 6-line block ×10, first 2 shown]
	v_mov_b32_e32 v7, v12
	v_mov_b32_e32 v8, v13
	v_cmp_lt_i32_e32 vcc, 1, v18
	s_and_saveexec_b64 s[6:7], vcc
	s_xor_b64 s[6:7], exec, s[6:7]
	s_cbranch_execnz .LBB123_18
; %bb.9:                                ;   in Loop: Header=BB123_8 Depth=1
	s_andn2_saveexec_b64 s[6:7], s[6:7]
	s_cbranch_execnz .LBB123_23
.LBB123_10:                             ;   in Loop: Header=BB123_8 Depth=1
	s_or_b64 exec, exec, s[6:7]
	v_cmp_gt_i64_e32 vcc, s[0:1], v[16:17]
	s_and_saveexec_b64 s[6:7], vcc
	s_cbranch_execz .LBB123_12
.LBB123_11:                             ;   in Loop: Header=BB123_8 Depth=1
	v_cvt_f32_u32_e32 v1, v2
	v_mov_b32_e32 v2, 0x2f800000
	v_add_u32_e32 v9, s17, v40
	v_ashrrev_i32_e32 v11, 31, v9
	v_fmac_f32_e32 v2, 0x2f800000, v1
	v_mov_b32_e32 v1, s9
	v_add_co_u32_e32 v10, vcc, s8, v9
	v_addc_co_u32_e32 v11, vcc, v1, v11, vcc
	v_cmp_lt_f32_e32 vcc, v2, v39
	v_cndmask_b32_e64 v1, 0, 1, vcc
	global_store_byte v[10:11], v1, off
.LBB123_12:                             ;   in Loop: Header=BB123_8 Depth=1
	s_or_b64 exec, exec, s[6:7]
	v_mov_b32_e32 v1, s14
	v_add_co_u32_e32 v10, vcc, s12, v16
	v_addc_co_u32_e32 v11, vcc, v1, v17, vcc
	v_cmp_gt_i64_e32 vcc, s[0:1], v[10:11]
	s_and_saveexec_b64 s[6:7], vcc
	s_cbranch_execz .LBB123_14
; %bb.13:                               ;   in Loop: Header=BB123_8 Depth=1
	v_cvt_f32_u32_e32 v1, v3
	v_mov_b32_e32 v9, 0x2f800000
	v_add_u32_e32 v2, s17, v43
	v_ashrrev_i32_e32 v3, 31, v2
	v_fmac_f32_e32 v9, 0x2f800000, v1
	v_mov_b32_e32 v1, s9
	v_add_co_u32_e32 v2, vcc, s8, v2
	v_addc_co_u32_e32 v3, vcc, v1, v3, vcc
	v_cmp_lt_f32_e32 vcc, v9, v39
	v_cndmask_b32_e64 v1, 0, 1, vcc
	global_store_byte v[2:3], v1, off
.LBB123_14:                             ;   in Loop: Header=BB123_8 Depth=1
	s_or_b64 exec, exec, s[6:7]
	v_mov_b32_e32 v1, s19
	v_add_co_u32_e32 v2, vcc, s18, v16
	v_addc_co_u32_e32 v3, vcc, v1, v17, vcc
	v_cmp_gt_i64_e32 vcc, s[0:1], v[2:3]
	s_and_saveexec_b64 s[6:7], vcc
	s_cbranch_execz .LBB123_16
; %bb.15:                               ;   in Loop: Header=BB123_8 Depth=1
	v_cvt_f32_u32_e32 v1, v4
	v_mov_b32_e32 v4, 0x2f800000
	v_add_u32_e32 v2, s17, v42
	v_ashrrev_i32_e32 v3, 31, v2
	v_fmac_f32_e32 v4, 0x2f800000, v1
	v_mov_b32_e32 v1, s9
	v_add_co_u32_e32 v2, vcc, s8, v2
	v_addc_co_u32_e32 v3, vcc, v1, v3, vcc
	v_cmp_lt_f32_e32 vcc, v4, v39
	v_cndmask_b32_e64 v1, 0, 1, vcc
	global_store_byte v[2:3], v1, off
.LBB123_16:                             ;   in Loop: Header=BB123_8 Depth=1
	s_or_b64 exec, exec, s[6:7]
	v_mov_b32_e32 v1, s21
	v_add_co_u32_e32 v2, vcc, s20, v16
	v_addc_co_u32_e32 v3, vcc, v1, v17, vcc
	v_cmp_gt_i64_e32 vcc, s[0:1], v[2:3]
	s_and_saveexec_b64 s[6:7], vcc
	s_cbranch_execz .LBB123_7
; %bb.17:                               ;   in Loop: Header=BB123_8 Depth=1
	v_cvt_f32_u32_e32 v1, v5
	v_mov_b32_e32 v4, 0x2f800000
	v_add_u32_e32 v2, s17, v41
	v_ashrrev_i32_e32 v3, 31, v2
	v_fmac_f32_e32 v4, 0x2f800000, v1
	v_mov_b32_e32 v1, s9
	v_add_co_u32_e32 v2, vcc, s8, v2
	v_addc_co_u32_e32 v3, vcc, v1, v3, vcc
	v_cmp_lt_f32_e32 vcc, v4, v39
	v_cndmask_b32_e64 v1, 0, 1, vcc
	global_store_byte v[2:3], v1, off
	s_branch .LBB123_7
.LBB123_18:                             ;   in Loop: Header=BB123_8 Depth=1
	v_cmp_lt_i32_e32 vcc, 2, v18
	s_and_saveexec_b64 s[10:11], vcc
	s_xor_b64 s[10:11], exec, s[10:11]
; %bb.19:                               ;   in Loop: Header=BB123_8 Depth=1
	v_mov_b32_e32 v10, v5
	v_mov_b32_e32 v11, v6
	v_pk_mov_b32 v[2:3], v[10:11], v[10:11] op_sel:[0,1]
	v_pk_mov_b32 v[4:5], v[12:13], v[12:13] op_sel:[0,1]
                                        ; implicit-def: $vgpr12_vgpr13
; %bb.20:                               ;   in Loop: Header=BB123_8 Depth=1
	s_andn2_saveexec_b64 s[10:11], s[10:11]
; %bb.21:                               ;   in Loop: Header=BB123_8 Depth=1
	v_mov_b32_e32 v2, v4
	v_mov_b32_e32 v3, v5
	;; [unrolled: 1-line block ×4, first 2 shown]
; %bb.22:                               ;   in Loop: Header=BB123_8 Depth=1
	s_or_b64 exec, exec, s[10:11]
	s_andn2_saveexec_b64 s[6:7], s[6:7]
	s_cbranch_execz .LBB123_10
.LBB123_23:                             ;   in Loop: Header=BB123_8 Depth=1
	v_cmp_eq_u32_e32 vcc, 1, v18
	s_and_saveexec_b64 s[10:11], vcc
; %bb.24:                               ;   in Loop: Header=BB123_8 Depth=1
	v_mov_b32_e32 v2, v3
	v_mov_b32_e32 v3, v4
	;; [unrolled: 1-line block ×4, first 2 shown]
; %bb.25:                               ;   in Loop: Header=BB123_8 Depth=1
	s_or_b64 exec, exec, s[10:11]
	s_or_b64 exec, exec, s[6:7]
	v_cmp_gt_i64_e32 vcc, s[0:1], v[16:17]
	s_and_saveexec_b64 s[6:7], vcc
	s_cbranch_execnz .LBB123_11
	s_branch .LBB123_12
.LBB123_26:
	s_endpgm
.LBB123_27:
                                        ; implicit-def: $sgpr8_sgpr9
	s_andn2_b64 vcc, exec, s[2:3]
	s_cbranch_vccz .LBB123_4
	s_branch .LBB123_5
	.section	.rodata,"a",@progbits
	.p2align	6, 0x0
	.amdhsa_kernel _ZN2at6native12_GLOBAL__N_143distribution_elementwise_grid_stride_kernelIfLi4EZNS0_9templates4cuda21uniform_and_transformIhfPNS_17CUDAGeneratorImplEZZZNS4_16bernoulli_kernelIS7_EEvRNS_18TensorIteratorBaseEdT_ENKUlvE_clEvENKUlvE_clEvEUlfE_EEvSA_T1_T2_EUlP25hiprandStatePhilox4_32_10E0_ZNS1_27distribution_nullary_kernelIhf15HIP_vector_typeIfLj4EES7_SJ_SE_EEvSA_SG_RKT3_T4_EUlifE_EEvlNS_15PhiloxCudaStateESF_SG_
		.amdhsa_group_segment_fixed_size 0
		.amdhsa_private_segment_fixed_size 0
		.amdhsa_kernarg_size 328
		.amdhsa_user_sgpr_count 6
		.amdhsa_user_sgpr_private_segment_buffer 1
		.amdhsa_user_sgpr_dispatch_ptr 0
		.amdhsa_user_sgpr_queue_ptr 0
		.amdhsa_user_sgpr_kernarg_segment_ptr 1
		.amdhsa_user_sgpr_dispatch_id 0
		.amdhsa_user_sgpr_flat_scratch_init 0
		.amdhsa_user_sgpr_kernarg_preload_length 0
		.amdhsa_user_sgpr_kernarg_preload_offset 0
		.amdhsa_user_sgpr_private_segment_size 0
		.amdhsa_uses_dynamic_stack 0
		.amdhsa_system_sgpr_private_segment_wavefront_offset 0
		.amdhsa_system_sgpr_workgroup_id_x 1
		.amdhsa_system_sgpr_workgroup_id_y 0
		.amdhsa_system_sgpr_workgroup_id_z 0
		.amdhsa_system_sgpr_workgroup_info 0
		.amdhsa_system_vgpr_workitem_id 0
		.amdhsa_next_free_vgpr 48
		.amdhsa_next_free_sgpr 24
		.amdhsa_accum_offset 48
		.amdhsa_reserve_vcc 1
		.amdhsa_reserve_flat_scratch 0
		.amdhsa_float_round_mode_32 0
		.amdhsa_float_round_mode_16_64 0
		.amdhsa_float_denorm_mode_32 3
		.amdhsa_float_denorm_mode_16_64 3
		.amdhsa_dx10_clamp 1
		.amdhsa_ieee_mode 1
		.amdhsa_fp16_overflow 0
		.amdhsa_tg_split 0
		.amdhsa_exception_fp_ieee_invalid_op 0
		.amdhsa_exception_fp_denorm_src 0
		.amdhsa_exception_fp_ieee_div_zero 0
		.amdhsa_exception_fp_ieee_overflow 0
		.amdhsa_exception_fp_ieee_underflow 0
		.amdhsa_exception_fp_ieee_inexact 0
		.amdhsa_exception_int_div_zero 0
	.end_amdhsa_kernel
	.section	.text._ZN2at6native12_GLOBAL__N_143distribution_elementwise_grid_stride_kernelIfLi4EZNS0_9templates4cuda21uniform_and_transformIhfPNS_17CUDAGeneratorImplEZZZNS4_16bernoulli_kernelIS7_EEvRNS_18TensorIteratorBaseEdT_ENKUlvE_clEvENKUlvE_clEvEUlfE_EEvSA_T1_T2_EUlP25hiprandStatePhilox4_32_10E0_ZNS1_27distribution_nullary_kernelIhf15HIP_vector_typeIfLj4EES7_SJ_SE_EEvSA_SG_RKT3_T4_EUlifE_EEvlNS_15PhiloxCudaStateESF_SG_,"axG",@progbits,_ZN2at6native12_GLOBAL__N_143distribution_elementwise_grid_stride_kernelIfLi4EZNS0_9templates4cuda21uniform_and_transformIhfPNS_17CUDAGeneratorImplEZZZNS4_16bernoulli_kernelIS7_EEvRNS_18TensorIteratorBaseEdT_ENKUlvE_clEvENKUlvE_clEvEUlfE_EEvSA_T1_T2_EUlP25hiprandStatePhilox4_32_10E0_ZNS1_27distribution_nullary_kernelIhf15HIP_vector_typeIfLj4EES7_SJ_SE_EEvSA_SG_RKT3_T4_EUlifE_EEvlNS_15PhiloxCudaStateESF_SG_,comdat
.Lfunc_end123:
	.size	_ZN2at6native12_GLOBAL__N_143distribution_elementwise_grid_stride_kernelIfLi4EZNS0_9templates4cuda21uniform_and_transformIhfPNS_17CUDAGeneratorImplEZZZNS4_16bernoulli_kernelIS7_EEvRNS_18TensorIteratorBaseEdT_ENKUlvE_clEvENKUlvE_clEvEUlfE_EEvSA_T1_T2_EUlP25hiprandStatePhilox4_32_10E0_ZNS1_27distribution_nullary_kernelIhf15HIP_vector_typeIfLj4EES7_SJ_SE_EEvSA_SG_RKT3_T4_EUlifE_EEvlNS_15PhiloxCudaStateESF_SG_, .Lfunc_end123-_ZN2at6native12_GLOBAL__N_143distribution_elementwise_grid_stride_kernelIfLi4EZNS0_9templates4cuda21uniform_and_transformIhfPNS_17CUDAGeneratorImplEZZZNS4_16bernoulli_kernelIS7_EEvRNS_18TensorIteratorBaseEdT_ENKUlvE_clEvENKUlvE_clEvEUlfE_EEvSA_T1_T2_EUlP25hiprandStatePhilox4_32_10E0_ZNS1_27distribution_nullary_kernelIhf15HIP_vector_typeIfLj4EES7_SJ_SE_EEvSA_SG_RKT3_T4_EUlifE_EEvlNS_15PhiloxCudaStateESF_SG_
                                        ; -- End function
	.section	.AMDGPU.csdata,"",@progbits
; Kernel info:
; codeLenInByte = 2476
; NumSgprs: 28
; NumVgprs: 48
; NumAgprs: 0
; TotalNumVgprs: 48
; ScratchSize: 0
; MemoryBound: 0
; FloatMode: 240
; IeeeMode: 1
; LDSByteSize: 0 bytes/workgroup (compile time only)
; SGPRBlocks: 3
; VGPRBlocks: 5
; NumSGPRsForWavesPerEU: 28
; NumVGPRsForWavesPerEU: 48
; AccumOffset: 48
; Occupancy: 8
; WaveLimiterHint : 0
; COMPUTE_PGM_RSRC2:SCRATCH_EN: 0
; COMPUTE_PGM_RSRC2:USER_SGPR: 6
; COMPUTE_PGM_RSRC2:TRAP_HANDLER: 0
; COMPUTE_PGM_RSRC2:TGID_X_EN: 1
; COMPUTE_PGM_RSRC2:TGID_Y_EN: 0
; COMPUTE_PGM_RSRC2:TGID_Z_EN: 0
; COMPUTE_PGM_RSRC2:TIDIG_COMP_CNT: 0
; COMPUTE_PGM_RSRC3_GFX90A:ACCUM_OFFSET: 11
; COMPUTE_PGM_RSRC3_GFX90A:TG_SPLIT: 0
	.section	.text._ZN2at6native12_GLOBAL__N_143distribution_elementwise_grid_stride_kernelIfLi4EZNS0_9templates4cuda21uniform_and_transformIhfPNS_17CUDAGeneratorImplEZZZNS4_16bernoulli_kernelIS7_EEvRNS_18TensorIteratorBaseEdT_ENKUlvE_clEvENKUlvE_clEvEUlfE_EEvSA_T1_T2_EUlP25hiprandStatePhilox4_32_10E0_ZNS1_27distribution_nullary_kernelIhf15HIP_vector_typeIfLj4EES7_SJ_SE_EEvSA_SG_RKT3_T4_EUlifE0_EEvlNS_15PhiloxCudaStateESF_SG_,"axG",@progbits,_ZN2at6native12_GLOBAL__N_143distribution_elementwise_grid_stride_kernelIfLi4EZNS0_9templates4cuda21uniform_and_transformIhfPNS_17CUDAGeneratorImplEZZZNS4_16bernoulli_kernelIS7_EEvRNS_18TensorIteratorBaseEdT_ENKUlvE_clEvENKUlvE_clEvEUlfE_EEvSA_T1_T2_EUlP25hiprandStatePhilox4_32_10E0_ZNS1_27distribution_nullary_kernelIhf15HIP_vector_typeIfLj4EES7_SJ_SE_EEvSA_SG_RKT3_T4_EUlifE0_EEvlNS_15PhiloxCudaStateESF_SG_,comdat
	.globl	_ZN2at6native12_GLOBAL__N_143distribution_elementwise_grid_stride_kernelIfLi4EZNS0_9templates4cuda21uniform_and_transformIhfPNS_17CUDAGeneratorImplEZZZNS4_16bernoulli_kernelIS7_EEvRNS_18TensorIteratorBaseEdT_ENKUlvE_clEvENKUlvE_clEvEUlfE_EEvSA_T1_T2_EUlP25hiprandStatePhilox4_32_10E0_ZNS1_27distribution_nullary_kernelIhf15HIP_vector_typeIfLj4EES7_SJ_SE_EEvSA_SG_RKT3_T4_EUlifE0_EEvlNS_15PhiloxCudaStateESF_SG_ ; -- Begin function _ZN2at6native12_GLOBAL__N_143distribution_elementwise_grid_stride_kernelIfLi4EZNS0_9templates4cuda21uniform_and_transformIhfPNS_17CUDAGeneratorImplEZZZNS4_16bernoulli_kernelIS7_EEvRNS_18TensorIteratorBaseEdT_ENKUlvE_clEvENKUlvE_clEvEUlfE_EEvSA_T1_T2_EUlP25hiprandStatePhilox4_32_10E0_ZNS1_27distribution_nullary_kernelIhf15HIP_vector_typeIfLj4EES7_SJ_SE_EEvSA_SG_RKT3_T4_EUlifE0_EEvlNS_15PhiloxCudaStateESF_SG_
	.p2align	8
	.type	_ZN2at6native12_GLOBAL__N_143distribution_elementwise_grid_stride_kernelIfLi4EZNS0_9templates4cuda21uniform_and_transformIhfPNS_17CUDAGeneratorImplEZZZNS4_16bernoulli_kernelIS7_EEvRNS_18TensorIteratorBaseEdT_ENKUlvE_clEvENKUlvE_clEvEUlfE_EEvSA_T1_T2_EUlP25hiprandStatePhilox4_32_10E0_ZNS1_27distribution_nullary_kernelIhf15HIP_vector_typeIfLj4EES7_SJ_SE_EEvSA_SG_RKT3_T4_EUlifE0_EEvlNS_15PhiloxCudaStateESF_SG_,@function
_ZN2at6native12_GLOBAL__N_143distribution_elementwise_grid_stride_kernelIfLi4EZNS0_9templates4cuda21uniform_and_transformIhfPNS_17CUDAGeneratorImplEZZZNS4_16bernoulli_kernelIS7_EEvRNS_18TensorIteratorBaseEdT_ENKUlvE_clEvENKUlvE_clEvEUlfE_EEvSA_T1_T2_EUlP25hiprandStatePhilox4_32_10E0_ZNS1_27distribution_nullary_kernelIhf15HIP_vector_typeIfLj4EES7_SJ_SE_EEvSA_SG_RKT3_T4_EUlifE0_EEvlNS_15PhiloxCudaStateESF_SG_: ; @_ZN2at6native12_GLOBAL__N_143distribution_elementwise_grid_stride_kernelIfLi4EZNS0_9templates4cuda21uniform_and_transformIhfPNS_17CUDAGeneratorImplEZZZNS4_16bernoulli_kernelIS7_EEvRNS_18TensorIteratorBaseEdT_ENKUlvE_clEvENKUlvE_clEvEUlfE_EEvSA_T1_T2_EUlP25hiprandStatePhilox4_32_10E0_ZNS1_27distribution_nullary_kernelIhf15HIP_vector_typeIfLj4EES7_SJ_SE_EEvSA_SG_RKT3_T4_EUlifE0_EEvlNS_15PhiloxCudaStateESF_SG_
; %bb.0:
	s_load_dword s2, s[4:5], 0x20
	s_load_dwordx2 s[0:1], s[4:5], 0x10
	s_load_dwordx4 s[24:27], s[4:5], 0x0
	s_waitcnt lgkmcnt(0)
	s_bitcmp0_b32 s2, 0
	s_mov_b32 s2, 0
	v_pk_mov_b32 v[2:3], s[0:1], s[0:1] op_sel:[0,1]
	v_pk_mov_b32 v[12:13], s[26:27], s[26:27] op_sel:[0,1]
	s_cbranch_scc1 .LBB124_2
; %bb.1:
	v_pk_mov_b32 v[2:3], s[0:1], s[0:1] op_sel:[0,1]
	flat_load_dwordx2 v[2:3], v[2:3]
	v_pk_mov_b32 v[4:5], s[26:27], s[26:27] op_sel:[0,1]
	flat_load_dwordx2 v[12:13], v[4:5]
	s_load_dwordx2 s[0:1], s[4:5], 0x18
	s_waitcnt lgkmcnt(0)
	v_mov_b32_e32 v1, s1
	s_waitcnt vmcnt(0)
	v_add_co_u32_e32 v2, vcc, s0, v2
	v_addc_co_u32_e32 v3, vcc, v3, v1, vcc
.LBB124_2:
	s_load_dword s0, s[4:5], 0x154
	s_load_dword s7, s[4:5], 0x148
	s_waitcnt lgkmcnt(0)
	s_and_b32 s8, s0, 0xffff
	s_add_u32 s9, s24, -1
	s_mul_i32 s33, s7, s8
	s_addc_u32 s3, s25, -1
	s_lshl_b32 s58, s33, 2
	s_cmp_lg_u64 s[2:3], 0
	s_mov_b64 s[0:1], -1
	s_cbranch_scc0 .LBB124_83
; %bb.3:
	v_cvt_f32_u32_e32 v1, s58
	v_cvt_f32_ubyte0_e32 v4, 0
	s_sub_u32 s2, 0, s58
	s_subb_u32 s10, 0, 0
	v_madmk_f32 v1, v4, 0x4f800000, v1
	v_rcp_f32_e32 v1, v1
	v_mul_f32_e32 v1, 0x5f7ffffc, v1
	v_mul_f32_e32 v4, 0x2f800000, v1
	v_trunc_f32_e32 v4, v4
	v_madmk_f32 v1, v4, 0xcf800000, v1
	v_cvt_u32_f32_e32 v4, v4
	v_cvt_u32_f32_e32 v1, v1
	v_readfirstlane_b32 s11, v4
	v_readfirstlane_b32 s12, v1
	s_mul_i32 s13, s2, s11
	s_mul_hi_u32 s15, s2, s12
	s_mul_i32 s14, s10, s12
	s_add_i32 s13, s15, s13
	s_add_i32 s13, s13, s14
	s_mul_i32 s16, s2, s12
	s_mul_hi_u32 s14, s12, s13
	s_mul_i32 s15, s12, s13
	s_mul_hi_u32 s12, s12, s16
	s_add_u32 s12, s12, s15
	s_addc_u32 s14, 0, s14
	s_mul_hi_u32 s17, s11, s16
	s_mul_i32 s16, s11, s16
	s_add_u32 s12, s12, s16
	s_mul_hi_u32 s15, s11, s13
	s_addc_u32 s12, s14, s17
	s_addc_u32 s14, s15, 0
	s_mul_i32 s13, s11, s13
	s_add_u32 s12, s12, s13
	s_addc_u32 s13, 0, s14
	v_add_co_u32_e32 v1, vcc, s12, v1
	s_cmp_lg_u64 vcc, 0
	s_addc_u32 s11, s11, s13
	v_readfirstlane_b32 s13, v1
	s_mul_i32 s12, s2, s11
	s_mul_hi_u32 s14, s2, s13
	s_add_i32 s12, s14, s12
	s_mul_i32 s10, s10, s13
	s_add_i32 s12, s12, s10
	s_mul_i32 s2, s2, s13
	s_mul_hi_u32 s14, s11, s2
	s_mul_i32 s15, s11, s2
	s_mul_i32 s17, s13, s12
	s_mul_hi_u32 s2, s13, s2
	s_mul_hi_u32 s16, s13, s12
	s_add_u32 s2, s2, s17
	s_addc_u32 s13, 0, s16
	s_add_u32 s2, s2, s15
	s_mul_hi_u32 s10, s11, s12
	s_addc_u32 s2, s13, s14
	s_addc_u32 s10, s10, 0
	s_mul_i32 s12, s11, s12
	s_add_u32 s2, s2, s12
	s_addc_u32 s10, 0, s10
	v_add_co_u32_e32 v1, vcc, s2, v1
	s_cmp_lg_u64 vcc, 0
	s_addc_u32 s12, s11, s10
	s_ashr_i32 s10, s3, 31
	s_add_u32 s2, s9, s10
	s_mov_b32 s11, s10
	s_addc_u32 s3, s3, s10
	s_xor_b64 s[2:3], s[2:3], s[10:11]
	v_readfirstlane_b32 s15, v1
	s_mul_i32 s14, s2, s12
	s_mul_hi_u32 s16, s2, s15
	s_mul_hi_u32 s13, s2, s12
	s_add_u32 s14, s16, s14
	s_addc_u32 s13, 0, s13
	s_mul_hi_u32 s17, s3, s15
	s_mul_i32 s15, s3, s15
	s_add_u32 s14, s14, s15
	s_mul_hi_u32 s16, s3, s12
	s_addc_u32 s13, s13, s17
	s_addc_u32 s14, s16, 0
	s_mul_i32 s12, s3, s12
	s_add_u32 s12, s13, s12
	s_addc_u32 s13, 0, s14
	s_add_u32 s14, s12, 1
	s_addc_u32 s15, s13, 0
	s_add_u32 s16, s12, 2
	s_mul_i32 s18, s58, s13
	s_mul_hi_u32 s19, s58, s12
	s_addc_u32 s17, s13, 0
	s_add_i32 s19, s19, s18
	s_mul_i32 s18, s58, s12
	v_mov_b32_e32 v1, s18
	v_sub_co_u32_e32 v1, vcc, s2, v1
	s_cmp_lg_u64 vcc, 0
	s_subb_u32 s2, s3, s19
	v_subrev_co_u32_e32 v4, vcc, s58, v1
	s_cmp_lg_u64 vcc, 0
	s_subb_u32 s3, s2, 0
	v_readfirstlane_b32 s18, v4
	s_cmp_ge_u32 s18, s58
	s_cselect_b32 s18, -1, 0
	s_cmp_eq_u32 s3, 0
	s_cselect_b32 s3, s18, -1
	s_cmp_lg_u32 s3, 0
	s_cselect_b32 s3, s17, s15
	v_readfirstlane_b32 s15, v1
	s_cselect_b32 s14, s16, s14
	s_cmp_ge_u32 s15, s58
	s_cselect_b32 s15, -1, 0
	s_cmp_eq_u32 s2, 0
	s_cselect_b32 s2, s15, -1
	s_cmp_lg_u32 s2, 0
	s_cselect_b32 s3, s3, s13
	s_cselect_b32 s2, s14, s12
	s_xor_b64 s[2:3], s[2:3], s[10:11]
	s_sub_u32 s2, s2, s10
	s_subb_u32 s3, s3, s10
	s_cbranch_execnz .LBB124_5
.LBB124_4:
	v_cvt_f32_u32_e32 v1, s58
	s_sub_i32 s0, 0, s58
	s_mov_b32 s3, 0
	v_rcp_iflag_f32_e32 v1, v1
	v_mul_f32_e32 v1, 0x4f7ffffe, v1
	v_cvt_u32_f32_e32 v1, v1
	v_readfirstlane_b32 s1, v1
	s_mul_i32 s0, s0, s1
	s_mul_hi_u32 s0, s1, s0
	s_add_i32 s1, s1, s0
	s_mul_hi_u32 s0, s9, s1
	s_mul_i32 s2, s0, s58
	s_sub_i32 s2, s9, s2
	s_add_i32 s1, s0, 1
	s_sub_i32 s9, s2, s58
	s_cmp_ge_u32 s2, s58
	s_cselect_b32 s0, s1, s0
	s_cselect_b32 s2, s9, s2
	s_add_i32 s1, s0, 1
	s_cmp_ge_u32 s2, s58
	s_cselect_b32 s2, s1, s0
.LBB124_5:
	v_mov_b32_e32 v1, 0
	v_mov_b32_e32 v4, s6
	v_mad_u64_u32 v[14:15], s[0:1], s8, v4, v[0:1]
	s_add_u32 s0, s2, 1
	s_addc_u32 s1, s3, 0
	s_mul_hi_u32 s2, s7, s8
	s_mul_i32 s1, s33, s1
	s_mul_hi_u32 s3, s33, s0
	s_add_i32 s1, s3, s1
	s_mul_i32 s2, s2, s0
	s_add_i32 s1, s1, s2
	s_mul_i32 s0, s33, s0
	s_lshl_b64 s[26:27], s[0:1], 2
	v_cmp_gt_i64_e32 vcc, s[26:27], v[14:15]
	s_and_saveexec_b64 s[0:1], vcc
	s_cbranch_execz .LBB124_82
; %bb.6:
	s_mov_b32 s0, 0x5384540f
	v_mov_b32_e32 v0, v13
	v_add_co_u32_e32 v22, vcc, s0, v12
	s_mov_b32 s0, 0x646e171e
	v_add_co_u32_e32 v23, vcc, s0, v0
	s_mov_b32 s0, 0x1715609d
	;; [unrolled: 2-line block ×6, first 2 shown]
	v_alignbit_b32 v29, v3, v2, 2
	s_mov_b32 s60, 0xd2511f53
	v_add_co_u32_e32 v28, vcc, s0, v12
	v_mad_u64_u32 v[4:5], s[0:1], v29, s60, 0
	v_xor_b32_e32 v1, v5, v13
	v_xor_b32_e32 v1, v1, v15
	s_mov_b32 s61, 0xcd9e8d57
	v_mad_u64_u32 v[6:7], s[0:1], v1, s61, 0
	v_xor_b32_e32 v1, v28, v7
	v_mad_u64_u32 v[8:9], s[0:1], v14, s61, 0
	v_and_b32_e32 v18, 3, v2
	v_xor_b32_e32 v1, v1, v8
	v_xor_b32_e32 v2, v12, v9
	v_lshrrev_b32_e32 v30, 2, v3
	v_mad_u64_u32 v[10:11], s[0:1], v1, s60, 0
	v_xor_b32_e32 v2, v2, v30
	v_xor_b32_e32 v1, v27, v11
	v_mad_u64_u32 v[2:3], s[0:1], v2, s60, 0
	v_xor_b32_e32 v1, v1, v2
	v_mad_u64_u32 v[8:9], s[0:1], v1, s61, 0
	s_mov_b32 s0, 0xbb67ae85
	v_add_co_u32_e32 v31, vcc, s0, v0
	v_xor_b32_e32 v2, v31, v3
	v_xor_b32_e32 v2, v2, v4
	v_xor_b32_e32 v1, v26, v9
	v_mad_u64_u32 v[2:3], s[0:1], v2, s61, 0
	v_xor_b32_e32 v1, v1, v2
	v_mad_u64_u32 v[4:5], s[0:1], v1, s60, 0
	s_mov_b32 s0, 0x3c6ef372
	v_add_co_u32_e32 v32, vcc, s0, v12
	v_xor_b32_e32 v2, v32, v3
	;; [unrolled: 8-line block ×6, first 2 shown]
	v_add_co_u32_e32 v21, vcc, 0xdb3d7428, v0
	v_xor_b32_e32 v2, v2, v6
	v_xor_b32_e32 v1, v21, v5
	v_mad_u64_u32 v[2:3], s[0:1], v2, s60, 0
	v_xor_b32_e32 v1, v1, v2
	v_mad_u64_u32 v[6:7], s[0:1], v1, s61, 0
	s_mov_b32 s0, 0x1fd5c5a3
	v_add_co_u32_e32 v37, vcc, s0, v0
	v_xor_b32_e32 v0, v37, v3
	v_xor_b32_e32 v0, v0, v10
	v_mad_u64_u32 v[0:1], s[0:1], v0, s61, 0
	s_mov_b32 s0, 0xf1bbcdc8
	s_load_dwordx8 s[8:15], s[4:5], 0x30
	v_add_co_u32_e32 v38, vcc, s0, v12
	v_xor_b32_e32 v1, v38, v1
	v_xor_b32_e32 v1, v1, v8
	s_add_u32 s34, s4, 48
	v_mad_u64_u32 v[8:9], s[0:1], v1, s60, 0
	s_addc_u32 s35, s5, 0
	s_waitcnt lgkmcnt(0)
	s_add_i32 s0, s8, -1
	s_cmp_gt_u32 s0, 1
	s_cselect_b64 s[40:41], -1, 0
	s_cmp_lg_u32 s8, 0
	s_cselect_b64 s[42:43], -1, 0
	s_add_u32 s44, s4, 0xf4
	s_addc_u32 s45, s5, 0
	s_load_dwordx2 s[46:47], s[4:5], 0xf4
	s_load_dwordx4 s[28:31], s[4:5], 0x138
	s_min_u32 s1, s0, 15
	s_cmp_gt_u32 s8, 1
	s_cselect_b64 s[48:49], -1, 0
	s_add_i32 s1, s1, 1
	s_mov_b32 s8, s13
	s_lshl_b32 s13, s33, 1
	s_and_b32 s64, s1, 3
	s_cmp_lg_u32 s0, 2
	s_waitcnt lgkmcnt(0)
	v_cvt_f32_f64_e32 v39, s[30:31]
	s_cselect_b64 s[30:31], -1, 0
	s_and_b32 s65, s1, 28
	s_mov_b32 s59, 0
	v_add_u32_e32 v19, 0x8ff34781, v12
	v_add_u32_e32 v20, 0x96a522ad, v13
	v_xor_b32_e32 v0, v7, v0
	v_xor_b32_e32 v1, v9, v4
	s_cmp_lg_u32 s64, 0
	v_xor_b32_e32 v0, v19, v0
	v_xor_b32_e32 v2, v20, v1
	v_mov_b32_e32 v1, v6
	v_mov_b32_e32 v3, v8
	s_mov_b32 s15, s59
	s_mul_i32 s62, s33, 3
	s_mov_b32 s63, s59
	s_mov_b64 s[50:51], 0
	s_cselect_b64 s[52:53], -1, 0
	v_mov_b32_e32 v40, v14
	v_mov_b32_e32 v41, v15
	s_branch .LBB124_9
.LBB124_7:                              ;   in Loop: Header=BB124_9 Depth=1
	v_cvt_f32_u32_e32 v0, v3
	v_mov_b32_e32 v1, 0x2f800000
	v_fmac_f32_e32 v1, 0x2f800000, v0
	v_cmp_lt_f32_e32 vcc, v1, v39
	v_cndmask_b32_e64 v0, 0, 1, vcc
	global_store_byte v8, v0, s[28:29]
.LBB124_8:                              ;   in Loop: Header=BB124_9 Depth=1
	s_or_b64 exec, exec, s[36:37]
	v_add_co_u32_e32 v14, vcc, s58, v14
	v_addc_co_u32_e32 v15, vcc, 0, v15, vcc
	v_mov_b32_e32 v7, v16
	v_cmp_le_i64_e32 vcc, s[26:27], v[14:15]
	v_pk_mov_b32 v[0:1], v[4:5], v[4:5] op_sel:[0,1]
	s_or_b64 s[50:51], vcc, s[50:51]
	v_pk_mov_b32 v[2:3], v[6:7], v[6:7] op_sel:[0,1]
	s_barrier
	s_andn2_b64 exec, exec, s[50:51]
	s_cbranch_execz .LBB124_82
.LBB124_9:                              ; =>This Loop Header: Depth=1
                                        ;     Child Loop BB124_24 Depth 2
                                        ;     Child Loop BB124_30 Depth 2
	;; [unrolled: 1-line block ×8, first 2 shown]
	v_add_co_u32_e32 v29, vcc, 1, v29
	v_cndmask_b32_e64 v4, 0, 1, vcc
	v_addc_co_u32_e32 v30, vcc, 0, v30, vcc
	v_cmp_eq_u32_e32 vcc, 0, v30
	v_cndmask_b32_e32 v4, 0, v4, vcc
	v_add_u32_e32 v40, v4, v40
	v_cmp_eq_u32_e32 vcc, 0, v40
	v_cndmask_b32_e32 v4, 0, v4, vcc
	v_add_u32_e32 v41, v4, v41
	v_mad_u64_u32 v[4:5], s[0:1], v29, s60, 0
	v_mad_u64_u32 v[6:7], s[0:1], v40, s61, 0
	v_xor_b32_e32 v5, v5, v13
	v_xor_b32_e32 v7, v7, v12
	v_xor_b32_e32 v5, v41, v5
	v_xor_b32_e32 v7, v30, v7
	v_mad_u64_u32 v[10:11], s[0:1], v5, s61, 0
	v_mad_u64_u32 v[8:9], s[0:1], v7, s60, 0
	v_xor_b32_e32 v5, v28, v11
	v_xor_b32_e32 v5, v5, v6
	v_xor_b32_e32 v6, v31, v9
	v_xor_b32_e32 v6, v6, v4
	;; [unrolled: 6-line block ×10, first 2 shown]
	v_mov_b32_e32 v5, v10
	v_mov_b32_e32 v6, v11
	v_cmp_lt_i32_e32 vcc, 1, v18
	s_and_saveexec_b64 s[0:1], vcc
	s_xor_b64 s[0:1], exec, s[0:1]
	s_cbranch_execz .LBB124_15
; %bb.10:                               ;   in Loop: Header=BB124_9 Depth=1
	v_cmp_lt_i32_e32 vcc, 2, v18
	s_and_saveexec_b64 s[2:3], vcc
	s_xor_b64 s[2:3], exec, s[2:3]
; %bb.11:                               ;   in Loop: Header=BB124_9 Depth=1
	v_mov_b32_e32 v8, v3
	v_mov_b32_e32 v9, v4
	v_pk_mov_b32 v[0:1], v[8:9], v[8:9] op_sel:[0,1]
	v_pk_mov_b32 v[2:3], v[10:11], v[10:11] op_sel:[0,1]
                                        ; implicit-def: $vgpr10_vgpr11
; %bb.12:                               ;   in Loop: Header=BB124_9 Depth=1
	s_andn2_saveexec_b64 s[2:3], s[2:3]
; %bb.13:                               ;   in Loop: Header=BB124_9 Depth=1
	v_mov_b32_e32 v0, v2
	v_mov_b32_e32 v1, v3
	;; [unrolled: 1-line block ×4, first 2 shown]
; %bb.14:                               ;   in Loop: Header=BB124_9 Depth=1
	s_or_b64 exec, exec, s[2:3]
.LBB124_15:                             ;   in Loop: Header=BB124_9 Depth=1
	s_andn2_saveexec_b64 s[0:1], s[0:1]
	s_cbranch_execz .LBB124_19
; %bb.16:                               ;   in Loop: Header=BB124_9 Depth=1
	v_cmp_eq_u32_e32 vcc, 1, v18
	s_and_saveexec_b64 s[2:3], vcc
; %bb.17:                               ;   in Loop: Header=BB124_9 Depth=1
	v_mov_b32_e32 v0, v1
	v_mov_b32_e32 v1, v2
	;; [unrolled: 1-line block ×4, first 2 shown]
; %bb.18:                               ;   in Loop: Header=BB124_9 Depth=1
	s_or_b64 exec, exec, s[2:3]
.LBB124_19:                             ;   in Loop: Header=BB124_9 Depth=1
	s_or_b64 exec, exec, s[0:1]
	v_cndmask_b32_e64 v7, 0, 1, s[40:41]
	v_cmp_gt_i64_e32 vcc, s[24:25], v[14:15]
	v_cmp_ne_u32_e64 s[0:1], 1, v7
	s_and_saveexec_b64 s[2:3], vcc
	s_cbranch_execz .LBB124_35
; %bb.20:                               ;   in Loop: Header=BB124_9 Depth=1
	s_and_b64 vcc, exec, s[0:1]
	s_cbranch_vccnz .LBB124_26
; %bb.21:                               ;   in Loop: Header=BB124_9 Depth=1
	s_andn2_b64 vcc, exec, s[42:43]
	s_cbranch_vccnz .LBB124_27
; %bb.22:                               ;   in Loop: Header=BB124_9 Depth=1
	s_mov_b32 s6, 0
	s_andn2_b64 vcc, exec, s[30:31]
	v_mov_b32_e32 v8, 0
	s_cbranch_vccnz .LBB124_28
; %bb.23:                               ;   in Loop: Header=BB124_9 Depth=1
	s_mov_b32 s66, 0
	v_mov_b32_e32 v8, 0
	s_mov_b64 s[54:55], s[34:35]
	s_mov_b64 s[56:57], s[44:45]
	v_mov_b32_e32 v7, v14
.LBB124_24:                             ;   Parent Loop BB124_9 Depth=1
                                        ; =>  This Inner Loop Header: Depth=2
	s_load_dwordx8 s[16:23], s[54:55], 0x4
	s_load_dwordx4 s[4:7], s[54:55], 0x24
	s_load_dwordx4 s[36:39], s[56:57], 0x0
	s_add_u32 s54, s54, 48
	s_addc_u32 s55, s55, 0
	s_waitcnt lgkmcnt(0)
	v_mul_hi_u32 v9, s17, v7
	v_add_u32_e32 v9, v7, v9
	v_lshrrev_b32_e32 v9, s18, v9
	v_mul_lo_u32 v10, v9, s16
	v_mul_hi_u32 v11, s20, v9
	v_sub_u32_e32 v7, v7, v10
	v_add_u32_e32 v10, v9, v11
	v_lshrrev_b32_e32 v10, s21, v10
	v_mul_lo_u32 v11, v10, s19
	v_mul_hi_u32 v17, s23, v10
	v_sub_u32_e32 v9, v9, v11
	v_add_u32_e32 v11, v10, v17
	v_mul_lo_u32 v7, v7, s36
	v_mul_lo_u32 v9, v9, s37
	v_lshrrev_b32_e32 v11, s4, v11
	v_add3_u32 v8, v7, v8, v9
	v_mul_lo_u32 v7, v11, s22
	v_mul_hi_u32 v9, s6, v11
	v_sub_u32_e32 v7, v10, v7
	v_add_u32_e32 v9, v11, v9
	v_mul_lo_u32 v10, v7, s38
	v_lshrrev_b32_e32 v7, s7, v9
	s_add_i32 s66, s66, 4
	v_mul_lo_u32 v9, v7, s5
	s_add_u32 s56, s56, 16
	v_sub_u32_e32 v9, v11, v9
	s_addc_u32 s57, s57, 0
	v_mul_lo_u32 v9, v9, s39
	s_cmp_lg_u32 s65, s66
	v_add3_u32 v8, v10, v8, v9
	s_cbranch_scc1 .LBB124_24
; %bb.25:                               ;   in Loop: Header=BB124_9 Depth=1
	s_mov_b32 s6, s65
	s_andn2_b64 vcc, exec, s[52:53]
	s_cbranch_vccz .LBB124_29
	s_branch .LBB124_31
.LBB124_26:                             ;   in Loop: Header=BB124_9 Depth=1
                                        ; implicit-def: $vgpr8
	s_branch .LBB124_32
.LBB124_27:                             ;   in Loop: Header=BB124_9 Depth=1
	v_mov_b32_e32 v8, 0
	s_branch .LBB124_31
.LBB124_28:                             ;   in Loop: Header=BB124_9 Depth=1
	v_mov_b32_e32 v7, v14
	s_andn2_b64 vcc, exec, s[52:53]
	s_cbranch_vccnz .LBB124_31
.LBB124_29:                             ;   in Loop: Header=BB124_9 Depth=1
	s_lshl_b32 s4, s6, 2
	s_add_u32 s4, s44, s4
	s_addc_u32 s5, s45, 0
	s_mul_i32 s6, s6, 12
	s_add_u32 s6, s34, s6
	s_addc_u32 s7, s35, 0
	s_mov_b32 s16, s64
.LBB124_30:                             ;   Parent Loop BB124_9 Depth=1
                                        ; =>  This Inner Loop Header: Depth=2
	s_load_dwordx2 s[18:19], s[6:7], 0x4
	s_load_dword s17, s[6:7], 0xc
	s_load_dword s20, s[4:5], 0x0
	s_add_u32 s6, s6, 12
	s_addc_u32 s7, s7, 0
	s_waitcnt lgkmcnt(0)
	v_mul_hi_u32 v9, s19, v7
	v_add_u32_e32 v9, v7, v9
	v_lshrrev_b32_e32 v9, s17, v9
	s_add_u32 s4, s4, 4
	v_mul_lo_u32 v10, v9, s18
	s_addc_u32 s5, s5, 0
	s_add_i32 s16, s16, -1
	v_sub_u32_e32 v10, v7, v10
	s_cmp_lg_u32 s16, 0
	v_mov_b32_e32 v7, v9
	v_mad_u64_u32 v[8:9], s[18:19], v10, s20, v[8:9]
	s_cbranch_scc1 .LBB124_30
.LBB124_31:                             ;   in Loop: Header=BB124_9 Depth=1
	s_cbranch_execnz .LBB124_34
.LBB124_32:                             ;   in Loop: Header=BB124_9 Depth=1
	v_mul_hi_u32 v7, v14, s10
	v_add_u32_e32 v7, v7, v14
	v_lshrrev_b32_e32 v7, s11, v7
	v_mul_lo_u32 v8, v7, s9
	v_sub_u32_e32 v8, v14, v8
	s_andn2_b64 vcc, exec, s[48:49]
	v_mul_lo_u32 v8, v8, s46
	s_cbranch_vccnz .LBB124_34
; %bb.33:                               ;   in Loop: Header=BB124_9 Depth=1
	v_mul_hi_u32 v9, s8, v7
	v_add_u32_e32 v9, v7, v9
	v_lshrrev_b32_e32 v9, s14, v9
	v_mul_lo_u32 v9, v9, s12
	v_sub_u32_e32 v7, v7, v9
	v_mad_u64_u32 v[8:9], s[4:5], v7, s47, v[8:9]
.LBB124_34:                             ;   in Loop: Header=BB124_9 Depth=1
	v_cvt_f32_u32_e32 v0, v0
	v_mov_b32_e32 v7, 0x2f800000
	v_fmac_f32_e32 v7, 0x2f800000, v0
	v_cmp_lt_f32_e32 vcc, v7, v39
	v_cndmask_b32_e64 v0, 0, 1, vcc
	global_store_byte v8, v0, s[28:29]
.LBB124_35:                             ;   in Loop: Header=BB124_9 Depth=1
	s_or_b64 exec, exec, s[2:3]
	v_mov_b32_e32 v0, s59
	v_add_co_u32_e32 v8, vcc, s33, v14
	v_addc_co_u32_e32 v9, vcc, v15, v0, vcc
	v_cmp_gt_i64_e32 vcc, s[24:25], v[8:9]
	s_and_saveexec_b64 s[2:3], vcc
	s_cbranch_execz .LBB124_51
; %bb.36:                               ;   in Loop: Header=BB124_9 Depth=1
	s_and_b64 vcc, exec, s[0:1]
	s_cbranch_vccnz .LBB124_42
; %bb.37:                               ;   in Loop: Header=BB124_9 Depth=1
	s_andn2_b64 vcc, exec, s[42:43]
	s_cbranch_vccnz .LBB124_43
; %bb.38:                               ;   in Loop: Header=BB124_9 Depth=1
	s_mov_b32 s6, 0
	s_andn2_b64 vcc, exec, s[30:31]
	v_mov_b32_e32 v10, 0
	s_cbranch_vccnz .LBB124_44
; %bb.39:                               ;   in Loop: Header=BB124_9 Depth=1
	s_mov_b32 s66, 0
	v_mov_b32_e32 v10, 0
	s_mov_b64 s[54:55], s[34:35]
	s_mov_b64 s[56:57], s[44:45]
	v_mov_b32_e32 v0, v8
.LBB124_40:                             ;   Parent Loop BB124_9 Depth=1
                                        ; =>  This Inner Loop Header: Depth=2
	s_load_dwordx8 s[16:23], s[54:55], 0x4
	s_load_dwordx4 s[4:7], s[54:55], 0x24
	s_load_dwordx4 s[36:39], s[56:57], 0x0
	s_add_u32 s54, s54, 48
	s_addc_u32 s55, s55, 0
	s_waitcnt lgkmcnt(0)
	v_mul_hi_u32 v7, s17, v0
	v_add_u32_e32 v7, v0, v7
	v_lshrrev_b32_e32 v7, s18, v7
	v_mul_lo_u32 v9, v7, s16
	v_mul_hi_u32 v11, s20, v7
	v_sub_u32_e32 v0, v0, v9
	v_add_u32_e32 v9, v7, v11
	v_lshrrev_b32_e32 v9, s21, v9
	v_mul_lo_u32 v11, v9, s19
	v_mul_hi_u32 v17, s23, v9
	v_sub_u32_e32 v7, v7, v11
	v_add_u32_e32 v11, v9, v17
	v_mul_lo_u32 v0, v0, s36
	v_mul_lo_u32 v7, v7, s37
	v_lshrrev_b32_e32 v11, s4, v11
	v_add3_u32 v7, v0, v10, v7
	v_mul_lo_u32 v0, v11, s22
	v_mul_hi_u32 v10, s6, v11
	v_sub_u32_e32 v0, v9, v0
	v_add_u32_e32 v9, v11, v10
	v_mul_lo_u32 v10, v0, s38
	v_lshrrev_b32_e32 v0, s7, v9
	s_add_i32 s66, s66, 4
	v_mul_lo_u32 v9, v0, s5
	s_add_u32 s56, s56, 16
	v_sub_u32_e32 v9, v11, v9
	s_addc_u32 s57, s57, 0
	v_mul_lo_u32 v9, v9, s39
	s_cmp_eq_u32 s65, s66
	v_add3_u32 v10, v10, v7, v9
	s_cbranch_scc0 .LBB124_40
; %bb.41:                               ;   in Loop: Header=BB124_9 Depth=1
	s_mov_b32 s6, s65
	s_andn2_b64 vcc, exec, s[52:53]
	s_cbranch_vccz .LBB124_45
	s_branch .LBB124_47
.LBB124_42:                             ;   in Loop: Header=BB124_9 Depth=1
                                        ; implicit-def: $vgpr10
	s_branch .LBB124_48
.LBB124_43:                             ;   in Loop: Header=BB124_9 Depth=1
	v_mov_b32_e32 v10, 0
	s_branch .LBB124_47
.LBB124_44:                             ;   in Loop: Header=BB124_9 Depth=1
	v_mov_b32_e32 v0, v8
	s_andn2_b64 vcc, exec, s[52:53]
	s_cbranch_vccnz .LBB124_47
.LBB124_45:                             ;   in Loop: Header=BB124_9 Depth=1
	s_lshl_b32 s4, s6, 2
	s_add_u32 s4, s44, s4
	s_addc_u32 s5, s45, 0
	s_mul_i32 s6, s6, 12
	s_add_u32 s6, s34, s6
	s_addc_u32 s7, s35, 0
	s_mov_b32 s16, s64
.LBB124_46:                             ;   Parent Loop BB124_9 Depth=1
                                        ; =>  This Inner Loop Header: Depth=2
	s_load_dwordx2 s[18:19], s[6:7], 0x4
	s_load_dword s17, s[6:7], 0xc
	s_load_dword s20, s[4:5], 0x0
	s_add_u32 s6, s6, 12
	s_addc_u32 s7, s7, 0
	s_waitcnt lgkmcnt(0)
	v_mul_hi_u32 v7, s19, v0
	v_add_u32_e32 v7, v0, v7
	v_lshrrev_b32_e32 v7, s17, v7
	s_add_u32 s4, s4, 4
	v_mul_lo_u32 v9, v7, s18
	s_addc_u32 s5, s5, 0
	s_add_i32 s16, s16, -1
	v_sub_u32_e32 v9, v0, v9
	s_cmp_lg_u32 s16, 0
	v_mov_b32_e32 v0, v7
	v_mad_u64_u32 v[10:11], s[18:19], v9, s20, v[10:11]
	s_cbranch_scc1 .LBB124_46
.LBB124_47:                             ;   in Loop: Header=BB124_9 Depth=1
	s_cbranch_execnz .LBB124_50
.LBB124_48:                             ;   in Loop: Header=BB124_9 Depth=1
	v_mul_hi_u32 v0, v8, s10
	v_add_u32_e32 v0, v0, v8
	v_lshrrev_b32_e32 v0, s11, v0
	v_mul_lo_u32 v7, v0, s9
	v_sub_u32_e32 v7, v8, v7
	s_andn2_b64 vcc, exec, s[48:49]
	v_mul_lo_u32 v10, v7, s46
	s_cbranch_vccnz .LBB124_50
; %bb.49:                               ;   in Loop: Header=BB124_9 Depth=1
	v_mul_hi_u32 v7, s8, v0
	v_add_u32_e32 v7, v0, v7
	v_lshrrev_b32_e32 v7, s14, v7
	v_mul_lo_u32 v7, v7, s12
	v_sub_u32_e32 v0, v0, v7
	v_mad_u64_u32 v[10:11], s[4:5], v0, s47, v[10:11]
.LBB124_50:                             ;   in Loop: Header=BB124_9 Depth=1
	v_cvt_f32_u32_e32 v0, v1
	v_mov_b32_e32 v1, 0x2f800000
	v_fmac_f32_e32 v1, 0x2f800000, v0
	v_cmp_lt_f32_e32 vcc, v1, v39
	v_cndmask_b32_e64 v0, 0, 1, vcc
	global_store_byte v10, v0, s[28:29]
.LBB124_51:                             ;   in Loop: Header=BB124_9 Depth=1
	s_or_b64 exec, exec, s[2:3]
	v_mov_b32_e32 v1, s15
	v_add_co_u32_e32 v0, vcc, s13, v14
	v_addc_co_u32_e32 v1, vcc, v15, v1, vcc
	v_cmp_gt_i64_e32 vcc, s[24:25], v[0:1]
	s_and_saveexec_b64 s[2:3], vcc
	s_cbranch_execz .LBB124_67
; %bb.52:                               ;   in Loop: Header=BB124_9 Depth=1
	s_and_b64 vcc, exec, s[0:1]
	s_cbranch_vccnz .LBB124_58
; %bb.53:                               ;   in Loop: Header=BB124_9 Depth=1
	s_andn2_b64 vcc, exec, s[42:43]
	s_cbranch_vccnz .LBB124_59
; %bb.54:                               ;   in Loop: Header=BB124_9 Depth=1
	s_mov_b32 s6, 0
	s_andn2_b64 vcc, exec, s[30:31]
	v_mov_b32_e32 v8, 0
	s_cbranch_vccnz .LBB124_60
; %bb.55:                               ;   in Loop: Header=BB124_9 Depth=1
	s_mov_b32 s66, 0
	v_mov_b32_e32 v8, 0
	s_mov_b64 s[54:55], s[34:35]
	s_mov_b64 s[56:57], s[44:45]
	v_mov_b32_e32 v1, v0
.LBB124_56:                             ;   Parent Loop BB124_9 Depth=1
                                        ; =>  This Inner Loop Header: Depth=2
	s_load_dwordx8 s[16:23], s[54:55], 0x4
	s_load_dwordx4 s[4:7], s[54:55], 0x24
	s_load_dwordx4 s[36:39], s[56:57], 0x0
	s_add_u32 s54, s54, 48
	s_addc_u32 s55, s55, 0
	s_waitcnt lgkmcnt(0)
	v_mul_hi_u32 v7, s17, v1
	v_add_u32_e32 v7, v1, v7
	v_lshrrev_b32_e32 v7, s18, v7
	v_mul_lo_u32 v9, v7, s16
	v_mul_hi_u32 v10, s20, v7
	v_sub_u32_e32 v1, v1, v9
	v_add_u32_e32 v9, v7, v10
	v_lshrrev_b32_e32 v9, s21, v9
	v_mul_lo_u32 v10, v9, s19
	v_mul_hi_u32 v11, s23, v9
	v_sub_u32_e32 v7, v7, v10
	v_add_u32_e32 v10, v9, v11
	v_mul_lo_u32 v1, v1, s36
	v_mul_lo_u32 v7, v7, s37
	v_lshrrev_b32_e32 v10, s4, v10
	v_add3_u32 v7, v1, v8, v7
	v_mul_lo_u32 v1, v10, s22
	v_mul_hi_u32 v8, s6, v10
	v_sub_u32_e32 v1, v9, v1
	v_add_u32_e32 v8, v10, v8
	v_mul_lo_u32 v9, v1, s38
	v_lshrrev_b32_e32 v1, s7, v8
	s_add_i32 s66, s66, 4
	v_mul_lo_u32 v8, v1, s5
	s_add_u32 s56, s56, 16
	v_sub_u32_e32 v8, v10, v8
	s_addc_u32 s57, s57, 0
	v_mul_lo_u32 v8, v8, s39
	s_cmp_eq_u32 s65, s66
	v_add3_u32 v8, v9, v7, v8
	s_cbranch_scc0 .LBB124_56
; %bb.57:                               ;   in Loop: Header=BB124_9 Depth=1
	s_mov_b32 s6, s65
	s_andn2_b64 vcc, exec, s[52:53]
	s_cbranch_vccz .LBB124_61
	s_branch .LBB124_63
.LBB124_58:                             ;   in Loop: Header=BB124_9 Depth=1
                                        ; implicit-def: $vgpr8
	s_branch .LBB124_64
.LBB124_59:                             ;   in Loop: Header=BB124_9 Depth=1
	v_mov_b32_e32 v8, 0
	s_branch .LBB124_63
.LBB124_60:                             ;   in Loop: Header=BB124_9 Depth=1
	v_mov_b32_e32 v1, v0
	s_andn2_b64 vcc, exec, s[52:53]
	s_cbranch_vccnz .LBB124_63
.LBB124_61:                             ;   in Loop: Header=BB124_9 Depth=1
	s_lshl_b32 s4, s6, 2
	s_add_u32 s4, s44, s4
	s_addc_u32 s5, s45, 0
	s_mul_i32 s6, s6, 12
	s_add_u32 s6, s34, s6
	s_addc_u32 s7, s35, 0
	s_mov_b32 s16, s64
.LBB124_62:                             ;   Parent Loop BB124_9 Depth=1
                                        ; =>  This Inner Loop Header: Depth=2
	s_load_dwordx2 s[18:19], s[6:7], 0x4
	s_load_dword s17, s[6:7], 0xc
	s_load_dword s20, s[4:5], 0x0
	s_add_u32 s6, s6, 12
	s_addc_u32 s7, s7, 0
	s_waitcnt lgkmcnt(0)
	v_mul_hi_u32 v7, s19, v1
	v_add_u32_e32 v7, v1, v7
	v_lshrrev_b32_e32 v7, s17, v7
	s_add_u32 s4, s4, 4
	v_mul_lo_u32 v9, v7, s18
	s_addc_u32 s5, s5, 0
	s_add_i32 s16, s16, -1
	v_sub_u32_e32 v9, v1, v9
	s_cmp_lg_u32 s16, 0
	v_mov_b32_e32 v1, v7
	v_mad_u64_u32 v[8:9], s[18:19], v9, s20, v[8:9]
	s_cbranch_scc1 .LBB124_62
.LBB124_63:                             ;   in Loop: Header=BB124_9 Depth=1
	s_cbranch_execnz .LBB124_66
.LBB124_64:                             ;   in Loop: Header=BB124_9 Depth=1
	v_mul_hi_u32 v1, v0, s10
	v_add_u32_e32 v1, v1, v0
	v_lshrrev_b32_e32 v1, s11, v1
	v_mul_lo_u32 v7, v1, s9
	v_sub_u32_e32 v0, v0, v7
	s_andn2_b64 vcc, exec, s[48:49]
	v_mul_lo_u32 v8, v0, s46
	s_cbranch_vccnz .LBB124_66
; %bb.65:                               ;   in Loop: Header=BB124_9 Depth=1
	v_mul_hi_u32 v0, s8, v1
	v_add_u32_e32 v0, v1, v0
	v_lshrrev_b32_e32 v0, s14, v0
	v_mul_lo_u32 v0, v0, s12
	v_sub_u32_e32 v0, v1, v0
	v_mad_u64_u32 v[8:9], s[4:5], v0, s47, v[8:9]
.LBB124_66:                             ;   in Loop: Header=BB124_9 Depth=1
	v_cvt_f32_u32_e32 v0, v2
	v_mov_b32_e32 v1, 0x2f800000
	v_fmac_f32_e32 v1, 0x2f800000, v0
	v_cmp_lt_f32_e32 vcc, v1, v39
	v_cndmask_b32_e64 v0, 0, 1, vcc
	global_store_byte v8, v0, s[28:29]
.LBB124_67:                             ;   in Loop: Header=BB124_9 Depth=1
	s_or_b64 exec, exec, s[2:3]
	v_mov_b32_e32 v1, s63
	v_add_co_u32_e32 v0, vcc, s62, v14
	v_addc_co_u32_e32 v1, vcc, v15, v1, vcc
	v_cmp_gt_i64_e32 vcc, s[24:25], v[0:1]
	s_and_saveexec_b64 s[36:37], vcc
	s_cbranch_execz .LBB124_8
; %bb.68:                               ;   in Loop: Header=BB124_9 Depth=1
	s_and_b64 vcc, exec, s[0:1]
	s_cbranch_vccnz .LBB124_74
; %bb.69:                               ;   in Loop: Header=BB124_9 Depth=1
	s_andn2_b64 vcc, exec, s[42:43]
	s_cbranch_vccnz .LBB124_75
; %bb.70:                               ;   in Loop: Header=BB124_9 Depth=1
	s_mov_b32 s2, 0
	s_andn2_b64 vcc, exec, s[30:31]
	v_mov_b32_e32 v8, 0
	s_cbranch_vccnz .LBB124_76
; %bb.71:                               ;   in Loop: Header=BB124_9 Depth=1
	s_mov_b32 s56, 0
	v_mov_b32_e32 v8, 0
	s_mov_b64 s[38:39], s[34:35]
	s_mov_b64 s[54:55], s[44:45]
	v_mov_b32_e32 v1, v0
.LBB124_72:                             ;   Parent Loop BB124_9 Depth=1
                                        ; =>  This Inner Loop Header: Depth=2
	s_load_dwordx8 s[0:7], s[38:39], 0x4
	s_load_dwordx4 s[16:19], s[38:39], 0x24
	s_load_dwordx4 s[20:23], s[54:55], 0x0
	s_add_u32 s38, s38, 48
	s_addc_u32 s39, s39, 0
	s_waitcnt lgkmcnt(0)
	v_mul_hi_u32 v2, s1, v1
	v_add_u32_e32 v2, v1, v2
	v_lshrrev_b32_e32 v2, s2, v2
	v_mul_lo_u32 v7, v2, s0
	v_mul_hi_u32 v9, s4, v2
	v_sub_u32_e32 v1, v1, v7
	v_add_u32_e32 v7, v2, v9
	v_lshrrev_b32_e32 v7, s5, v7
	v_mul_lo_u32 v9, v7, s3
	v_mul_hi_u32 v10, s7, v7
	v_sub_u32_e32 v2, v2, v9
	v_add_u32_e32 v9, v7, v10
	v_mul_lo_u32 v1, v1, s20
	v_mul_lo_u32 v2, v2, s21
	v_lshrrev_b32_e32 v9, s16, v9
	v_add3_u32 v2, v1, v8, v2
	v_mul_lo_u32 v1, v9, s6
	v_mul_hi_u32 v8, s18, v9
	v_sub_u32_e32 v1, v7, v1
	v_add_u32_e32 v7, v9, v8
	v_mul_lo_u32 v8, v1, s22
	v_lshrrev_b32_e32 v1, s19, v7
	s_add_i32 s56, s56, 4
	v_mul_lo_u32 v7, v1, s17
	s_add_u32 s54, s54, 16
	v_sub_u32_e32 v7, v9, v7
	s_addc_u32 s55, s55, 0
	v_mul_lo_u32 v7, v7, s23
	s_cmp_eq_u32 s65, s56
	v_add3_u32 v8, v8, v2, v7
	s_cbranch_scc0 .LBB124_72
; %bb.73:                               ;   in Loop: Header=BB124_9 Depth=1
	s_mov_b32 s2, s65
	s_andn2_b64 vcc, exec, s[52:53]
	s_cbranch_vccz .LBB124_77
	s_branch .LBB124_79
.LBB124_74:                             ;   in Loop: Header=BB124_9 Depth=1
                                        ; implicit-def: $vgpr8
	s_branch .LBB124_80
.LBB124_75:                             ;   in Loop: Header=BB124_9 Depth=1
	v_mov_b32_e32 v8, 0
	s_branch .LBB124_79
.LBB124_76:                             ;   in Loop: Header=BB124_9 Depth=1
	v_mov_b32_e32 v1, v0
	s_andn2_b64 vcc, exec, s[52:53]
	s_cbranch_vccnz .LBB124_79
.LBB124_77:                             ;   in Loop: Header=BB124_9 Depth=1
	s_lshl_b32 s0, s2, 2
	s_add_u32 s0, s44, s0
	s_addc_u32 s1, s45, 0
	s_mul_i32 s2, s2, 12
	s_add_u32 s2, s34, s2
	s_addc_u32 s3, s35, 0
	s_mov_b32 s4, s64
.LBB124_78:                             ;   Parent Loop BB124_9 Depth=1
                                        ; =>  This Inner Loop Header: Depth=2
	s_load_dwordx2 s[6:7], s[2:3], 0x4
	s_load_dword s5, s[2:3], 0xc
	s_load_dword s16, s[0:1], 0x0
	s_add_u32 s2, s2, 12
	s_addc_u32 s3, s3, 0
	s_waitcnt lgkmcnt(0)
	v_mul_hi_u32 v2, s7, v1
	v_add_u32_e32 v2, v1, v2
	v_lshrrev_b32_e32 v2, s5, v2
	s_add_u32 s0, s0, 4
	v_mul_lo_u32 v7, v2, s6
	s_addc_u32 s1, s1, 0
	s_add_i32 s4, s4, -1
	v_sub_u32_e32 v7, v1, v7
	s_cmp_lg_u32 s4, 0
	v_mov_b32_e32 v1, v2
	v_mad_u64_u32 v[8:9], s[6:7], v7, s16, v[8:9]
	s_cbranch_scc1 .LBB124_78
.LBB124_79:                             ;   in Loop: Header=BB124_9 Depth=1
	s_cbranch_execnz .LBB124_7
.LBB124_80:                             ;   in Loop: Header=BB124_9 Depth=1
	v_mul_hi_u32 v1, v0, s10
	v_add_u32_e32 v1, v1, v0
	v_lshrrev_b32_e32 v1, s11, v1
	v_mul_lo_u32 v2, v1, s9
	v_sub_u32_e32 v0, v0, v2
	s_andn2_b64 vcc, exec, s[48:49]
	v_mul_lo_u32 v8, v0, s46
	s_cbranch_vccnz .LBB124_7
; %bb.81:                               ;   in Loop: Header=BB124_9 Depth=1
	v_mul_hi_u32 v0, s8, v1
	v_add_u32_e32 v0, v1, v0
	v_lshrrev_b32_e32 v0, s14, v0
	v_mul_lo_u32 v0, v0, s12
	v_sub_u32_e32 v0, v1, v0
	v_mad_u64_u32 v[8:9], s[0:1], v0, s47, v[8:9]
	s_branch .LBB124_7
.LBB124_82:
	s_endpgm
.LBB124_83:
                                        ; implicit-def: $sgpr2_sgpr3
	s_andn2_b64 vcc, exec, s[0:1]
	s_cbranch_vccz .LBB124_4
	s_branch .LBB124_5
	.section	.rodata,"a",@progbits
	.p2align	6, 0x0
	.amdhsa_kernel _ZN2at6native12_GLOBAL__N_143distribution_elementwise_grid_stride_kernelIfLi4EZNS0_9templates4cuda21uniform_and_transformIhfPNS_17CUDAGeneratorImplEZZZNS4_16bernoulli_kernelIS7_EEvRNS_18TensorIteratorBaseEdT_ENKUlvE_clEvENKUlvE_clEvEUlfE_EEvSA_T1_T2_EUlP25hiprandStatePhilox4_32_10E0_ZNS1_27distribution_nullary_kernelIhf15HIP_vector_typeIfLj4EES7_SJ_SE_EEvSA_SG_RKT3_T4_EUlifE0_EEvlNS_15PhiloxCudaStateESF_SG_
		.amdhsa_group_segment_fixed_size 0
		.amdhsa_private_segment_fixed_size 0
		.amdhsa_kernarg_size 584
		.amdhsa_user_sgpr_count 6
		.amdhsa_user_sgpr_private_segment_buffer 1
		.amdhsa_user_sgpr_dispatch_ptr 0
		.amdhsa_user_sgpr_queue_ptr 0
		.amdhsa_user_sgpr_kernarg_segment_ptr 1
		.amdhsa_user_sgpr_dispatch_id 0
		.amdhsa_user_sgpr_flat_scratch_init 0
		.amdhsa_user_sgpr_kernarg_preload_length 0
		.amdhsa_user_sgpr_kernarg_preload_offset 0
		.amdhsa_user_sgpr_private_segment_size 0
		.amdhsa_uses_dynamic_stack 0
		.amdhsa_system_sgpr_private_segment_wavefront_offset 0
		.amdhsa_system_sgpr_workgroup_id_x 1
		.amdhsa_system_sgpr_workgroup_id_y 0
		.amdhsa_system_sgpr_workgroup_id_z 0
		.amdhsa_system_sgpr_workgroup_info 0
		.amdhsa_system_vgpr_workitem_id 0
		.amdhsa_next_free_vgpr 42
		.amdhsa_next_free_sgpr 67
		.amdhsa_accum_offset 44
		.amdhsa_reserve_vcc 1
		.amdhsa_reserve_flat_scratch 0
		.amdhsa_float_round_mode_32 0
		.amdhsa_float_round_mode_16_64 0
		.amdhsa_float_denorm_mode_32 3
		.amdhsa_float_denorm_mode_16_64 3
		.amdhsa_dx10_clamp 1
		.amdhsa_ieee_mode 1
		.amdhsa_fp16_overflow 0
		.amdhsa_tg_split 0
		.amdhsa_exception_fp_ieee_invalid_op 0
		.amdhsa_exception_fp_denorm_src 0
		.amdhsa_exception_fp_ieee_div_zero 0
		.amdhsa_exception_fp_ieee_overflow 0
		.amdhsa_exception_fp_ieee_underflow 0
		.amdhsa_exception_fp_ieee_inexact 0
		.amdhsa_exception_int_div_zero 0
	.end_amdhsa_kernel
	.section	.text._ZN2at6native12_GLOBAL__N_143distribution_elementwise_grid_stride_kernelIfLi4EZNS0_9templates4cuda21uniform_and_transformIhfPNS_17CUDAGeneratorImplEZZZNS4_16bernoulli_kernelIS7_EEvRNS_18TensorIteratorBaseEdT_ENKUlvE_clEvENKUlvE_clEvEUlfE_EEvSA_T1_T2_EUlP25hiprandStatePhilox4_32_10E0_ZNS1_27distribution_nullary_kernelIhf15HIP_vector_typeIfLj4EES7_SJ_SE_EEvSA_SG_RKT3_T4_EUlifE0_EEvlNS_15PhiloxCudaStateESF_SG_,"axG",@progbits,_ZN2at6native12_GLOBAL__N_143distribution_elementwise_grid_stride_kernelIfLi4EZNS0_9templates4cuda21uniform_and_transformIhfPNS_17CUDAGeneratorImplEZZZNS4_16bernoulli_kernelIS7_EEvRNS_18TensorIteratorBaseEdT_ENKUlvE_clEvENKUlvE_clEvEUlfE_EEvSA_T1_T2_EUlP25hiprandStatePhilox4_32_10E0_ZNS1_27distribution_nullary_kernelIhf15HIP_vector_typeIfLj4EES7_SJ_SE_EEvSA_SG_RKT3_T4_EUlifE0_EEvlNS_15PhiloxCudaStateESF_SG_,comdat
.Lfunc_end124:
	.size	_ZN2at6native12_GLOBAL__N_143distribution_elementwise_grid_stride_kernelIfLi4EZNS0_9templates4cuda21uniform_and_transformIhfPNS_17CUDAGeneratorImplEZZZNS4_16bernoulli_kernelIS7_EEvRNS_18TensorIteratorBaseEdT_ENKUlvE_clEvENKUlvE_clEvEUlfE_EEvSA_T1_T2_EUlP25hiprandStatePhilox4_32_10E0_ZNS1_27distribution_nullary_kernelIhf15HIP_vector_typeIfLj4EES7_SJ_SE_EEvSA_SG_RKT3_T4_EUlifE0_EEvlNS_15PhiloxCudaStateESF_SG_, .Lfunc_end124-_ZN2at6native12_GLOBAL__N_143distribution_elementwise_grid_stride_kernelIfLi4EZNS0_9templates4cuda21uniform_and_transformIhfPNS_17CUDAGeneratorImplEZZZNS4_16bernoulli_kernelIS7_EEvRNS_18TensorIteratorBaseEdT_ENKUlvE_clEvENKUlvE_clEvEUlfE_EEvSA_T1_T2_EUlP25hiprandStatePhilox4_32_10E0_ZNS1_27distribution_nullary_kernelIhf15HIP_vector_typeIfLj4EES7_SJ_SE_EEvSA_SG_RKT3_T4_EUlifE0_EEvlNS_15PhiloxCudaStateESF_SG_
                                        ; -- End function
	.section	.AMDGPU.csdata,"",@progbits
; Kernel info:
; codeLenInByte = 4432
; NumSgprs: 71
; NumVgprs: 42
; NumAgprs: 0
; TotalNumVgprs: 42
; ScratchSize: 0
; MemoryBound: 0
; FloatMode: 240
; IeeeMode: 1
; LDSByteSize: 0 bytes/workgroup (compile time only)
; SGPRBlocks: 8
; VGPRBlocks: 5
; NumSGPRsForWavesPerEU: 71
; NumVGPRsForWavesPerEU: 42
; AccumOffset: 44
; Occupancy: 8
; WaveLimiterHint : 1
; COMPUTE_PGM_RSRC2:SCRATCH_EN: 0
; COMPUTE_PGM_RSRC2:USER_SGPR: 6
; COMPUTE_PGM_RSRC2:TRAP_HANDLER: 0
; COMPUTE_PGM_RSRC2:TGID_X_EN: 1
; COMPUTE_PGM_RSRC2:TGID_Y_EN: 0
; COMPUTE_PGM_RSRC2:TGID_Z_EN: 0
; COMPUTE_PGM_RSRC2:TIDIG_COMP_CNT: 0
; COMPUTE_PGM_RSRC3_GFX90A:ACCUM_OFFSET: 10
; COMPUTE_PGM_RSRC3_GFX90A:TG_SPLIT: 0
	.section	.text._ZN2at6native12_GLOBAL__N_143distribution_elementwise_grid_stride_kernelIfLi4EZNS0_9templates4cuda21uniform_and_transformIafPNS_17CUDAGeneratorImplEZZZNS4_16bernoulli_kernelIS7_EEvRNS_18TensorIteratorBaseEdT_ENKUlvE_clEvENKUlvE0_clEvEUlfE_EEvSA_T1_T2_EUlP25hiprandStatePhilox4_32_10E_ZNS1_27distribution_nullary_kernelIaf15HIP_vector_typeIdLj2EES7_SJ_SE_EEvSA_SG_RKT3_T4_EUlifE_EEvlNS_15PhiloxCudaStateESF_SG_,"axG",@progbits,_ZN2at6native12_GLOBAL__N_143distribution_elementwise_grid_stride_kernelIfLi4EZNS0_9templates4cuda21uniform_and_transformIafPNS_17CUDAGeneratorImplEZZZNS4_16bernoulli_kernelIS7_EEvRNS_18TensorIteratorBaseEdT_ENKUlvE_clEvENKUlvE0_clEvEUlfE_EEvSA_T1_T2_EUlP25hiprandStatePhilox4_32_10E_ZNS1_27distribution_nullary_kernelIaf15HIP_vector_typeIdLj2EES7_SJ_SE_EEvSA_SG_RKT3_T4_EUlifE_EEvlNS_15PhiloxCudaStateESF_SG_,comdat
	.globl	_ZN2at6native12_GLOBAL__N_143distribution_elementwise_grid_stride_kernelIfLi4EZNS0_9templates4cuda21uniform_and_transformIafPNS_17CUDAGeneratorImplEZZZNS4_16bernoulli_kernelIS7_EEvRNS_18TensorIteratorBaseEdT_ENKUlvE_clEvENKUlvE0_clEvEUlfE_EEvSA_T1_T2_EUlP25hiprandStatePhilox4_32_10E_ZNS1_27distribution_nullary_kernelIaf15HIP_vector_typeIdLj2EES7_SJ_SE_EEvSA_SG_RKT3_T4_EUlifE_EEvlNS_15PhiloxCudaStateESF_SG_ ; -- Begin function _ZN2at6native12_GLOBAL__N_143distribution_elementwise_grid_stride_kernelIfLi4EZNS0_9templates4cuda21uniform_and_transformIafPNS_17CUDAGeneratorImplEZZZNS4_16bernoulli_kernelIS7_EEvRNS_18TensorIteratorBaseEdT_ENKUlvE_clEvENKUlvE0_clEvEUlfE_EEvSA_T1_T2_EUlP25hiprandStatePhilox4_32_10E_ZNS1_27distribution_nullary_kernelIaf15HIP_vector_typeIdLj2EES7_SJ_SE_EEvSA_SG_RKT3_T4_EUlifE_EEvlNS_15PhiloxCudaStateESF_SG_
	.p2align	8
	.type	_ZN2at6native12_GLOBAL__N_143distribution_elementwise_grid_stride_kernelIfLi4EZNS0_9templates4cuda21uniform_and_transformIafPNS_17CUDAGeneratorImplEZZZNS4_16bernoulli_kernelIS7_EEvRNS_18TensorIteratorBaseEdT_ENKUlvE_clEvENKUlvE0_clEvEUlfE_EEvSA_T1_T2_EUlP25hiprandStatePhilox4_32_10E_ZNS1_27distribution_nullary_kernelIaf15HIP_vector_typeIdLj2EES7_SJ_SE_EEvSA_SG_RKT3_T4_EUlifE_EEvlNS_15PhiloxCudaStateESF_SG_,@function
_ZN2at6native12_GLOBAL__N_143distribution_elementwise_grid_stride_kernelIfLi4EZNS0_9templates4cuda21uniform_and_transformIafPNS_17CUDAGeneratorImplEZZZNS4_16bernoulli_kernelIS7_EEvRNS_18TensorIteratorBaseEdT_ENKUlvE_clEvENKUlvE0_clEvEUlfE_EEvSA_T1_T2_EUlP25hiprandStatePhilox4_32_10E_ZNS1_27distribution_nullary_kernelIaf15HIP_vector_typeIdLj2EES7_SJ_SE_EEvSA_SG_RKT3_T4_EUlifE_EEvlNS_15PhiloxCudaStateESF_SG_: ; @_ZN2at6native12_GLOBAL__N_143distribution_elementwise_grid_stride_kernelIfLi4EZNS0_9templates4cuda21uniform_and_transformIafPNS_17CUDAGeneratorImplEZZZNS4_16bernoulli_kernelIS7_EEvRNS_18TensorIteratorBaseEdT_ENKUlvE_clEvENKUlvE0_clEvEUlfE_EEvSA_T1_T2_EUlP25hiprandStatePhilox4_32_10E_ZNS1_27distribution_nullary_kernelIaf15HIP_vector_typeIdLj2EES7_SJ_SE_EEvSA_SG_RKT3_T4_EUlifE_EEvlNS_15PhiloxCudaStateESF_SG_
; %bb.0:
	s_load_dword s7, s[4:5], 0x20
	s_load_dwordx2 s[10:11], s[4:5], 0x10
	s_load_dwordx4 s[0:3], s[4:5], 0x0
	s_mov_b32 s8, 0
	s_waitcnt lgkmcnt(0)
	s_bitcmp0_b32 s7, 0
	v_pk_mov_b32 v[2:3], s[10:11], s[10:11] op_sel:[0,1]
	v_pk_mov_b32 v[14:15], s[2:3], s[2:3] op_sel:[0,1]
	s_cbranch_scc1 .LBB125_2
; %bb.1:
	v_pk_mov_b32 v[2:3], s[10:11], s[10:11] op_sel:[0,1]
	flat_load_dwordx2 v[2:3], v[2:3]
	v_pk_mov_b32 v[4:5], s[2:3], s[2:3] op_sel:[0,1]
	flat_load_dwordx2 v[14:15], v[4:5]
	s_load_dwordx2 s[2:3], s[4:5], 0x18
	s_waitcnt lgkmcnt(0)
	v_mov_b32_e32 v1, s3
	s_waitcnt vmcnt(0)
	v_add_co_u32_e32 v2, vcc, s2, v2
	v_addc_co_u32_e32 v3, vcc, v3, v1, vcc
.LBB125_2:
	s_load_dword s2, s[4:5], 0x54
	s_load_dword s17, s[4:5], 0x48
	s_waitcnt lgkmcnt(0)
	s_and_b32 s7, s2, 0xffff
	s_add_u32 s10, s0, -1
	s_mul_i32 s12, s17, s7
	s_addc_u32 s9, s1, -1
	s_lshl_b32 s13, s12, 2
	s_cmp_lg_u64 s[8:9], 0
	s_mov_b64 s[2:3], -1
	s_cbranch_scc0 .LBB125_23
; %bb.3:
	v_cvt_f32_u32_e32 v1, s13
	v_cvt_f32_ubyte0_e32 v4, 0
	s_sub_u32 s8, 0, s13
	s_subb_u32 s11, 0, 0
	v_madmk_f32 v1, v4, 0x4f800000, v1
	v_rcp_f32_e32 v1, v1
	v_mul_f32_e32 v1, 0x5f7ffffc, v1
	v_mul_f32_e32 v4, 0x2f800000, v1
	v_trunc_f32_e32 v4, v4
	v_madmk_f32 v1, v4, 0xcf800000, v1
	v_cvt_u32_f32_e32 v4, v4
	v_cvt_u32_f32_e32 v1, v1
	v_readfirstlane_b32 s14, v4
	v_readfirstlane_b32 s15, v1
	s_mul_i32 s16, s8, s14
	s_mul_hi_u32 s19, s8, s15
	s_mul_i32 s18, s11, s15
	s_add_i32 s16, s19, s16
	s_add_i32 s16, s16, s18
	s_mul_i32 s20, s8, s15
	s_mul_hi_u32 s18, s15, s16
	s_mul_i32 s19, s15, s16
	s_mul_hi_u32 s15, s15, s20
	s_add_u32 s15, s15, s19
	s_addc_u32 s18, 0, s18
	s_mul_hi_u32 s21, s14, s20
	s_mul_i32 s20, s14, s20
	s_add_u32 s15, s15, s20
	s_mul_hi_u32 s19, s14, s16
	s_addc_u32 s15, s18, s21
	s_addc_u32 s18, s19, 0
	s_mul_i32 s16, s14, s16
	s_add_u32 s15, s15, s16
	s_addc_u32 s16, 0, s18
	v_add_co_u32_e32 v1, vcc, s15, v1
	s_cmp_lg_u64 vcc, 0
	s_addc_u32 s14, s14, s16
	v_readfirstlane_b32 s16, v1
	s_mul_i32 s15, s8, s14
	s_mul_hi_u32 s18, s8, s16
	s_add_i32 s15, s18, s15
	s_mul_i32 s11, s11, s16
	s_add_i32 s15, s15, s11
	s_mul_i32 s8, s8, s16
	s_mul_hi_u32 s18, s14, s8
	s_mul_i32 s19, s14, s8
	s_mul_i32 s21, s16, s15
	s_mul_hi_u32 s8, s16, s8
	s_mul_hi_u32 s20, s16, s15
	s_add_u32 s8, s8, s21
	s_addc_u32 s16, 0, s20
	s_add_u32 s8, s8, s19
	s_mul_hi_u32 s11, s14, s15
	s_addc_u32 s8, s16, s18
	s_addc_u32 s11, s11, 0
	s_mul_i32 s15, s14, s15
	s_add_u32 s8, s8, s15
	s_addc_u32 s11, 0, s11
	v_add_co_u32_e32 v1, vcc, s8, v1
	s_cmp_lg_u64 vcc, 0
	s_addc_u32 s11, s14, s11
	s_ashr_i32 s14, s9, 31
	s_add_u32 s8, s10, s14
	s_mov_b32 s15, s14
	s_addc_u32 s9, s9, s14
	s_xor_b64 s[8:9], s[8:9], s[14:15]
	v_readfirstlane_b32 s19, v1
	s_mul_i32 s18, s8, s11
	s_mul_hi_u32 s20, s8, s19
	s_mul_hi_u32 s16, s8, s11
	s_add_u32 s18, s20, s18
	s_addc_u32 s16, 0, s16
	s_mul_hi_u32 s21, s9, s19
	s_mul_i32 s19, s9, s19
	s_add_u32 s18, s18, s19
	s_mul_hi_u32 s20, s9, s11
	s_addc_u32 s16, s16, s21
	s_addc_u32 s18, s20, 0
	s_mul_i32 s11, s9, s11
	s_add_u32 s11, s16, s11
	s_addc_u32 s16, 0, s18
	s_add_u32 s18, s11, 1
	s_addc_u32 s19, s16, 0
	s_add_u32 s20, s11, 2
	s_mul_i32 s22, s13, s16
	s_mul_hi_u32 s23, s13, s11
	s_addc_u32 s21, s16, 0
	s_add_i32 s23, s23, s22
	s_mul_i32 s22, s13, s11
	v_mov_b32_e32 v1, s22
	v_sub_co_u32_e32 v1, vcc, s8, v1
	s_cmp_lg_u64 vcc, 0
	s_subb_u32 s8, s9, s23
	v_subrev_co_u32_e32 v4, vcc, s13, v1
	s_cmp_lg_u64 vcc, 0
	s_subb_u32 s9, s8, 0
	v_readfirstlane_b32 s22, v4
	s_cmp_ge_u32 s22, s13
	s_cselect_b32 s22, -1, 0
	s_cmp_eq_u32 s9, 0
	s_cselect_b32 s9, s22, -1
	s_cmp_lg_u32 s9, 0
	s_cselect_b32 s9, s21, s19
	v_readfirstlane_b32 s19, v1
	s_cselect_b32 s18, s20, s18
	s_cmp_ge_u32 s19, s13
	s_cselect_b32 s19, -1, 0
	s_cmp_eq_u32 s8, 0
	s_cselect_b32 s8, s19, -1
	s_cmp_lg_u32 s8, 0
	s_cselect_b32 s9, s9, s16
	s_cselect_b32 s8, s18, s11
	s_xor_b64 s[8:9], s[8:9], s[14:15]
	s_sub_u32 s8, s8, s14
	s_subb_u32 s9, s9, s14
	s_cbranch_execnz .LBB125_5
.LBB125_4:
	v_cvt_f32_u32_e32 v1, s13
	s_sub_i32 s2, 0, s13
	s_mov_b32 s9, 0
	v_rcp_iflag_f32_e32 v1, v1
	v_mul_f32_e32 v1, 0x4f7ffffe, v1
	v_cvt_u32_f32_e32 v1, v1
	v_readfirstlane_b32 s3, v1
	s_mul_i32 s2, s2, s3
	s_mul_hi_u32 s2, s3, s2
	s_add_i32 s3, s3, s2
	s_mul_hi_u32 s2, s10, s3
	s_mul_i32 s8, s2, s13
	s_sub_i32 s8, s10, s8
	s_add_i32 s3, s2, 1
	s_sub_i32 s10, s8, s13
	s_cmp_ge_u32 s8, s13
	s_cselect_b32 s2, s3, s2
	s_cselect_b32 s8, s10, s8
	s_add_i32 s3, s2, 1
	s_cmp_ge_u32 s8, s13
	s_cselect_b32 s8, s3, s2
.LBB125_5:
	v_mov_b32_e32 v1, 0
	v_mov_b32_e32 v4, s6
	v_mad_u64_u32 v[16:17], s[2:3], s7, v4, v[0:1]
	s_add_u32 s2, s8, 1
	s_addc_u32 s3, s9, 0
	s_mul_hi_u32 s8, s17, s7
	s_mul_i32 s3, s12, s3
	s_mul_hi_u32 s9, s12, s2
	s_add_i32 s3, s9, s3
	s_mul_i32 s8, s8, s2
	s_add_i32 s3, s3, s8
	s_mul_i32 s2, s12, s2
	s_lshl_b64 s[2:3], s[2:3], 2
	v_cmp_gt_i64_e32 vcc, s[2:3], v[16:17]
	s_and_saveexec_b64 s[8:9], vcc
	s_cbranch_execz .LBB125_22
; %bb.6:
	s_load_dwordx2 s[8:9], s[4:5], 0x30
	s_load_dword s19, s[4:5], 0x38
	s_load_dwordx2 s[10:11], s[4:5], 0x40
	s_mov_b32 s4, 0x5384540f
	v_mov_b32_e32 v4, v15
	v_add_co_u32_e32 v22, vcc, s4, v14
	s_mov_b32 s4, 0x646e171e
	v_add_co_u32_e32 v23, vcc, s4, v4
	s_mov_b32 s4, 0x1715609d
	;; [unrolled: 2-line block ×6, first 2 shown]
	v_alignbit_b32 v29, v3, v2, 2
	s_mov_b32 s15, 0xd2511f53
	v_add_co_u32_e32 v28, vcc, s4, v14
	v_mad_u64_u32 v[6:7], s[4:5], v29, s15, 0
	v_xor_b32_e32 v1, v7, v15
	v_xor_b32_e32 v1, v1, v17
	s_mov_b32 s16, 0xcd9e8d57
	v_mad_u64_u32 v[8:9], s[4:5], v1, s16, 0
	v_xor_b32_e32 v1, v28, v9
	v_mad_u64_u32 v[10:11], s[4:5], v16, s16, 0
	v_and_b32_e32 v18, 3, v2
	v_xor_b32_e32 v1, v1, v10
	v_xor_b32_e32 v2, v14, v11
	v_lshrrev_b32_e32 v30, 2, v3
	v_mad_u64_u32 v[12:13], s[4:5], v1, s15, 0
	v_xor_b32_e32 v2, v2, v30
	v_xor_b32_e32 v1, v27, v13
	v_mad_u64_u32 v[2:3], s[4:5], v2, s15, 0
	v_xor_b32_e32 v1, v1, v2
	v_mad_u64_u32 v[10:11], s[4:5], v1, s16, 0
	s_mov_b32 s4, 0xbb67ae85
	v_add_co_u32_e32 v31, vcc, s4, v4
	v_xor_b32_e32 v2, v31, v3
	v_xor_b32_e32 v2, v2, v6
	v_xor_b32_e32 v1, v26, v11
	v_mad_u64_u32 v[2:3], s[4:5], v2, s16, 0
	v_xor_b32_e32 v1, v1, v2
	v_mad_u64_u32 v[6:7], s[4:5], v1, s15, 0
	s_mov_b32 s4, 0x3c6ef372
	v_add_co_u32_e32 v32, vcc, s4, v14
	v_xor_b32_e32 v2, v32, v3
	v_xor_b32_e32 v2, v2, v8
	v_xor_b32_e32 v1, v25, v7
	v_mad_u64_u32 v[2:3], s[4:5], v2, s15, 0
	v_xor_b32_e32 v1, v1, v2
	v_mad_u64_u32 v[8:9], s[4:5], v1, s16, 0
	s_mov_b32 s4, 0x32370b8f
	v_add_co_u32_e32 v33, vcc, s4, v4
	v_xor_b32_e32 v2, v33, v3
	v_xor_b32_e32 v2, v2, v12
	v_xor_b32_e32 v1, v24, v9
	v_mad_u64_u32 v[2:3], s[4:5], v2, s16, 0
	v_xor_b32_e32 v1, v1, v2
	v_mad_u64_u32 v[12:13], s[4:5], v1, s15, 0
	s_mov_b32 s4, 0x78dde6e4
	v_add_co_u32_e32 v34, vcc, s4, v14
	v_xor_b32_e32 v2, v34, v3
	v_xor_b32_e32 v2, v2, v10
	v_xor_b32_e32 v1, v23, v13
	v_mad_u64_u32 v[2:3], s[4:5], v2, s15, 0
	v_xor_b32_e32 v1, v1, v2
	v_mad_u64_u32 v[10:11], s[4:5], v1, s16, 0
	s_mov_b32 s4, 0xa9066899
	v_add_co_u32_e32 v35, vcc, s4, v4
	v_xor_b32_e32 v2, v35, v3
	v_xor_b32_e32 v2, v2, v6
	v_xor_b32_e32 v1, v22, v11
	v_mad_u64_u32 v[2:3], s[4:5], v2, s16, 0
	v_xor_b32_e32 v1, v1, v2
	v_mad_u64_u32 v[6:7], s[4:5], v1, s15, 0
	s_mov_b32 s4, 0xb54cda56
	v_add_co_u32_e32 v36, vcc, s4, v14
	v_xor_b32_e32 v2, v36, v3
	v_add_co_u32_e32 v21, vcc, 0xdb3d7428, v4
	v_xor_b32_e32 v2, v2, v8
	v_xor_b32_e32 v1, v21, v7
	v_mad_u64_u32 v[2:3], s[4:5], v2, s15, 0
	v_xor_b32_e32 v1, v1, v2
	v_mad_u64_u32 v[8:9], s[4:5], v1, s16, 0
	s_mov_b32 s4, 0x1fd5c5a3
	v_add_co_u32_e32 v37, vcc, s4, v4
	v_xor_b32_e32 v1, v37, v3
	v_xor_b32_e32 v1, v1, v12
	v_mad_u64_u32 v[2:3], s[4:5], v1, s16, 0
	s_mov_b32 s4, 0xf1bbcdc8
	v_add_u32_e32 v19, 0x8ff34781, v14
	v_xor_b32_e32 v1, v9, v2
	v_add_co_u32_e32 v38, vcc, s4, v14
	v_xor_b32_e32 v2, v19, v1
	v_xor_b32_e32 v1, v38, v3
	v_xor_b32_e32 v1, v1, v10
	v_mad_u64_u32 v[10:11], s[4:5], v1, s15, 0
	v_add_u32_e32 v20, 0x96a522ad, v15
	v_xor_b32_e32 v1, v11, v6
	s_mul_i32 s4, s6, s7
	v_xor_b32_e32 v4, v20, v1
	v_add_u32_e32 v1, s4, v0
	s_waitcnt lgkmcnt(0)
	s_mul_i32 s4, s17, s19
	s_mul_i32 s4, s4, s7
	s_lshl_b32 s18, s4, 2
	s_add_i32 s4, s6, s17
	s_mul_i32 s4, s4, s7
	s_mov_b32 s14, 0
	v_add_u32_e32 v0, s4, v0
	v_mov_b32_e32 v3, v8
	v_mov_b32_e32 v5, v10
	v_cvt_f32_f64_e32 v39, s[10:11]
	v_mul_lo_u32 v40, s19, v1
	v_mul_lo_u32 v41, s19, v0
	s_mov_b64 s[4:5], 0
	s_mov_b32 s17, s14
	v_mov_b32_e32 v42, v16
	v_mov_b32_e32 v43, v17
	s_branch .LBB125_8
.LBB125_7:                              ;   in Loop: Header=BB125_8 Depth=1
	s_or_b64 exec, exec, s[6:7]
	v_add_co_u32_e32 v16, vcc, s13, v16
	v_addc_co_u32_e32 v17, vcc, 0, v17, vcc
	v_mov_b32_e32 v9, v0
	s_add_i32 s17, s17, s18
	v_cmp_le_i64_e32 vcc, s[2:3], v[16:17]
	v_pk_mov_b32 v[2:3], v[6:7], v[6:7] op_sel:[0,1]
	s_or_b64 s[4:5], vcc, s[4:5]
	v_pk_mov_b32 v[4:5], v[8:9], v[8:9] op_sel:[0,1]
	s_barrier
	s_andn2_b64 exec, exec, s[4:5]
	s_cbranch_execz .LBB125_22
.LBB125_8:                              ; =>This Inner Loop Header: Depth=1
	v_add_co_u32_e32 v29, vcc, 1, v29
	v_cndmask_b32_e64 v0, 0, 1, vcc
	v_addc_co_u32_e32 v30, vcc, 0, v30, vcc
	v_cmp_eq_u32_e32 vcc, 0, v30
	v_cndmask_b32_e32 v0, 0, v0, vcc
	v_add_u32_e32 v42, v0, v42
	v_cmp_eq_u32_e32 vcc, 0, v42
	v_cndmask_b32_e32 v0, 0, v0, vcc
	v_add_u32_e32 v43, v0, v43
	v_mad_u64_u32 v[0:1], s[6:7], v29, s15, 0
	v_mad_u64_u32 v[6:7], s[6:7], v42, s16, 0
	v_xor_b32_e32 v1, v1, v15
	v_xor_b32_e32 v7, v7, v14
	v_xor_b32_e32 v1, v43, v1
	v_xor_b32_e32 v7, v30, v7
	v_mad_u64_u32 v[10:11], s[6:7], v1, s16, 0
	v_mad_u64_u32 v[8:9], s[6:7], v7, s15, 0
	v_xor_b32_e32 v1, v28, v11
	v_xor_b32_e32 v1, v1, v6
	v_xor_b32_e32 v6, v31, v9
	v_xor_b32_e32 v6, v6, v0
	;; [unrolled: 6-line block ×10, first 2 shown]
	v_mov_b32_e32 v7, v12
	v_mov_b32_e32 v8, v13
	v_cmp_lt_i32_e32 vcc, 1, v18
	s_and_saveexec_b64 s[6:7], vcc
	s_xor_b64 s[6:7], exec, s[6:7]
	s_cbranch_execnz .LBB125_14
; %bb.9:                                ;   in Loop: Header=BB125_8 Depth=1
	s_andn2_saveexec_b64 s[6:7], s[6:7]
	s_cbranch_execnz .LBB125_19
.LBB125_10:                             ;   in Loop: Header=BB125_8 Depth=1
	s_or_b64 exec, exec, s[6:7]
	v_cmp_gt_i64_e32 vcc, s[0:1], v[16:17]
	s_and_saveexec_b64 s[6:7], vcc
	s_cbranch_execz .LBB125_12
.LBB125_11:                             ;   in Loop: Header=BB125_8 Depth=1
	v_lshrrev_b32_e32 v1, 11, v3
	v_cvt_f64_u32_e32 v[10:11], v1
	v_ldexp_f64 v[10:11], v[10:11], 32
	v_cvt_f64_u32_e32 v[2:3], v2
	v_add_f64 v[2:3], v[10:11], v[2:3]
	v_mov_b32_e32 v10, 0
	v_mov_b32_e32 v11, 0x3ca00000
	v_fmac_f64_e32 v[10:11], 0x3ca00000, v[2:3]
	v_add_u32_e32 v2, s17, v40
	v_ashrrev_i32_e32 v3, 31, v2
	v_mov_b32_e32 v9, s9
	v_add_co_u32_e32 v2, vcc, s8, v2
	v_cvt_f32_f64_e32 v1, v[10:11]
	v_addc_co_u32_e32 v3, vcc, v9, v3, vcc
	v_cmp_gt_f32_e32 vcc, v39, v1
	v_cndmask_b32_e64 v1, 0, 1, vcc
	global_store_byte v[2:3], v1, off
.LBB125_12:                             ;   in Loop: Header=BB125_8 Depth=1
	s_or_b64 exec, exec, s[6:7]
	v_mov_b32_e32 v1, s14
	v_add_co_u32_e32 v2, vcc, s12, v16
	v_addc_co_u32_e32 v3, vcc, v1, v17, vcc
	v_cmp_gt_i64_e32 vcc, s[0:1], v[2:3]
	s_and_saveexec_b64 s[6:7], vcc
	s_cbranch_execz .LBB125_7
; %bb.13:                               ;   in Loop: Header=BB125_8 Depth=1
	v_lshrrev_b32_e32 v1, 11, v5
	v_cvt_f64_u32_e32 v[2:3], v1
	v_ldexp_f64 v[2:3], v[2:3], 32
	v_cvt_f64_u32_e32 v[4:5], v4
	v_add_f64 v[2:3], v[2:3], v[4:5]
	v_mov_b32_e32 v4, 0
	v_mov_b32_e32 v5, 0x3ca00000
	v_fmac_f64_e32 v[4:5], 0x3ca00000, v[2:3]
	v_add_u32_e32 v2, s17, v41
	v_cvt_f32_f64_e32 v1, v[4:5]
	v_ashrrev_i32_e32 v3, 31, v2
	v_mov_b32_e32 v4, s9
	v_add_co_u32_e32 v2, vcc, s8, v2
	v_addc_co_u32_e32 v3, vcc, v4, v3, vcc
	v_cmp_gt_f32_e32 vcc, v39, v1
	v_cndmask_b32_e64 v1, 0, 1, vcc
	global_store_byte v[2:3], v1, off
	s_branch .LBB125_7
.LBB125_14:                             ;   in Loop: Header=BB125_8 Depth=1
	v_cmp_lt_i32_e32 vcc, 2, v18
	s_and_saveexec_b64 s[10:11], vcc
	s_xor_b64 s[10:11], exec, s[10:11]
; %bb.15:                               ;   in Loop: Header=BB125_8 Depth=1
	v_mov_b32_e32 v10, v5
	v_mov_b32_e32 v11, v6
	v_pk_mov_b32 v[2:3], v[10:11], v[10:11] op_sel:[0,1]
	v_pk_mov_b32 v[4:5], v[12:13], v[12:13] op_sel:[0,1]
                                        ; implicit-def: $vgpr12_vgpr13
; %bb.16:                               ;   in Loop: Header=BB125_8 Depth=1
	s_andn2_saveexec_b64 s[10:11], s[10:11]
; %bb.17:                               ;   in Loop: Header=BB125_8 Depth=1
	v_mov_b32_e32 v2, v4
	v_mov_b32_e32 v3, v5
	v_mov_b32_e32 v4, v6
	v_mov_b32_e32 v5, v12
; %bb.18:                               ;   in Loop: Header=BB125_8 Depth=1
	s_or_b64 exec, exec, s[10:11]
	s_andn2_saveexec_b64 s[6:7], s[6:7]
	s_cbranch_execz .LBB125_10
.LBB125_19:                             ;   in Loop: Header=BB125_8 Depth=1
	v_cmp_eq_u32_e32 vcc, 1, v18
	s_and_saveexec_b64 s[10:11], vcc
; %bb.20:                               ;   in Loop: Header=BB125_8 Depth=1
	v_mov_b32_e32 v2, v3
	v_mov_b32_e32 v3, v4
	;; [unrolled: 1-line block ×4, first 2 shown]
; %bb.21:                               ;   in Loop: Header=BB125_8 Depth=1
	s_or_b64 exec, exec, s[10:11]
	s_or_b64 exec, exec, s[6:7]
	v_cmp_gt_i64_e32 vcc, s[0:1], v[16:17]
	s_and_saveexec_b64 s[6:7], vcc
	s_cbranch_execnz .LBB125_11
	s_branch .LBB125_12
.LBB125_22:
	s_endpgm
.LBB125_23:
                                        ; implicit-def: $sgpr8_sgpr9
	s_andn2_b64 vcc, exec, s[2:3]
	s_cbranch_vccz .LBB125_4
	s_branch .LBB125_5
	.section	.rodata,"a",@progbits
	.p2align	6, 0x0
	.amdhsa_kernel _ZN2at6native12_GLOBAL__N_143distribution_elementwise_grid_stride_kernelIfLi4EZNS0_9templates4cuda21uniform_and_transformIafPNS_17CUDAGeneratorImplEZZZNS4_16bernoulli_kernelIS7_EEvRNS_18TensorIteratorBaseEdT_ENKUlvE_clEvENKUlvE0_clEvEUlfE_EEvSA_T1_T2_EUlP25hiprandStatePhilox4_32_10E_ZNS1_27distribution_nullary_kernelIaf15HIP_vector_typeIdLj2EES7_SJ_SE_EEvSA_SG_RKT3_T4_EUlifE_EEvlNS_15PhiloxCudaStateESF_SG_
		.amdhsa_group_segment_fixed_size 0
		.amdhsa_private_segment_fixed_size 0
		.amdhsa_kernarg_size 328
		.amdhsa_user_sgpr_count 6
		.amdhsa_user_sgpr_private_segment_buffer 1
		.amdhsa_user_sgpr_dispatch_ptr 0
		.amdhsa_user_sgpr_queue_ptr 0
		.amdhsa_user_sgpr_kernarg_segment_ptr 1
		.amdhsa_user_sgpr_dispatch_id 0
		.amdhsa_user_sgpr_flat_scratch_init 0
		.amdhsa_user_sgpr_kernarg_preload_length 0
		.amdhsa_user_sgpr_kernarg_preload_offset 0
		.amdhsa_user_sgpr_private_segment_size 0
		.amdhsa_uses_dynamic_stack 0
		.amdhsa_system_sgpr_private_segment_wavefront_offset 0
		.amdhsa_system_sgpr_workgroup_id_x 1
		.amdhsa_system_sgpr_workgroup_id_y 0
		.amdhsa_system_sgpr_workgroup_id_z 0
		.amdhsa_system_sgpr_workgroup_info 0
		.amdhsa_system_vgpr_workitem_id 0
		.amdhsa_next_free_vgpr 46
		.amdhsa_next_free_sgpr 24
		.amdhsa_accum_offset 48
		.amdhsa_reserve_vcc 1
		.amdhsa_reserve_flat_scratch 0
		.amdhsa_float_round_mode_32 0
		.amdhsa_float_round_mode_16_64 0
		.amdhsa_float_denorm_mode_32 3
		.amdhsa_float_denorm_mode_16_64 3
		.amdhsa_dx10_clamp 1
		.amdhsa_ieee_mode 1
		.amdhsa_fp16_overflow 0
		.amdhsa_tg_split 0
		.amdhsa_exception_fp_ieee_invalid_op 0
		.amdhsa_exception_fp_denorm_src 0
		.amdhsa_exception_fp_ieee_div_zero 0
		.amdhsa_exception_fp_ieee_overflow 0
		.amdhsa_exception_fp_ieee_underflow 0
		.amdhsa_exception_fp_ieee_inexact 0
		.amdhsa_exception_int_div_zero 0
	.end_amdhsa_kernel
	.section	.text._ZN2at6native12_GLOBAL__N_143distribution_elementwise_grid_stride_kernelIfLi4EZNS0_9templates4cuda21uniform_and_transformIafPNS_17CUDAGeneratorImplEZZZNS4_16bernoulli_kernelIS7_EEvRNS_18TensorIteratorBaseEdT_ENKUlvE_clEvENKUlvE0_clEvEUlfE_EEvSA_T1_T2_EUlP25hiprandStatePhilox4_32_10E_ZNS1_27distribution_nullary_kernelIaf15HIP_vector_typeIdLj2EES7_SJ_SE_EEvSA_SG_RKT3_T4_EUlifE_EEvlNS_15PhiloxCudaStateESF_SG_,"axG",@progbits,_ZN2at6native12_GLOBAL__N_143distribution_elementwise_grid_stride_kernelIfLi4EZNS0_9templates4cuda21uniform_and_transformIafPNS_17CUDAGeneratorImplEZZZNS4_16bernoulli_kernelIS7_EEvRNS_18TensorIteratorBaseEdT_ENKUlvE_clEvENKUlvE0_clEvEUlfE_EEvSA_T1_T2_EUlP25hiprandStatePhilox4_32_10E_ZNS1_27distribution_nullary_kernelIaf15HIP_vector_typeIdLj2EES7_SJ_SE_EEvSA_SG_RKT3_T4_EUlifE_EEvlNS_15PhiloxCudaStateESF_SG_,comdat
.Lfunc_end125:
	.size	_ZN2at6native12_GLOBAL__N_143distribution_elementwise_grid_stride_kernelIfLi4EZNS0_9templates4cuda21uniform_and_transformIafPNS_17CUDAGeneratorImplEZZZNS4_16bernoulli_kernelIS7_EEvRNS_18TensorIteratorBaseEdT_ENKUlvE_clEvENKUlvE0_clEvEUlfE_EEvSA_T1_T2_EUlP25hiprandStatePhilox4_32_10E_ZNS1_27distribution_nullary_kernelIaf15HIP_vector_typeIdLj2EES7_SJ_SE_EEvSA_SG_RKT3_T4_EUlifE_EEvlNS_15PhiloxCudaStateESF_SG_, .Lfunc_end125-_ZN2at6native12_GLOBAL__N_143distribution_elementwise_grid_stride_kernelIfLi4EZNS0_9templates4cuda21uniform_and_transformIafPNS_17CUDAGeneratorImplEZZZNS4_16bernoulli_kernelIS7_EEvRNS_18TensorIteratorBaseEdT_ENKUlvE_clEvENKUlvE0_clEvEUlfE_EEvSA_T1_T2_EUlP25hiprandStatePhilox4_32_10E_ZNS1_27distribution_nullary_kernelIaf15HIP_vector_typeIdLj2EES7_SJ_SE_EEvSA_SG_RKT3_T4_EUlifE_EEvlNS_15PhiloxCudaStateESF_SG_
                                        ; -- End function
	.section	.AMDGPU.csdata,"",@progbits
; Kernel info:
; codeLenInByte = 2300
; NumSgprs: 28
; NumVgprs: 46
; NumAgprs: 0
; TotalNumVgprs: 46
; ScratchSize: 0
; MemoryBound: 0
; FloatMode: 240
; IeeeMode: 1
; LDSByteSize: 0 bytes/workgroup (compile time only)
; SGPRBlocks: 3
; VGPRBlocks: 5
; NumSGPRsForWavesPerEU: 28
; NumVGPRsForWavesPerEU: 46
; AccumOffset: 48
; Occupancy: 8
; WaveLimiterHint : 0
; COMPUTE_PGM_RSRC2:SCRATCH_EN: 0
; COMPUTE_PGM_RSRC2:USER_SGPR: 6
; COMPUTE_PGM_RSRC2:TRAP_HANDLER: 0
; COMPUTE_PGM_RSRC2:TGID_X_EN: 1
; COMPUTE_PGM_RSRC2:TGID_Y_EN: 0
; COMPUTE_PGM_RSRC2:TGID_Z_EN: 0
; COMPUTE_PGM_RSRC2:TIDIG_COMP_CNT: 0
; COMPUTE_PGM_RSRC3_GFX90A:ACCUM_OFFSET: 11
; COMPUTE_PGM_RSRC3_GFX90A:TG_SPLIT: 0
	.section	.text._ZN2at6native12_GLOBAL__N_143distribution_elementwise_grid_stride_kernelIfLi4EZNS0_9templates4cuda21uniform_and_transformIafPNS_17CUDAGeneratorImplEZZZNS4_16bernoulli_kernelIS7_EEvRNS_18TensorIteratorBaseEdT_ENKUlvE_clEvENKUlvE0_clEvEUlfE_EEvSA_T1_T2_EUlP25hiprandStatePhilox4_32_10E_ZNS1_27distribution_nullary_kernelIaf15HIP_vector_typeIdLj2EES7_SJ_SE_EEvSA_SG_RKT3_T4_EUlifE0_EEvlNS_15PhiloxCudaStateESF_SG_,"axG",@progbits,_ZN2at6native12_GLOBAL__N_143distribution_elementwise_grid_stride_kernelIfLi4EZNS0_9templates4cuda21uniform_and_transformIafPNS_17CUDAGeneratorImplEZZZNS4_16bernoulli_kernelIS7_EEvRNS_18TensorIteratorBaseEdT_ENKUlvE_clEvENKUlvE0_clEvEUlfE_EEvSA_T1_T2_EUlP25hiprandStatePhilox4_32_10E_ZNS1_27distribution_nullary_kernelIaf15HIP_vector_typeIdLj2EES7_SJ_SE_EEvSA_SG_RKT3_T4_EUlifE0_EEvlNS_15PhiloxCudaStateESF_SG_,comdat
	.globl	_ZN2at6native12_GLOBAL__N_143distribution_elementwise_grid_stride_kernelIfLi4EZNS0_9templates4cuda21uniform_and_transformIafPNS_17CUDAGeneratorImplEZZZNS4_16bernoulli_kernelIS7_EEvRNS_18TensorIteratorBaseEdT_ENKUlvE_clEvENKUlvE0_clEvEUlfE_EEvSA_T1_T2_EUlP25hiprandStatePhilox4_32_10E_ZNS1_27distribution_nullary_kernelIaf15HIP_vector_typeIdLj2EES7_SJ_SE_EEvSA_SG_RKT3_T4_EUlifE0_EEvlNS_15PhiloxCudaStateESF_SG_ ; -- Begin function _ZN2at6native12_GLOBAL__N_143distribution_elementwise_grid_stride_kernelIfLi4EZNS0_9templates4cuda21uniform_and_transformIafPNS_17CUDAGeneratorImplEZZZNS4_16bernoulli_kernelIS7_EEvRNS_18TensorIteratorBaseEdT_ENKUlvE_clEvENKUlvE0_clEvEUlfE_EEvSA_T1_T2_EUlP25hiprandStatePhilox4_32_10E_ZNS1_27distribution_nullary_kernelIaf15HIP_vector_typeIdLj2EES7_SJ_SE_EEvSA_SG_RKT3_T4_EUlifE0_EEvlNS_15PhiloxCudaStateESF_SG_
	.p2align	8
	.type	_ZN2at6native12_GLOBAL__N_143distribution_elementwise_grid_stride_kernelIfLi4EZNS0_9templates4cuda21uniform_and_transformIafPNS_17CUDAGeneratorImplEZZZNS4_16bernoulli_kernelIS7_EEvRNS_18TensorIteratorBaseEdT_ENKUlvE_clEvENKUlvE0_clEvEUlfE_EEvSA_T1_T2_EUlP25hiprandStatePhilox4_32_10E_ZNS1_27distribution_nullary_kernelIaf15HIP_vector_typeIdLj2EES7_SJ_SE_EEvSA_SG_RKT3_T4_EUlifE0_EEvlNS_15PhiloxCudaStateESF_SG_,@function
_ZN2at6native12_GLOBAL__N_143distribution_elementwise_grid_stride_kernelIfLi4EZNS0_9templates4cuda21uniform_and_transformIafPNS_17CUDAGeneratorImplEZZZNS4_16bernoulli_kernelIS7_EEvRNS_18TensorIteratorBaseEdT_ENKUlvE_clEvENKUlvE0_clEvEUlfE_EEvSA_T1_T2_EUlP25hiprandStatePhilox4_32_10E_ZNS1_27distribution_nullary_kernelIaf15HIP_vector_typeIdLj2EES7_SJ_SE_EEvSA_SG_RKT3_T4_EUlifE0_EEvlNS_15PhiloxCudaStateESF_SG_: ; @_ZN2at6native12_GLOBAL__N_143distribution_elementwise_grid_stride_kernelIfLi4EZNS0_9templates4cuda21uniform_and_transformIafPNS_17CUDAGeneratorImplEZZZNS4_16bernoulli_kernelIS7_EEvRNS_18TensorIteratorBaseEdT_ENKUlvE_clEvENKUlvE0_clEvEUlfE_EEvSA_T1_T2_EUlP25hiprandStatePhilox4_32_10E_ZNS1_27distribution_nullary_kernelIaf15HIP_vector_typeIdLj2EES7_SJ_SE_EEvSA_SG_RKT3_T4_EUlifE0_EEvlNS_15PhiloxCudaStateESF_SG_
; %bb.0:
	s_load_dword s2, s[4:5], 0x20
	s_load_dwordx2 s[0:1], s[4:5], 0x10
	s_load_dwordx4 s[24:27], s[4:5], 0x0
	s_waitcnt lgkmcnt(0)
	s_bitcmp0_b32 s2, 0
	s_mov_b32 s2, 0
	v_pk_mov_b32 v[2:3], s[0:1], s[0:1] op_sel:[0,1]
	v_pk_mov_b32 v[12:13], s[26:27], s[26:27] op_sel:[0,1]
	s_cbranch_scc1 .LBB126_2
; %bb.1:
	v_pk_mov_b32 v[2:3], s[0:1], s[0:1] op_sel:[0,1]
	flat_load_dwordx2 v[2:3], v[2:3]
	v_pk_mov_b32 v[4:5], s[26:27], s[26:27] op_sel:[0,1]
	flat_load_dwordx2 v[12:13], v[4:5]
	s_load_dwordx2 s[0:1], s[4:5], 0x18
	s_waitcnt lgkmcnt(0)
	v_mov_b32_e32 v1, s1
	s_waitcnt vmcnt(0)
	v_add_co_u32_e32 v2, vcc, s0, v2
	v_addc_co_u32_e32 v3, vcc, v3, v1, vcc
.LBB126_2:
	s_load_dword s0, s[4:5], 0x154
	s_load_dword s7, s[4:5], 0x148
	s_waitcnt lgkmcnt(0)
	s_and_b32 s8, s0, 0xffff
	s_add_u32 s9, s24, -1
	s_mul_i32 s33, s7, s8
	s_addc_u32 s3, s25, -1
	s_lshl_b32 s58, s33, 2
	s_cmp_lg_u64 s[2:3], 0
	s_mov_b64 s[0:1], -1
	s_cbranch_scc0 .LBB126_51
; %bb.3:
	v_cvt_f32_u32_e32 v1, s58
	v_cvt_f32_ubyte0_e32 v4, 0
	s_sub_u32 s2, 0, s58
	s_subb_u32 s10, 0, 0
	v_madmk_f32 v1, v4, 0x4f800000, v1
	v_rcp_f32_e32 v1, v1
	v_mul_f32_e32 v1, 0x5f7ffffc, v1
	v_mul_f32_e32 v4, 0x2f800000, v1
	v_trunc_f32_e32 v4, v4
	v_madmk_f32 v1, v4, 0xcf800000, v1
	v_cvt_u32_f32_e32 v4, v4
	v_cvt_u32_f32_e32 v1, v1
	v_readfirstlane_b32 s11, v4
	v_readfirstlane_b32 s12, v1
	s_mul_i32 s13, s2, s11
	s_mul_hi_u32 s15, s2, s12
	s_mul_i32 s14, s10, s12
	s_add_i32 s13, s15, s13
	s_add_i32 s13, s13, s14
	s_mul_i32 s16, s2, s12
	s_mul_hi_u32 s14, s12, s13
	s_mul_i32 s15, s12, s13
	s_mul_hi_u32 s12, s12, s16
	s_add_u32 s12, s12, s15
	s_addc_u32 s14, 0, s14
	s_mul_hi_u32 s17, s11, s16
	s_mul_i32 s16, s11, s16
	s_add_u32 s12, s12, s16
	s_mul_hi_u32 s15, s11, s13
	s_addc_u32 s12, s14, s17
	s_addc_u32 s14, s15, 0
	s_mul_i32 s13, s11, s13
	s_add_u32 s12, s12, s13
	s_addc_u32 s13, 0, s14
	v_add_co_u32_e32 v1, vcc, s12, v1
	s_cmp_lg_u64 vcc, 0
	s_addc_u32 s11, s11, s13
	v_readfirstlane_b32 s13, v1
	s_mul_i32 s12, s2, s11
	s_mul_hi_u32 s14, s2, s13
	s_add_i32 s12, s14, s12
	s_mul_i32 s10, s10, s13
	s_add_i32 s12, s12, s10
	s_mul_i32 s2, s2, s13
	s_mul_hi_u32 s14, s11, s2
	s_mul_i32 s15, s11, s2
	s_mul_i32 s17, s13, s12
	s_mul_hi_u32 s2, s13, s2
	s_mul_hi_u32 s16, s13, s12
	s_add_u32 s2, s2, s17
	s_addc_u32 s13, 0, s16
	s_add_u32 s2, s2, s15
	s_mul_hi_u32 s10, s11, s12
	s_addc_u32 s2, s13, s14
	s_addc_u32 s10, s10, 0
	s_mul_i32 s12, s11, s12
	s_add_u32 s2, s2, s12
	s_addc_u32 s10, 0, s10
	v_add_co_u32_e32 v1, vcc, s2, v1
	s_cmp_lg_u64 vcc, 0
	s_addc_u32 s12, s11, s10
	s_ashr_i32 s10, s3, 31
	s_add_u32 s2, s9, s10
	s_mov_b32 s11, s10
	s_addc_u32 s3, s3, s10
	s_xor_b64 s[2:3], s[2:3], s[10:11]
	v_readfirstlane_b32 s15, v1
	s_mul_i32 s14, s2, s12
	s_mul_hi_u32 s16, s2, s15
	s_mul_hi_u32 s13, s2, s12
	s_add_u32 s14, s16, s14
	s_addc_u32 s13, 0, s13
	s_mul_hi_u32 s17, s3, s15
	s_mul_i32 s15, s3, s15
	s_add_u32 s14, s14, s15
	s_mul_hi_u32 s16, s3, s12
	s_addc_u32 s13, s13, s17
	s_addc_u32 s14, s16, 0
	s_mul_i32 s12, s3, s12
	s_add_u32 s12, s13, s12
	s_addc_u32 s13, 0, s14
	s_add_u32 s14, s12, 1
	s_addc_u32 s15, s13, 0
	s_add_u32 s16, s12, 2
	s_mul_i32 s18, s58, s13
	s_mul_hi_u32 s19, s58, s12
	s_addc_u32 s17, s13, 0
	s_add_i32 s19, s19, s18
	s_mul_i32 s18, s58, s12
	v_mov_b32_e32 v1, s18
	v_sub_co_u32_e32 v1, vcc, s2, v1
	s_cmp_lg_u64 vcc, 0
	s_subb_u32 s2, s3, s19
	v_subrev_co_u32_e32 v4, vcc, s58, v1
	s_cmp_lg_u64 vcc, 0
	s_subb_u32 s3, s2, 0
	v_readfirstlane_b32 s18, v4
	s_cmp_ge_u32 s18, s58
	s_cselect_b32 s18, -1, 0
	s_cmp_eq_u32 s3, 0
	s_cselect_b32 s3, s18, -1
	s_cmp_lg_u32 s3, 0
	s_cselect_b32 s3, s17, s15
	v_readfirstlane_b32 s15, v1
	s_cselect_b32 s14, s16, s14
	s_cmp_ge_u32 s15, s58
	s_cselect_b32 s15, -1, 0
	s_cmp_eq_u32 s2, 0
	s_cselect_b32 s2, s15, -1
	s_cmp_lg_u32 s2, 0
	s_cselect_b32 s3, s3, s13
	s_cselect_b32 s2, s14, s12
	s_xor_b64 s[2:3], s[2:3], s[10:11]
	s_sub_u32 s2, s2, s10
	s_subb_u32 s3, s3, s10
	s_cbranch_execnz .LBB126_5
.LBB126_4:
	v_cvt_f32_u32_e32 v1, s58
	s_sub_i32 s0, 0, s58
	s_mov_b32 s3, 0
	v_rcp_iflag_f32_e32 v1, v1
	v_mul_f32_e32 v1, 0x4f7ffffe, v1
	v_cvt_u32_f32_e32 v1, v1
	v_readfirstlane_b32 s1, v1
	s_mul_i32 s0, s0, s1
	s_mul_hi_u32 s0, s1, s0
	s_add_i32 s1, s1, s0
	s_mul_hi_u32 s0, s9, s1
	s_mul_i32 s2, s0, s58
	s_sub_i32 s2, s9, s2
	s_add_i32 s1, s0, 1
	s_sub_i32 s9, s2, s58
	s_cmp_ge_u32 s2, s58
	s_cselect_b32 s0, s1, s0
	s_cselect_b32 s2, s9, s2
	s_add_i32 s1, s0, 1
	s_cmp_ge_u32 s2, s58
	s_cselect_b32 s2, s1, s0
.LBB126_5:
	v_mov_b32_e32 v1, 0
	v_mov_b32_e32 v4, s6
	v_mad_u64_u32 v[14:15], s[0:1], s8, v4, v[0:1]
	s_add_u32 s0, s2, 1
	s_addc_u32 s1, s3, 0
	s_mul_hi_u32 s2, s7, s8
	s_mul_i32 s1, s33, s1
	s_mul_hi_u32 s3, s33, s0
	s_add_i32 s1, s3, s1
	s_mul_i32 s2, s2, s0
	s_add_i32 s1, s1, s2
	s_mul_i32 s0, s33, s0
	s_lshl_b64 s[26:27], s[0:1], 2
	v_cmp_gt_i64_e32 vcc, s[26:27], v[14:15]
	s_and_saveexec_b64 s[0:1], vcc
	s_cbranch_execz .LBB126_50
; %bb.6:
	s_mov_b32 s0, 0x5384540f
	v_mov_b32_e32 v0, v13
	v_add_co_u32_e32 v22, vcc, s0, v12
	s_mov_b32 s0, 0x646e171e
	v_add_co_u32_e32 v23, vcc, s0, v0
	s_mov_b32 s0, 0x1715609d
	;; [unrolled: 2-line block ×6, first 2 shown]
	v_alignbit_b32 v29, v3, v2, 2
	s_mov_b32 s60, 0xd2511f53
	v_add_co_u32_e32 v28, vcc, s0, v12
	v_mad_u64_u32 v[4:5], s[0:1], v29, s60, 0
	v_xor_b32_e32 v1, v5, v13
	v_xor_b32_e32 v1, v1, v15
	s_mov_b32 s61, 0xcd9e8d57
	v_mad_u64_u32 v[6:7], s[0:1], v1, s61, 0
	v_xor_b32_e32 v1, v28, v7
	v_mad_u64_u32 v[8:9], s[0:1], v14, s61, 0
	v_and_b32_e32 v18, 3, v2
	v_xor_b32_e32 v1, v1, v8
	v_xor_b32_e32 v2, v12, v9
	v_lshrrev_b32_e32 v30, 2, v3
	v_mad_u64_u32 v[10:11], s[0:1], v1, s60, 0
	v_xor_b32_e32 v2, v2, v30
	v_xor_b32_e32 v1, v27, v11
	v_mad_u64_u32 v[2:3], s[0:1], v2, s60, 0
	v_xor_b32_e32 v1, v1, v2
	v_mad_u64_u32 v[8:9], s[0:1], v1, s61, 0
	s_mov_b32 s0, 0xbb67ae85
	v_add_co_u32_e32 v31, vcc, s0, v0
	v_xor_b32_e32 v2, v31, v3
	v_xor_b32_e32 v2, v2, v4
	v_xor_b32_e32 v1, v26, v9
	v_mad_u64_u32 v[2:3], s[0:1], v2, s61, 0
	v_xor_b32_e32 v1, v1, v2
	v_mad_u64_u32 v[4:5], s[0:1], v1, s60, 0
	s_mov_b32 s0, 0x3c6ef372
	v_add_co_u32_e32 v32, vcc, s0, v12
	v_xor_b32_e32 v2, v32, v3
	;; [unrolled: 8-line block ×6, first 2 shown]
	v_add_co_u32_e32 v21, vcc, 0xdb3d7428, v0
	v_xor_b32_e32 v2, v2, v6
	v_xor_b32_e32 v1, v21, v5
	v_mad_u64_u32 v[2:3], s[0:1], v2, s60, 0
	v_xor_b32_e32 v1, v1, v2
	v_mad_u64_u32 v[6:7], s[0:1], v1, s61, 0
	s_mov_b32 s0, 0x1fd5c5a3
	v_add_co_u32_e32 v37, vcc, s0, v0
	v_xor_b32_e32 v0, v37, v3
	v_xor_b32_e32 v0, v0, v10
	v_mad_u64_u32 v[0:1], s[0:1], v0, s61, 0
	s_mov_b32 s0, 0xf1bbcdc8
	s_load_dwordx8 s[8:15], s[4:5], 0x30
	v_add_co_u32_e32 v38, vcc, s0, v12
	v_xor_b32_e32 v1, v38, v1
	v_xor_b32_e32 v1, v1, v8
	s_add_u32 s34, s4, 48
	v_mad_u64_u32 v[8:9], s[0:1], v1, s60, 0
	s_addc_u32 s35, s5, 0
	s_waitcnt lgkmcnt(0)
	s_add_i32 s0, s8, -1
	s_cmp_gt_u32 s0, 1
	s_cselect_b64 s[40:41], -1, 0
	s_cmp_lg_u32 s8, 0
	s_cselect_b64 s[42:43], -1, 0
	s_add_u32 s44, s4, 0xf4
	s_addc_u32 s45, s5, 0
	s_load_dwordx2 s[46:47], s[4:5], 0xf4
	s_load_dwordx4 s[28:31], s[4:5], 0x138
	s_min_u32 s1, s0, 15
	s_cmp_gt_u32 s8, 1
	s_cselect_b64 s[48:49], -1, 0
	s_add_i32 s1, s1, 1
	s_mov_b32 s8, s13
	s_and_b32 s13, s1, 3
	s_cmp_lg_u32 s0, 2
	s_waitcnt lgkmcnt(0)
	v_cvt_f32_f64_e32 v39, s[30:31]
	s_cselect_b64 s[30:31], -1, 0
	s_and_b32 s15, s1, 28
	v_add_u32_e32 v19, 0x8ff34781, v12
	v_add_u32_e32 v20, 0x96a522ad, v13
	v_xor_b32_e32 v0, v7, v0
	v_xor_b32_e32 v1, v9, v4
	s_cmp_lg_u32 s13, 0
	s_mov_b32 s59, 0
	v_xor_b32_e32 v0, v19, v0
	v_xor_b32_e32 v2, v20, v1
	v_mov_b32_e32 v1, v6
	v_mov_b32_e32 v3, v8
	s_mov_b64 s[50:51], 0
	s_cselect_b64 s[52:53], -1, 0
	v_mov_b32_e32 v40, v14
	v_mov_b32_e32 v41, v15
	s_branch .LBB126_9
.LBB126_7:                              ;   in Loop: Header=BB126_9 Depth=1
	v_lshrrev_b32_e32 v0, 11, v3
	v_cvt_f64_u32_e32 v[0:1], v0
	v_ldexp_f64 v[0:1], v[0:1], 32
	v_cvt_f64_u32_e32 v[2:3], v2
	v_add_f64 v[0:1], v[0:1], v[2:3]
	v_mov_b32_e32 v2, 0
	v_mov_b32_e32 v3, 0x3ca00000
	v_fmac_f64_e32 v[2:3], 0x3ca00000, v[0:1]
	v_cvt_f32_f64_e32 v0, v[2:3]
	v_cmp_gt_f32_e32 vcc, v39, v0
	v_cndmask_b32_e64 v0, 0, 1, vcc
	global_store_byte v8, v0, s[28:29]
.LBB126_8:                              ;   in Loop: Header=BB126_9 Depth=1
	s_or_b64 exec, exec, s[36:37]
	v_add_co_u32_e32 v14, vcc, s58, v14
	v_addc_co_u32_e32 v15, vcc, 0, v15, vcc
	v_mov_b32_e32 v7, v16
	v_cmp_le_i64_e32 vcc, s[26:27], v[14:15]
	v_pk_mov_b32 v[0:1], v[4:5], v[4:5] op_sel:[0,1]
	s_or_b64 s[50:51], vcc, s[50:51]
	v_pk_mov_b32 v[2:3], v[6:7], v[6:7] op_sel:[0,1]
	s_barrier
	s_andn2_b64 exec, exec, s[50:51]
	s_cbranch_execz .LBB126_50
.LBB126_9:                              ; =>This Loop Header: Depth=1
                                        ;     Child Loop BB126_24 Depth 2
                                        ;     Child Loop BB126_30 Depth 2
	;; [unrolled: 1-line block ×4, first 2 shown]
	v_add_co_u32_e32 v29, vcc, 1, v29
	v_cndmask_b32_e64 v4, 0, 1, vcc
	v_addc_co_u32_e32 v30, vcc, 0, v30, vcc
	v_cmp_eq_u32_e32 vcc, 0, v30
	v_cndmask_b32_e32 v4, 0, v4, vcc
	v_add_u32_e32 v40, v4, v40
	v_cmp_eq_u32_e32 vcc, 0, v40
	v_cndmask_b32_e32 v4, 0, v4, vcc
	v_add_u32_e32 v41, v4, v41
	v_mad_u64_u32 v[4:5], s[0:1], v29, s60, 0
	v_mad_u64_u32 v[6:7], s[0:1], v40, s61, 0
	v_xor_b32_e32 v5, v5, v13
	v_xor_b32_e32 v7, v7, v12
	v_xor_b32_e32 v5, v41, v5
	v_xor_b32_e32 v7, v30, v7
	v_mad_u64_u32 v[10:11], s[0:1], v5, s61, 0
	v_mad_u64_u32 v[8:9], s[0:1], v7, s60, 0
	v_xor_b32_e32 v5, v28, v11
	v_xor_b32_e32 v5, v5, v6
	v_xor_b32_e32 v6, v31, v9
	v_xor_b32_e32 v6, v6, v4
	;; [unrolled: 6-line block ×10, first 2 shown]
	v_mov_b32_e32 v5, v10
	v_mov_b32_e32 v6, v11
	v_cmp_lt_i32_e32 vcc, 1, v18
	s_and_saveexec_b64 s[0:1], vcc
	s_xor_b64 s[0:1], exec, s[0:1]
	s_cbranch_execz .LBB126_15
; %bb.10:                               ;   in Loop: Header=BB126_9 Depth=1
	v_cmp_lt_i32_e32 vcc, 2, v18
	s_and_saveexec_b64 s[2:3], vcc
	s_xor_b64 s[2:3], exec, s[2:3]
; %bb.11:                               ;   in Loop: Header=BB126_9 Depth=1
	v_mov_b32_e32 v8, v3
	v_mov_b32_e32 v9, v4
	v_pk_mov_b32 v[0:1], v[8:9], v[8:9] op_sel:[0,1]
	v_pk_mov_b32 v[2:3], v[10:11], v[10:11] op_sel:[0,1]
                                        ; implicit-def: $vgpr10_vgpr11
; %bb.12:                               ;   in Loop: Header=BB126_9 Depth=1
	s_andn2_saveexec_b64 s[2:3], s[2:3]
; %bb.13:                               ;   in Loop: Header=BB126_9 Depth=1
	v_mov_b32_e32 v0, v2
	v_mov_b32_e32 v1, v3
	;; [unrolled: 1-line block ×4, first 2 shown]
; %bb.14:                               ;   in Loop: Header=BB126_9 Depth=1
	s_or_b64 exec, exec, s[2:3]
.LBB126_15:                             ;   in Loop: Header=BB126_9 Depth=1
	s_andn2_saveexec_b64 s[0:1], s[0:1]
	s_cbranch_execz .LBB126_19
; %bb.16:                               ;   in Loop: Header=BB126_9 Depth=1
	v_cmp_eq_u32_e32 vcc, 1, v18
	s_and_saveexec_b64 s[2:3], vcc
; %bb.17:                               ;   in Loop: Header=BB126_9 Depth=1
	v_mov_b32_e32 v0, v1
	v_mov_b32_e32 v1, v2
	;; [unrolled: 1-line block ×4, first 2 shown]
; %bb.18:                               ;   in Loop: Header=BB126_9 Depth=1
	s_or_b64 exec, exec, s[2:3]
.LBB126_19:                             ;   in Loop: Header=BB126_9 Depth=1
	s_or_b64 exec, exec, s[0:1]
	v_cndmask_b32_e64 v7, 0, 1, s[40:41]
	v_cmp_gt_i64_e32 vcc, s[24:25], v[14:15]
	v_cmp_ne_u32_e64 s[0:1], 1, v7
	s_and_saveexec_b64 s[2:3], vcc
	s_cbranch_execz .LBB126_35
; %bb.20:                               ;   in Loop: Header=BB126_9 Depth=1
	s_and_b64 vcc, exec, s[0:1]
	s_cbranch_vccnz .LBB126_26
; %bb.21:                               ;   in Loop: Header=BB126_9 Depth=1
	s_andn2_b64 vcc, exec, s[42:43]
	s_cbranch_vccnz .LBB126_27
; %bb.22:                               ;   in Loop: Header=BB126_9 Depth=1
	s_mov_b32 s6, 0
	s_andn2_b64 vcc, exec, s[30:31]
	v_mov_b32_e32 v8, 0
	s_cbranch_vccnz .LBB126_28
; %bb.23:                               ;   in Loop: Header=BB126_9 Depth=1
	s_mov_b32 s62, 0
	v_mov_b32_e32 v8, 0
	s_mov_b64 s[54:55], s[34:35]
	s_mov_b64 s[56:57], s[44:45]
	v_mov_b32_e32 v7, v14
.LBB126_24:                             ;   Parent Loop BB126_9 Depth=1
                                        ; =>  This Inner Loop Header: Depth=2
	s_load_dwordx8 s[16:23], s[54:55], 0x4
	s_load_dwordx4 s[4:7], s[54:55], 0x24
	s_load_dwordx4 s[36:39], s[56:57], 0x0
	s_add_u32 s54, s54, 48
	s_addc_u32 s55, s55, 0
	s_waitcnt lgkmcnt(0)
	v_mul_hi_u32 v9, s17, v7
	v_add_u32_e32 v9, v7, v9
	v_lshrrev_b32_e32 v9, s18, v9
	v_mul_lo_u32 v10, v9, s16
	v_mul_hi_u32 v11, s20, v9
	v_sub_u32_e32 v7, v7, v10
	v_add_u32_e32 v10, v9, v11
	v_lshrrev_b32_e32 v10, s21, v10
	v_mul_lo_u32 v11, v10, s19
	v_mul_hi_u32 v17, s23, v10
	v_sub_u32_e32 v9, v9, v11
	v_add_u32_e32 v11, v10, v17
	v_mul_lo_u32 v7, v7, s36
	v_mul_lo_u32 v9, v9, s37
	v_lshrrev_b32_e32 v11, s4, v11
	v_add3_u32 v8, v7, v8, v9
	v_mul_lo_u32 v7, v11, s22
	v_mul_hi_u32 v9, s6, v11
	v_sub_u32_e32 v7, v10, v7
	v_add_u32_e32 v9, v11, v9
	v_mul_lo_u32 v10, v7, s38
	v_lshrrev_b32_e32 v7, s7, v9
	s_add_i32 s62, s62, 4
	v_mul_lo_u32 v9, v7, s5
	s_add_u32 s56, s56, 16
	v_sub_u32_e32 v9, v11, v9
	s_addc_u32 s57, s57, 0
	v_mul_lo_u32 v9, v9, s39
	s_cmp_lg_u32 s15, s62
	v_add3_u32 v8, v10, v8, v9
	s_cbranch_scc1 .LBB126_24
; %bb.25:                               ;   in Loop: Header=BB126_9 Depth=1
	s_mov_b32 s6, s15
	s_andn2_b64 vcc, exec, s[52:53]
	s_cbranch_vccz .LBB126_29
	s_branch .LBB126_31
.LBB126_26:                             ;   in Loop: Header=BB126_9 Depth=1
                                        ; implicit-def: $vgpr8
	s_branch .LBB126_32
.LBB126_27:                             ;   in Loop: Header=BB126_9 Depth=1
	v_mov_b32_e32 v8, 0
	s_branch .LBB126_31
.LBB126_28:                             ;   in Loop: Header=BB126_9 Depth=1
	v_mov_b32_e32 v7, v14
	s_andn2_b64 vcc, exec, s[52:53]
	s_cbranch_vccnz .LBB126_31
.LBB126_29:                             ;   in Loop: Header=BB126_9 Depth=1
	s_lshl_b32 s4, s6, 2
	s_add_u32 s4, s44, s4
	s_addc_u32 s5, s45, 0
	s_mul_i32 s6, s6, 12
	s_add_u32 s6, s34, s6
	s_addc_u32 s7, s35, 0
	s_mov_b32 s16, s13
.LBB126_30:                             ;   Parent Loop BB126_9 Depth=1
                                        ; =>  This Inner Loop Header: Depth=2
	s_load_dwordx2 s[18:19], s[6:7], 0x4
	s_load_dword s17, s[6:7], 0xc
	s_load_dword s20, s[4:5], 0x0
	s_add_u32 s6, s6, 12
	s_addc_u32 s7, s7, 0
	s_waitcnt lgkmcnt(0)
	v_mul_hi_u32 v9, s19, v7
	v_add_u32_e32 v9, v7, v9
	v_lshrrev_b32_e32 v9, s17, v9
	s_add_u32 s4, s4, 4
	v_mul_lo_u32 v10, v9, s18
	s_addc_u32 s5, s5, 0
	s_add_i32 s16, s16, -1
	v_sub_u32_e32 v10, v7, v10
	s_cmp_lg_u32 s16, 0
	v_mov_b32_e32 v7, v9
	v_mad_u64_u32 v[8:9], s[18:19], v10, s20, v[8:9]
	s_cbranch_scc1 .LBB126_30
.LBB126_31:                             ;   in Loop: Header=BB126_9 Depth=1
	s_cbranch_execnz .LBB126_34
.LBB126_32:                             ;   in Loop: Header=BB126_9 Depth=1
	v_mul_hi_u32 v7, v14, s10
	v_add_u32_e32 v7, v7, v14
	v_lshrrev_b32_e32 v7, s11, v7
	v_mul_lo_u32 v8, v7, s9
	v_sub_u32_e32 v8, v14, v8
	s_andn2_b64 vcc, exec, s[48:49]
	v_mul_lo_u32 v8, v8, s46
	s_cbranch_vccnz .LBB126_34
; %bb.33:                               ;   in Loop: Header=BB126_9 Depth=1
	v_mul_hi_u32 v9, s8, v7
	v_add_u32_e32 v9, v7, v9
	v_lshrrev_b32_e32 v9, s14, v9
	v_mul_lo_u32 v9, v9, s12
	v_sub_u32_e32 v7, v7, v9
	v_mad_u64_u32 v[8:9], s[4:5], v7, s47, v[8:9]
.LBB126_34:                             ;   in Loop: Header=BB126_9 Depth=1
	v_lshrrev_b32_e32 v1, 11, v1
	v_cvt_f64_u32_e32 v[10:11], v1
	v_ldexp_f64 v[10:11], v[10:11], 32
	v_cvt_f64_u32_e32 v[0:1], v0
	v_add_f64 v[0:1], v[10:11], v[0:1]
	v_mov_b32_e32 v10, 0
	v_mov_b32_e32 v11, 0x3ca00000
	v_fmac_f64_e32 v[10:11], 0x3ca00000, v[0:1]
	v_cvt_f32_f64_e32 v0, v[10:11]
	v_cmp_gt_f32_e32 vcc, v39, v0
	v_cndmask_b32_e64 v0, 0, 1, vcc
	global_store_byte v8, v0, s[28:29]
.LBB126_35:                             ;   in Loop: Header=BB126_9 Depth=1
	s_or_b64 exec, exec, s[2:3]
	v_mov_b32_e32 v1, s59
	v_add_co_u32_e32 v0, vcc, s33, v14
	v_addc_co_u32_e32 v1, vcc, v15, v1, vcc
	v_cmp_gt_i64_e32 vcc, s[24:25], v[0:1]
	s_and_saveexec_b64 s[36:37], vcc
	s_cbranch_execz .LBB126_8
; %bb.36:                               ;   in Loop: Header=BB126_9 Depth=1
	s_and_b64 vcc, exec, s[0:1]
	s_cbranch_vccnz .LBB126_42
; %bb.37:                               ;   in Loop: Header=BB126_9 Depth=1
	s_andn2_b64 vcc, exec, s[42:43]
	s_cbranch_vccnz .LBB126_43
; %bb.38:                               ;   in Loop: Header=BB126_9 Depth=1
	s_mov_b32 s2, 0
	s_andn2_b64 vcc, exec, s[30:31]
	v_mov_b32_e32 v8, 0
	s_cbranch_vccnz .LBB126_44
; %bb.39:                               ;   in Loop: Header=BB126_9 Depth=1
	s_mov_b32 s56, 0
	v_mov_b32_e32 v8, 0
	s_mov_b64 s[38:39], s[34:35]
	s_mov_b64 s[54:55], s[44:45]
	v_mov_b32_e32 v1, v0
.LBB126_40:                             ;   Parent Loop BB126_9 Depth=1
                                        ; =>  This Inner Loop Header: Depth=2
	s_load_dwordx8 s[0:7], s[38:39], 0x4
	s_load_dwordx4 s[16:19], s[38:39], 0x24
	s_load_dwordx4 s[20:23], s[54:55], 0x0
	s_add_u32 s38, s38, 48
	s_addc_u32 s39, s39, 0
	s_waitcnt lgkmcnt(0)
	v_mul_hi_u32 v7, s1, v1
	v_add_u32_e32 v7, v1, v7
	v_lshrrev_b32_e32 v7, s2, v7
	v_mul_lo_u32 v9, v7, s0
	v_mul_hi_u32 v10, s4, v7
	v_sub_u32_e32 v1, v1, v9
	v_add_u32_e32 v9, v7, v10
	v_lshrrev_b32_e32 v9, s5, v9
	v_mul_lo_u32 v10, v9, s3
	v_mul_hi_u32 v11, s7, v9
	v_sub_u32_e32 v7, v7, v10
	v_add_u32_e32 v10, v9, v11
	v_mul_lo_u32 v1, v1, s20
	v_mul_lo_u32 v7, v7, s21
	v_lshrrev_b32_e32 v10, s16, v10
	v_add3_u32 v7, v1, v8, v7
	v_mul_lo_u32 v1, v10, s6
	v_mul_hi_u32 v8, s18, v10
	v_sub_u32_e32 v1, v9, v1
	v_add_u32_e32 v8, v10, v8
	v_mul_lo_u32 v9, v1, s22
	v_lshrrev_b32_e32 v1, s19, v8
	s_add_i32 s56, s56, 4
	v_mul_lo_u32 v8, v1, s17
	s_add_u32 s54, s54, 16
	v_sub_u32_e32 v8, v10, v8
	s_addc_u32 s55, s55, 0
	v_mul_lo_u32 v8, v8, s23
	s_cmp_eq_u32 s15, s56
	v_add3_u32 v8, v9, v7, v8
	s_cbranch_scc0 .LBB126_40
; %bb.41:                               ;   in Loop: Header=BB126_9 Depth=1
	s_mov_b32 s2, s15
	s_andn2_b64 vcc, exec, s[52:53]
	s_cbranch_vccz .LBB126_45
	s_branch .LBB126_47
.LBB126_42:                             ;   in Loop: Header=BB126_9 Depth=1
                                        ; implicit-def: $vgpr8
	s_branch .LBB126_48
.LBB126_43:                             ;   in Loop: Header=BB126_9 Depth=1
	v_mov_b32_e32 v8, 0
	s_branch .LBB126_47
.LBB126_44:                             ;   in Loop: Header=BB126_9 Depth=1
	v_mov_b32_e32 v1, v0
	s_andn2_b64 vcc, exec, s[52:53]
	s_cbranch_vccnz .LBB126_47
.LBB126_45:                             ;   in Loop: Header=BB126_9 Depth=1
	s_lshl_b32 s0, s2, 2
	s_add_u32 s0, s44, s0
	s_addc_u32 s1, s45, 0
	s_mul_i32 s2, s2, 12
	s_add_u32 s2, s34, s2
	s_addc_u32 s3, s35, 0
	s_mov_b32 s4, s13
.LBB126_46:                             ;   Parent Loop BB126_9 Depth=1
                                        ; =>  This Inner Loop Header: Depth=2
	s_load_dwordx2 s[6:7], s[2:3], 0x4
	s_load_dword s5, s[2:3], 0xc
	s_load_dword s16, s[0:1], 0x0
	s_add_u32 s2, s2, 12
	s_addc_u32 s3, s3, 0
	s_waitcnt lgkmcnt(0)
	v_mul_hi_u32 v7, s7, v1
	v_add_u32_e32 v7, v1, v7
	v_lshrrev_b32_e32 v7, s5, v7
	s_add_u32 s0, s0, 4
	v_mul_lo_u32 v9, v7, s6
	s_addc_u32 s1, s1, 0
	s_add_i32 s4, s4, -1
	v_sub_u32_e32 v9, v1, v9
	s_cmp_lg_u32 s4, 0
	v_mov_b32_e32 v1, v7
	v_mad_u64_u32 v[8:9], s[6:7], v9, s16, v[8:9]
	s_cbranch_scc1 .LBB126_46
.LBB126_47:                             ;   in Loop: Header=BB126_9 Depth=1
	s_cbranch_execnz .LBB126_7
.LBB126_48:                             ;   in Loop: Header=BB126_9 Depth=1
	v_mul_hi_u32 v1, v0, s10
	v_add_u32_e32 v1, v1, v0
	v_lshrrev_b32_e32 v1, s11, v1
	v_mul_lo_u32 v7, v1, s9
	v_sub_u32_e32 v0, v0, v7
	s_andn2_b64 vcc, exec, s[48:49]
	v_mul_lo_u32 v8, v0, s46
	s_cbranch_vccnz .LBB126_7
; %bb.49:                               ;   in Loop: Header=BB126_9 Depth=1
	v_mul_hi_u32 v0, s8, v1
	v_add_u32_e32 v0, v1, v0
	v_lshrrev_b32_e32 v0, s14, v0
	v_mul_lo_u32 v0, v0, s12
	v_sub_u32_e32 v0, v1, v0
	v_mad_u64_u32 v[8:9], s[0:1], v0, s47, v[8:9]
	s_branch .LBB126_7
.LBB126_50:
	s_endpgm
.LBB126_51:
                                        ; implicit-def: $sgpr2_sgpr3
	s_andn2_b64 vcc, exec, s[0:1]
	s_cbranch_vccz .LBB126_4
	s_branch .LBB126_5
	.section	.rodata,"a",@progbits
	.p2align	6, 0x0
	.amdhsa_kernel _ZN2at6native12_GLOBAL__N_143distribution_elementwise_grid_stride_kernelIfLi4EZNS0_9templates4cuda21uniform_and_transformIafPNS_17CUDAGeneratorImplEZZZNS4_16bernoulli_kernelIS7_EEvRNS_18TensorIteratorBaseEdT_ENKUlvE_clEvENKUlvE0_clEvEUlfE_EEvSA_T1_T2_EUlP25hiprandStatePhilox4_32_10E_ZNS1_27distribution_nullary_kernelIaf15HIP_vector_typeIdLj2EES7_SJ_SE_EEvSA_SG_RKT3_T4_EUlifE0_EEvlNS_15PhiloxCudaStateESF_SG_
		.amdhsa_group_segment_fixed_size 0
		.amdhsa_private_segment_fixed_size 0
		.amdhsa_kernarg_size 584
		.amdhsa_user_sgpr_count 6
		.amdhsa_user_sgpr_private_segment_buffer 1
		.amdhsa_user_sgpr_dispatch_ptr 0
		.amdhsa_user_sgpr_queue_ptr 0
		.amdhsa_user_sgpr_kernarg_segment_ptr 1
		.amdhsa_user_sgpr_dispatch_id 0
		.amdhsa_user_sgpr_flat_scratch_init 0
		.amdhsa_user_sgpr_kernarg_preload_length 0
		.amdhsa_user_sgpr_kernarg_preload_offset 0
		.amdhsa_user_sgpr_private_segment_size 0
		.amdhsa_uses_dynamic_stack 0
		.amdhsa_system_sgpr_private_segment_wavefront_offset 0
		.amdhsa_system_sgpr_workgroup_id_x 1
		.amdhsa_system_sgpr_workgroup_id_y 0
		.amdhsa_system_sgpr_workgroup_id_z 0
		.amdhsa_system_sgpr_workgroup_info 0
		.amdhsa_system_vgpr_workitem_id 0
		.amdhsa_next_free_vgpr 42
		.amdhsa_next_free_sgpr 63
		.amdhsa_accum_offset 44
		.amdhsa_reserve_vcc 1
		.amdhsa_reserve_flat_scratch 0
		.amdhsa_float_round_mode_32 0
		.amdhsa_float_round_mode_16_64 0
		.amdhsa_float_denorm_mode_32 3
		.amdhsa_float_denorm_mode_16_64 3
		.amdhsa_dx10_clamp 1
		.amdhsa_ieee_mode 1
		.amdhsa_fp16_overflow 0
		.amdhsa_tg_split 0
		.amdhsa_exception_fp_ieee_invalid_op 0
		.amdhsa_exception_fp_denorm_src 0
		.amdhsa_exception_fp_ieee_div_zero 0
		.amdhsa_exception_fp_ieee_overflow 0
		.amdhsa_exception_fp_ieee_underflow 0
		.amdhsa_exception_fp_ieee_inexact 0
		.amdhsa_exception_int_div_zero 0
	.end_amdhsa_kernel
	.section	.text._ZN2at6native12_GLOBAL__N_143distribution_elementwise_grid_stride_kernelIfLi4EZNS0_9templates4cuda21uniform_and_transformIafPNS_17CUDAGeneratorImplEZZZNS4_16bernoulli_kernelIS7_EEvRNS_18TensorIteratorBaseEdT_ENKUlvE_clEvENKUlvE0_clEvEUlfE_EEvSA_T1_T2_EUlP25hiprandStatePhilox4_32_10E_ZNS1_27distribution_nullary_kernelIaf15HIP_vector_typeIdLj2EES7_SJ_SE_EEvSA_SG_RKT3_T4_EUlifE0_EEvlNS_15PhiloxCudaStateESF_SG_,"axG",@progbits,_ZN2at6native12_GLOBAL__N_143distribution_elementwise_grid_stride_kernelIfLi4EZNS0_9templates4cuda21uniform_and_transformIafPNS_17CUDAGeneratorImplEZZZNS4_16bernoulli_kernelIS7_EEvRNS_18TensorIteratorBaseEdT_ENKUlvE_clEvENKUlvE0_clEvEUlfE_EEvSA_T1_T2_EUlP25hiprandStatePhilox4_32_10E_ZNS1_27distribution_nullary_kernelIaf15HIP_vector_typeIdLj2EES7_SJ_SE_EEvSA_SG_RKT3_T4_EUlifE0_EEvlNS_15PhiloxCudaStateESF_SG_,comdat
.Lfunc_end126:
	.size	_ZN2at6native12_GLOBAL__N_143distribution_elementwise_grid_stride_kernelIfLi4EZNS0_9templates4cuda21uniform_and_transformIafPNS_17CUDAGeneratorImplEZZZNS4_16bernoulli_kernelIS7_EEvRNS_18TensorIteratorBaseEdT_ENKUlvE_clEvENKUlvE0_clEvEUlfE_EEvSA_T1_T2_EUlP25hiprandStatePhilox4_32_10E_ZNS1_27distribution_nullary_kernelIaf15HIP_vector_typeIdLj2EES7_SJ_SE_EEvSA_SG_RKT3_T4_EUlifE0_EEvlNS_15PhiloxCudaStateESF_SG_, .Lfunc_end126-_ZN2at6native12_GLOBAL__N_143distribution_elementwise_grid_stride_kernelIfLi4EZNS0_9templates4cuda21uniform_and_transformIafPNS_17CUDAGeneratorImplEZZZNS4_16bernoulli_kernelIS7_EEvRNS_18TensorIteratorBaseEdT_ENKUlvE_clEvENKUlvE0_clEvEUlfE_EEvSA_T1_T2_EUlP25hiprandStatePhilox4_32_10E_ZNS1_27distribution_nullary_kernelIaf15HIP_vector_typeIdLj2EES7_SJ_SE_EEvSA_SG_RKT3_T4_EUlifE0_EEvlNS_15PhiloxCudaStateESF_SG_
                                        ; -- End function
	.section	.AMDGPU.csdata,"",@progbits
; Kernel info:
; codeLenInByte = 3312
; NumSgprs: 67
; NumVgprs: 42
; NumAgprs: 0
; TotalNumVgprs: 42
; ScratchSize: 0
; MemoryBound: 0
; FloatMode: 240
; IeeeMode: 1
; LDSByteSize: 0 bytes/workgroup (compile time only)
; SGPRBlocks: 8
; VGPRBlocks: 5
; NumSGPRsForWavesPerEU: 67
; NumVGPRsForWavesPerEU: 42
; AccumOffset: 44
; Occupancy: 8
; WaveLimiterHint : 1
; COMPUTE_PGM_RSRC2:SCRATCH_EN: 0
; COMPUTE_PGM_RSRC2:USER_SGPR: 6
; COMPUTE_PGM_RSRC2:TRAP_HANDLER: 0
; COMPUTE_PGM_RSRC2:TGID_X_EN: 1
; COMPUTE_PGM_RSRC2:TGID_Y_EN: 0
; COMPUTE_PGM_RSRC2:TGID_Z_EN: 0
; COMPUTE_PGM_RSRC2:TIDIG_COMP_CNT: 0
; COMPUTE_PGM_RSRC3_GFX90A:ACCUM_OFFSET: 10
; COMPUTE_PGM_RSRC3_GFX90A:TG_SPLIT: 0
	.section	.text._ZN2at6native12_GLOBAL__N_143distribution_elementwise_grid_stride_kernelIfLi4EZNS0_9templates4cuda21uniform_and_transformIafPNS_17CUDAGeneratorImplEZZZNS4_16bernoulli_kernelIS7_EEvRNS_18TensorIteratorBaseEdT_ENKUlvE_clEvENKUlvE0_clEvEUlfE_EEvSA_T1_T2_EUlP25hiprandStatePhilox4_32_10E0_ZNS1_27distribution_nullary_kernelIaf15HIP_vector_typeIfLj4EES7_SJ_SE_EEvSA_SG_RKT3_T4_EUlifE_EEvlNS_15PhiloxCudaStateESF_SG_,"axG",@progbits,_ZN2at6native12_GLOBAL__N_143distribution_elementwise_grid_stride_kernelIfLi4EZNS0_9templates4cuda21uniform_and_transformIafPNS_17CUDAGeneratorImplEZZZNS4_16bernoulli_kernelIS7_EEvRNS_18TensorIteratorBaseEdT_ENKUlvE_clEvENKUlvE0_clEvEUlfE_EEvSA_T1_T2_EUlP25hiprandStatePhilox4_32_10E0_ZNS1_27distribution_nullary_kernelIaf15HIP_vector_typeIfLj4EES7_SJ_SE_EEvSA_SG_RKT3_T4_EUlifE_EEvlNS_15PhiloxCudaStateESF_SG_,comdat
	.globl	_ZN2at6native12_GLOBAL__N_143distribution_elementwise_grid_stride_kernelIfLi4EZNS0_9templates4cuda21uniform_and_transformIafPNS_17CUDAGeneratorImplEZZZNS4_16bernoulli_kernelIS7_EEvRNS_18TensorIteratorBaseEdT_ENKUlvE_clEvENKUlvE0_clEvEUlfE_EEvSA_T1_T2_EUlP25hiprandStatePhilox4_32_10E0_ZNS1_27distribution_nullary_kernelIaf15HIP_vector_typeIfLj4EES7_SJ_SE_EEvSA_SG_RKT3_T4_EUlifE_EEvlNS_15PhiloxCudaStateESF_SG_ ; -- Begin function _ZN2at6native12_GLOBAL__N_143distribution_elementwise_grid_stride_kernelIfLi4EZNS0_9templates4cuda21uniform_and_transformIafPNS_17CUDAGeneratorImplEZZZNS4_16bernoulli_kernelIS7_EEvRNS_18TensorIteratorBaseEdT_ENKUlvE_clEvENKUlvE0_clEvEUlfE_EEvSA_T1_T2_EUlP25hiprandStatePhilox4_32_10E0_ZNS1_27distribution_nullary_kernelIaf15HIP_vector_typeIfLj4EES7_SJ_SE_EEvSA_SG_RKT3_T4_EUlifE_EEvlNS_15PhiloxCudaStateESF_SG_
	.p2align	8
	.type	_ZN2at6native12_GLOBAL__N_143distribution_elementwise_grid_stride_kernelIfLi4EZNS0_9templates4cuda21uniform_and_transformIafPNS_17CUDAGeneratorImplEZZZNS4_16bernoulli_kernelIS7_EEvRNS_18TensorIteratorBaseEdT_ENKUlvE_clEvENKUlvE0_clEvEUlfE_EEvSA_T1_T2_EUlP25hiprandStatePhilox4_32_10E0_ZNS1_27distribution_nullary_kernelIaf15HIP_vector_typeIfLj4EES7_SJ_SE_EEvSA_SG_RKT3_T4_EUlifE_EEvlNS_15PhiloxCudaStateESF_SG_,@function
_ZN2at6native12_GLOBAL__N_143distribution_elementwise_grid_stride_kernelIfLi4EZNS0_9templates4cuda21uniform_and_transformIafPNS_17CUDAGeneratorImplEZZZNS4_16bernoulli_kernelIS7_EEvRNS_18TensorIteratorBaseEdT_ENKUlvE_clEvENKUlvE0_clEvEUlfE_EEvSA_T1_T2_EUlP25hiprandStatePhilox4_32_10E0_ZNS1_27distribution_nullary_kernelIaf15HIP_vector_typeIfLj4EES7_SJ_SE_EEvSA_SG_RKT3_T4_EUlifE_EEvlNS_15PhiloxCudaStateESF_SG_: ; @_ZN2at6native12_GLOBAL__N_143distribution_elementwise_grid_stride_kernelIfLi4EZNS0_9templates4cuda21uniform_and_transformIafPNS_17CUDAGeneratorImplEZZZNS4_16bernoulli_kernelIS7_EEvRNS_18TensorIteratorBaseEdT_ENKUlvE_clEvENKUlvE0_clEvEUlfE_EEvSA_T1_T2_EUlP25hiprandStatePhilox4_32_10E0_ZNS1_27distribution_nullary_kernelIaf15HIP_vector_typeIfLj4EES7_SJ_SE_EEvSA_SG_RKT3_T4_EUlifE_EEvlNS_15PhiloxCudaStateESF_SG_
; %bb.0:
	s_load_dword s7, s[4:5], 0x20
	s_load_dwordx2 s[10:11], s[4:5], 0x10
	s_load_dwordx4 s[0:3], s[4:5], 0x0
	s_mov_b32 s8, 0
	s_waitcnt lgkmcnt(0)
	s_bitcmp0_b32 s7, 0
	v_pk_mov_b32 v[2:3], s[10:11], s[10:11] op_sel:[0,1]
	v_pk_mov_b32 v[14:15], s[2:3], s[2:3] op_sel:[0,1]
	s_cbranch_scc1 .LBB127_2
; %bb.1:
	v_pk_mov_b32 v[2:3], s[10:11], s[10:11] op_sel:[0,1]
	flat_load_dwordx2 v[2:3], v[2:3]
	v_pk_mov_b32 v[4:5], s[2:3], s[2:3] op_sel:[0,1]
	flat_load_dwordx2 v[14:15], v[4:5]
	s_load_dwordx2 s[2:3], s[4:5], 0x18
	s_waitcnt lgkmcnt(0)
	v_mov_b32_e32 v1, s3
	s_waitcnt vmcnt(0)
	v_add_co_u32_e32 v2, vcc, s2, v2
	v_addc_co_u32_e32 v3, vcc, v3, v1, vcc
.LBB127_2:
	s_load_dword s2, s[4:5], 0x54
	s_load_dword s17, s[4:5], 0x48
	s_waitcnt lgkmcnt(0)
	s_and_b32 s7, s2, 0xffff
	s_add_u32 s10, s0, -1
	s_mul_i32 s12, s17, s7
	s_addc_u32 s9, s1, -1
	s_lshl_b32 s13, s12, 2
	s_cmp_lg_u64 s[8:9], 0
	s_mov_b64 s[2:3], -1
	s_cbranch_scc0 .LBB127_27
; %bb.3:
	v_cvt_f32_u32_e32 v1, s13
	v_cvt_f32_ubyte0_e32 v4, 0
	s_sub_u32 s8, 0, s13
	s_subb_u32 s11, 0, 0
	v_madmk_f32 v1, v4, 0x4f800000, v1
	v_rcp_f32_e32 v1, v1
	v_mul_f32_e32 v1, 0x5f7ffffc, v1
	v_mul_f32_e32 v4, 0x2f800000, v1
	v_trunc_f32_e32 v4, v4
	v_madmk_f32 v1, v4, 0xcf800000, v1
	v_cvt_u32_f32_e32 v4, v4
	v_cvt_u32_f32_e32 v1, v1
	v_readfirstlane_b32 s14, v4
	v_readfirstlane_b32 s15, v1
	s_mul_i32 s16, s8, s14
	s_mul_hi_u32 s19, s8, s15
	s_mul_i32 s18, s11, s15
	s_add_i32 s16, s19, s16
	s_add_i32 s16, s16, s18
	s_mul_i32 s20, s8, s15
	s_mul_hi_u32 s18, s15, s16
	s_mul_i32 s19, s15, s16
	s_mul_hi_u32 s15, s15, s20
	s_add_u32 s15, s15, s19
	s_addc_u32 s18, 0, s18
	s_mul_hi_u32 s21, s14, s20
	s_mul_i32 s20, s14, s20
	s_add_u32 s15, s15, s20
	s_mul_hi_u32 s19, s14, s16
	s_addc_u32 s15, s18, s21
	s_addc_u32 s18, s19, 0
	s_mul_i32 s16, s14, s16
	s_add_u32 s15, s15, s16
	s_addc_u32 s16, 0, s18
	v_add_co_u32_e32 v1, vcc, s15, v1
	s_cmp_lg_u64 vcc, 0
	s_addc_u32 s14, s14, s16
	v_readfirstlane_b32 s16, v1
	s_mul_i32 s15, s8, s14
	s_mul_hi_u32 s18, s8, s16
	s_add_i32 s15, s18, s15
	s_mul_i32 s11, s11, s16
	s_add_i32 s15, s15, s11
	s_mul_i32 s8, s8, s16
	s_mul_hi_u32 s18, s14, s8
	s_mul_i32 s19, s14, s8
	s_mul_i32 s21, s16, s15
	s_mul_hi_u32 s8, s16, s8
	s_mul_hi_u32 s20, s16, s15
	s_add_u32 s8, s8, s21
	s_addc_u32 s16, 0, s20
	s_add_u32 s8, s8, s19
	s_mul_hi_u32 s11, s14, s15
	s_addc_u32 s8, s16, s18
	s_addc_u32 s11, s11, 0
	s_mul_i32 s15, s14, s15
	s_add_u32 s8, s8, s15
	s_addc_u32 s11, 0, s11
	v_add_co_u32_e32 v1, vcc, s8, v1
	s_cmp_lg_u64 vcc, 0
	s_addc_u32 s11, s14, s11
	s_ashr_i32 s14, s9, 31
	s_add_u32 s8, s10, s14
	s_mov_b32 s15, s14
	s_addc_u32 s9, s9, s14
	s_xor_b64 s[8:9], s[8:9], s[14:15]
	v_readfirstlane_b32 s19, v1
	s_mul_i32 s18, s8, s11
	s_mul_hi_u32 s20, s8, s19
	s_mul_hi_u32 s16, s8, s11
	s_add_u32 s18, s20, s18
	s_addc_u32 s16, 0, s16
	s_mul_hi_u32 s21, s9, s19
	s_mul_i32 s19, s9, s19
	s_add_u32 s18, s18, s19
	s_mul_hi_u32 s20, s9, s11
	s_addc_u32 s16, s16, s21
	s_addc_u32 s18, s20, 0
	s_mul_i32 s11, s9, s11
	s_add_u32 s11, s16, s11
	s_addc_u32 s16, 0, s18
	s_add_u32 s18, s11, 1
	s_addc_u32 s19, s16, 0
	s_add_u32 s20, s11, 2
	s_mul_i32 s22, s13, s16
	s_mul_hi_u32 s23, s13, s11
	s_addc_u32 s21, s16, 0
	s_add_i32 s23, s23, s22
	s_mul_i32 s22, s13, s11
	v_mov_b32_e32 v1, s22
	v_sub_co_u32_e32 v1, vcc, s8, v1
	s_cmp_lg_u64 vcc, 0
	s_subb_u32 s8, s9, s23
	v_subrev_co_u32_e32 v4, vcc, s13, v1
	s_cmp_lg_u64 vcc, 0
	s_subb_u32 s9, s8, 0
	v_readfirstlane_b32 s22, v4
	s_cmp_ge_u32 s22, s13
	s_cselect_b32 s22, -1, 0
	s_cmp_eq_u32 s9, 0
	s_cselect_b32 s9, s22, -1
	s_cmp_lg_u32 s9, 0
	s_cselect_b32 s9, s21, s19
	v_readfirstlane_b32 s19, v1
	s_cselect_b32 s18, s20, s18
	s_cmp_ge_u32 s19, s13
	s_cselect_b32 s19, -1, 0
	s_cmp_eq_u32 s8, 0
	s_cselect_b32 s8, s19, -1
	s_cmp_lg_u32 s8, 0
	s_cselect_b32 s9, s9, s16
	s_cselect_b32 s8, s18, s11
	s_xor_b64 s[8:9], s[8:9], s[14:15]
	s_sub_u32 s8, s8, s14
	s_subb_u32 s9, s9, s14
	s_cbranch_execnz .LBB127_5
.LBB127_4:
	v_cvt_f32_u32_e32 v1, s13
	s_sub_i32 s2, 0, s13
	s_mov_b32 s9, 0
	v_rcp_iflag_f32_e32 v1, v1
	v_mul_f32_e32 v1, 0x4f7ffffe, v1
	v_cvt_u32_f32_e32 v1, v1
	v_readfirstlane_b32 s3, v1
	s_mul_i32 s2, s2, s3
	s_mul_hi_u32 s2, s3, s2
	s_add_i32 s3, s3, s2
	s_mul_hi_u32 s2, s10, s3
	s_mul_i32 s8, s2, s13
	s_sub_i32 s8, s10, s8
	s_add_i32 s3, s2, 1
	s_sub_i32 s10, s8, s13
	s_cmp_ge_u32 s8, s13
	s_cselect_b32 s2, s3, s2
	s_cselect_b32 s8, s10, s8
	s_add_i32 s3, s2, 1
	s_cmp_ge_u32 s8, s13
	s_cselect_b32 s8, s3, s2
.LBB127_5:
	v_mov_b32_e32 v1, 0
	v_mov_b32_e32 v4, s6
	v_mad_u64_u32 v[16:17], s[2:3], s7, v4, v[0:1]
	s_add_u32 s2, s8, 1
	s_addc_u32 s3, s9, 0
	s_mul_hi_u32 s8, s17, s7
	s_mul_i32 s3, s12, s3
	s_mul_hi_u32 s9, s12, s2
	s_add_i32 s3, s9, s3
	s_mul_i32 s8, s8, s2
	s_add_i32 s3, s3, s8
	s_mul_i32 s2, s12, s2
	s_lshl_b64 s[2:3], s[2:3], 2
	v_cmp_gt_i64_e32 vcc, s[2:3], v[16:17]
	s_and_saveexec_b64 s[8:9], vcc
	s_cbranch_execz .LBB127_26
; %bb.6:
	s_load_dwordx2 s[8:9], s[4:5], 0x30
	s_load_dword s23, s[4:5], 0x38
	s_load_dwordx2 s[10:11], s[4:5], 0x40
	s_mov_b32 s4, 0x5384540f
	v_mov_b32_e32 v4, v15
	v_add_co_u32_e32 v22, vcc, s4, v14
	s_mov_b32 s4, 0x646e171e
	v_add_co_u32_e32 v23, vcc, s4, v4
	s_mov_b32 s4, 0x1715609d
	;; [unrolled: 2-line block ×6, first 2 shown]
	v_alignbit_b32 v29, v3, v2, 2
	s_mov_b32 s15, 0xd2511f53
	v_add_co_u32_e32 v28, vcc, s4, v14
	v_mad_u64_u32 v[6:7], s[4:5], v29, s15, 0
	v_xor_b32_e32 v1, v7, v15
	v_xor_b32_e32 v1, v1, v17
	s_mov_b32 s16, 0xcd9e8d57
	v_mad_u64_u32 v[8:9], s[4:5], v1, s16, 0
	v_xor_b32_e32 v1, v28, v9
	v_mad_u64_u32 v[10:11], s[4:5], v16, s16, 0
	v_and_b32_e32 v18, 3, v2
	v_xor_b32_e32 v1, v1, v10
	v_xor_b32_e32 v2, v14, v11
	v_lshrrev_b32_e32 v30, 2, v3
	v_mad_u64_u32 v[12:13], s[4:5], v1, s15, 0
	v_xor_b32_e32 v2, v2, v30
	v_xor_b32_e32 v1, v27, v13
	v_mad_u64_u32 v[2:3], s[4:5], v2, s15, 0
	v_xor_b32_e32 v1, v1, v2
	v_mad_u64_u32 v[10:11], s[4:5], v1, s16, 0
	s_mov_b32 s4, 0xbb67ae85
	v_add_co_u32_e32 v31, vcc, s4, v4
	v_xor_b32_e32 v2, v31, v3
	v_xor_b32_e32 v2, v2, v6
	v_xor_b32_e32 v1, v26, v11
	v_mad_u64_u32 v[2:3], s[4:5], v2, s16, 0
	v_xor_b32_e32 v1, v1, v2
	v_mad_u64_u32 v[6:7], s[4:5], v1, s15, 0
	s_mov_b32 s4, 0x3c6ef372
	v_add_co_u32_e32 v32, vcc, s4, v14
	v_xor_b32_e32 v2, v32, v3
	;; [unrolled: 8-line block ×6, first 2 shown]
	v_add_co_u32_e32 v21, vcc, 0xdb3d7428, v4
	v_xor_b32_e32 v2, v2, v8
	v_xor_b32_e32 v1, v21, v7
	v_mad_u64_u32 v[2:3], s[4:5], v2, s15, 0
	v_xor_b32_e32 v1, v1, v2
	v_mad_u64_u32 v[8:9], s[4:5], v1, s16, 0
	s_mov_b32 s4, 0x1fd5c5a3
	v_add_co_u32_e32 v37, vcc, s4, v4
	v_xor_b32_e32 v1, v37, v3
	v_xor_b32_e32 v1, v1, v12
	v_mad_u64_u32 v[2:3], s[4:5], v1, s16, 0
	s_mov_b32 s4, 0xf1bbcdc8
	v_add_u32_e32 v19, 0x8ff34781, v14
	v_xor_b32_e32 v1, v9, v2
	v_add_co_u32_e32 v38, vcc, s4, v14
	v_xor_b32_e32 v2, v19, v1
	v_xor_b32_e32 v1, v38, v3
	;; [unrolled: 1-line block ×3, first 2 shown]
	v_mad_u64_u32 v[10:11], s[4:5], v1, s15, 0
	v_add_u32_e32 v20, 0x96a522ad, v15
	v_xor_b32_e32 v1, v11, v6
	s_mul_i32 s4, s6, s7
	v_xor_b32_e32 v4, v20, v1
	v_add_u32_e32 v1, s4, v0
	s_waitcnt lgkmcnt(0)
	s_mul_i32 s4, s17, s23
	s_mul_i32 s4, s4, s7
	s_lshl_b32 s22, s4, 2
	s_mul_i32 s4, s17, 3
	s_add_i32 s4, s6, s4
	s_mul_i32 s4, s4, s7
	v_mul_lo_u32 v40, s23, v1
	v_add_u32_e32 v1, s4, v0
	s_lshl_b32 s4, s17, 1
	s_add_i32 s4, s6, s4
	s_mul_i32 s4, s4, s7
	v_mul_lo_u32 v41, s23, v1
	v_add_u32_e32 v1, s4, v0
	s_add_i32 s4, s6, s17
	s_mul_i32 s4, s4, s7
	s_mov_b32 s14, 0
	v_add_u32_e32 v0, s4, v0
	v_mov_b32_e32 v3, v8
	v_mov_b32_e32 v5, v10
	v_cvt_f32_f64_e32 v39, s[10:11]
	s_lshl_b32 s18, s12, 1
	s_mov_b32 s19, s14
	s_mul_i32 s20, s12, 3
	s_mov_b32 s21, s14
	v_mul_lo_u32 v42, s23, v1
	v_mul_lo_u32 v43, s23, v0
	s_mov_b64 s[4:5], 0
	s_mov_b32 s17, s14
	v_mov_b32_e32 v44, v16
	v_mov_b32_e32 v45, v17
	s_branch .LBB127_8
.LBB127_7:                              ;   in Loop: Header=BB127_8 Depth=1
	s_or_b64 exec, exec, s[6:7]
	v_add_co_u32_e32 v16, vcc, s13, v16
	v_addc_co_u32_e32 v17, vcc, 0, v17, vcc
	v_mov_b32_e32 v9, v0
	s_add_i32 s17, s17, s22
	v_cmp_le_i64_e32 vcc, s[2:3], v[16:17]
	v_pk_mov_b32 v[2:3], v[6:7], v[6:7] op_sel:[0,1]
	s_or_b64 s[4:5], vcc, s[4:5]
	v_pk_mov_b32 v[4:5], v[8:9], v[8:9] op_sel:[0,1]
	s_barrier
	s_andn2_b64 exec, exec, s[4:5]
	s_cbranch_execz .LBB127_26
.LBB127_8:                              ; =>This Inner Loop Header: Depth=1
	v_add_co_u32_e32 v29, vcc, 1, v29
	v_cndmask_b32_e64 v0, 0, 1, vcc
	v_addc_co_u32_e32 v30, vcc, 0, v30, vcc
	v_cmp_eq_u32_e32 vcc, 0, v30
	v_cndmask_b32_e32 v0, 0, v0, vcc
	v_add_u32_e32 v44, v0, v44
	v_cmp_eq_u32_e32 vcc, 0, v44
	v_cndmask_b32_e32 v0, 0, v0, vcc
	v_add_u32_e32 v45, v0, v45
	v_mad_u64_u32 v[0:1], s[6:7], v29, s15, 0
	v_mad_u64_u32 v[6:7], s[6:7], v44, s16, 0
	v_xor_b32_e32 v1, v1, v15
	v_xor_b32_e32 v7, v7, v14
	v_xor_b32_e32 v1, v45, v1
	v_xor_b32_e32 v7, v30, v7
	v_mad_u64_u32 v[10:11], s[6:7], v1, s16, 0
	v_mad_u64_u32 v[8:9], s[6:7], v7, s15, 0
	v_xor_b32_e32 v1, v28, v11
	v_xor_b32_e32 v1, v1, v6
	v_xor_b32_e32 v6, v31, v9
	v_xor_b32_e32 v6, v6, v0
	;; [unrolled: 6-line block ×10, first 2 shown]
	v_mov_b32_e32 v7, v12
	v_mov_b32_e32 v8, v13
	v_cmp_lt_i32_e32 vcc, 1, v18
	s_and_saveexec_b64 s[6:7], vcc
	s_xor_b64 s[6:7], exec, s[6:7]
	s_cbranch_execnz .LBB127_18
; %bb.9:                                ;   in Loop: Header=BB127_8 Depth=1
	s_andn2_saveexec_b64 s[6:7], s[6:7]
	s_cbranch_execnz .LBB127_23
.LBB127_10:                             ;   in Loop: Header=BB127_8 Depth=1
	s_or_b64 exec, exec, s[6:7]
	v_cmp_gt_i64_e32 vcc, s[0:1], v[16:17]
	s_and_saveexec_b64 s[6:7], vcc
	s_cbranch_execz .LBB127_12
.LBB127_11:                             ;   in Loop: Header=BB127_8 Depth=1
	v_cvt_f32_u32_e32 v1, v2
	v_mov_b32_e32 v2, 0x2f800000
	v_add_u32_e32 v9, s17, v40
	v_ashrrev_i32_e32 v11, 31, v9
	v_fmac_f32_e32 v2, 0x2f800000, v1
	v_mov_b32_e32 v1, s9
	v_add_co_u32_e32 v10, vcc, s8, v9
	v_addc_co_u32_e32 v11, vcc, v1, v11, vcc
	v_cmp_lt_f32_e32 vcc, v2, v39
	v_cndmask_b32_e64 v1, 0, 1, vcc
	global_store_byte v[10:11], v1, off
.LBB127_12:                             ;   in Loop: Header=BB127_8 Depth=1
	s_or_b64 exec, exec, s[6:7]
	v_mov_b32_e32 v1, s14
	v_add_co_u32_e32 v10, vcc, s12, v16
	v_addc_co_u32_e32 v11, vcc, v1, v17, vcc
	v_cmp_gt_i64_e32 vcc, s[0:1], v[10:11]
	s_and_saveexec_b64 s[6:7], vcc
	s_cbranch_execz .LBB127_14
; %bb.13:                               ;   in Loop: Header=BB127_8 Depth=1
	v_cvt_f32_u32_e32 v1, v3
	v_mov_b32_e32 v9, 0x2f800000
	v_add_u32_e32 v2, s17, v43
	v_ashrrev_i32_e32 v3, 31, v2
	v_fmac_f32_e32 v9, 0x2f800000, v1
	v_mov_b32_e32 v1, s9
	v_add_co_u32_e32 v2, vcc, s8, v2
	v_addc_co_u32_e32 v3, vcc, v1, v3, vcc
	v_cmp_lt_f32_e32 vcc, v9, v39
	v_cndmask_b32_e64 v1, 0, 1, vcc
	global_store_byte v[2:3], v1, off
.LBB127_14:                             ;   in Loop: Header=BB127_8 Depth=1
	s_or_b64 exec, exec, s[6:7]
	v_mov_b32_e32 v1, s19
	v_add_co_u32_e32 v2, vcc, s18, v16
	v_addc_co_u32_e32 v3, vcc, v1, v17, vcc
	v_cmp_gt_i64_e32 vcc, s[0:1], v[2:3]
	s_and_saveexec_b64 s[6:7], vcc
	s_cbranch_execz .LBB127_16
; %bb.15:                               ;   in Loop: Header=BB127_8 Depth=1
	v_cvt_f32_u32_e32 v1, v4
	v_mov_b32_e32 v4, 0x2f800000
	v_add_u32_e32 v2, s17, v42
	v_ashrrev_i32_e32 v3, 31, v2
	v_fmac_f32_e32 v4, 0x2f800000, v1
	v_mov_b32_e32 v1, s9
	v_add_co_u32_e32 v2, vcc, s8, v2
	v_addc_co_u32_e32 v3, vcc, v1, v3, vcc
	v_cmp_lt_f32_e32 vcc, v4, v39
	v_cndmask_b32_e64 v1, 0, 1, vcc
	global_store_byte v[2:3], v1, off
.LBB127_16:                             ;   in Loop: Header=BB127_8 Depth=1
	s_or_b64 exec, exec, s[6:7]
	v_mov_b32_e32 v1, s21
	v_add_co_u32_e32 v2, vcc, s20, v16
	v_addc_co_u32_e32 v3, vcc, v1, v17, vcc
	v_cmp_gt_i64_e32 vcc, s[0:1], v[2:3]
	s_and_saveexec_b64 s[6:7], vcc
	s_cbranch_execz .LBB127_7
; %bb.17:                               ;   in Loop: Header=BB127_8 Depth=1
	v_cvt_f32_u32_e32 v1, v5
	v_mov_b32_e32 v4, 0x2f800000
	v_add_u32_e32 v2, s17, v41
	v_ashrrev_i32_e32 v3, 31, v2
	v_fmac_f32_e32 v4, 0x2f800000, v1
	v_mov_b32_e32 v1, s9
	v_add_co_u32_e32 v2, vcc, s8, v2
	v_addc_co_u32_e32 v3, vcc, v1, v3, vcc
	v_cmp_lt_f32_e32 vcc, v4, v39
	v_cndmask_b32_e64 v1, 0, 1, vcc
	global_store_byte v[2:3], v1, off
	s_branch .LBB127_7
.LBB127_18:                             ;   in Loop: Header=BB127_8 Depth=1
	v_cmp_lt_i32_e32 vcc, 2, v18
	s_and_saveexec_b64 s[10:11], vcc
	s_xor_b64 s[10:11], exec, s[10:11]
; %bb.19:                               ;   in Loop: Header=BB127_8 Depth=1
	v_mov_b32_e32 v10, v5
	v_mov_b32_e32 v11, v6
	v_pk_mov_b32 v[2:3], v[10:11], v[10:11] op_sel:[0,1]
	v_pk_mov_b32 v[4:5], v[12:13], v[12:13] op_sel:[0,1]
                                        ; implicit-def: $vgpr12_vgpr13
; %bb.20:                               ;   in Loop: Header=BB127_8 Depth=1
	s_andn2_saveexec_b64 s[10:11], s[10:11]
; %bb.21:                               ;   in Loop: Header=BB127_8 Depth=1
	v_mov_b32_e32 v2, v4
	v_mov_b32_e32 v3, v5
	;; [unrolled: 1-line block ×4, first 2 shown]
; %bb.22:                               ;   in Loop: Header=BB127_8 Depth=1
	s_or_b64 exec, exec, s[10:11]
	s_andn2_saveexec_b64 s[6:7], s[6:7]
	s_cbranch_execz .LBB127_10
.LBB127_23:                             ;   in Loop: Header=BB127_8 Depth=1
	v_cmp_eq_u32_e32 vcc, 1, v18
	s_and_saveexec_b64 s[10:11], vcc
; %bb.24:                               ;   in Loop: Header=BB127_8 Depth=1
	v_mov_b32_e32 v2, v3
	v_mov_b32_e32 v3, v4
	;; [unrolled: 1-line block ×4, first 2 shown]
; %bb.25:                               ;   in Loop: Header=BB127_8 Depth=1
	s_or_b64 exec, exec, s[10:11]
	s_or_b64 exec, exec, s[6:7]
	v_cmp_gt_i64_e32 vcc, s[0:1], v[16:17]
	s_and_saveexec_b64 s[6:7], vcc
	s_cbranch_execnz .LBB127_11
	s_branch .LBB127_12
.LBB127_26:
	s_endpgm
.LBB127_27:
                                        ; implicit-def: $sgpr8_sgpr9
	s_andn2_b64 vcc, exec, s[2:3]
	s_cbranch_vccz .LBB127_4
	s_branch .LBB127_5
	.section	.rodata,"a",@progbits
	.p2align	6, 0x0
	.amdhsa_kernel _ZN2at6native12_GLOBAL__N_143distribution_elementwise_grid_stride_kernelIfLi4EZNS0_9templates4cuda21uniform_and_transformIafPNS_17CUDAGeneratorImplEZZZNS4_16bernoulli_kernelIS7_EEvRNS_18TensorIteratorBaseEdT_ENKUlvE_clEvENKUlvE0_clEvEUlfE_EEvSA_T1_T2_EUlP25hiprandStatePhilox4_32_10E0_ZNS1_27distribution_nullary_kernelIaf15HIP_vector_typeIfLj4EES7_SJ_SE_EEvSA_SG_RKT3_T4_EUlifE_EEvlNS_15PhiloxCudaStateESF_SG_
		.amdhsa_group_segment_fixed_size 0
		.amdhsa_private_segment_fixed_size 0
		.amdhsa_kernarg_size 328
		.amdhsa_user_sgpr_count 6
		.amdhsa_user_sgpr_private_segment_buffer 1
		.amdhsa_user_sgpr_dispatch_ptr 0
		.amdhsa_user_sgpr_queue_ptr 0
		.amdhsa_user_sgpr_kernarg_segment_ptr 1
		.amdhsa_user_sgpr_dispatch_id 0
		.amdhsa_user_sgpr_flat_scratch_init 0
		.amdhsa_user_sgpr_kernarg_preload_length 0
		.amdhsa_user_sgpr_kernarg_preload_offset 0
		.amdhsa_user_sgpr_private_segment_size 0
		.amdhsa_uses_dynamic_stack 0
		.amdhsa_system_sgpr_private_segment_wavefront_offset 0
		.amdhsa_system_sgpr_workgroup_id_x 1
		.amdhsa_system_sgpr_workgroup_id_y 0
		.amdhsa_system_sgpr_workgroup_id_z 0
		.amdhsa_system_sgpr_workgroup_info 0
		.amdhsa_system_vgpr_workitem_id 0
		.amdhsa_next_free_vgpr 48
		.amdhsa_next_free_sgpr 24
		.amdhsa_accum_offset 48
		.amdhsa_reserve_vcc 1
		.amdhsa_reserve_flat_scratch 0
		.amdhsa_float_round_mode_32 0
		.amdhsa_float_round_mode_16_64 0
		.amdhsa_float_denorm_mode_32 3
		.amdhsa_float_denorm_mode_16_64 3
		.amdhsa_dx10_clamp 1
		.amdhsa_ieee_mode 1
		.amdhsa_fp16_overflow 0
		.amdhsa_tg_split 0
		.amdhsa_exception_fp_ieee_invalid_op 0
		.amdhsa_exception_fp_denorm_src 0
		.amdhsa_exception_fp_ieee_div_zero 0
		.amdhsa_exception_fp_ieee_overflow 0
		.amdhsa_exception_fp_ieee_underflow 0
		.amdhsa_exception_fp_ieee_inexact 0
		.amdhsa_exception_int_div_zero 0
	.end_amdhsa_kernel
	.section	.text._ZN2at6native12_GLOBAL__N_143distribution_elementwise_grid_stride_kernelIfLi4EZNS0_9templates4cuda21uniform_and_transformIafPNS_17CUDAGeneratorImplEZZZNS4_16bernoulli_kernelIS7_EEvRNS_18TensorIteratorBaseEdT_ENKUlvE_clEvENKUlvE0_clEvEUlfE_EEvSA_T1_T2_EUlP25hiprandStatePhilox4_32_10E0_ZNS1_27distribution_nullary_kernelIaf15HIP_vector_typeIfLj4EES7_SJ_SE_EEvSA_SG_RKT3_T4_EUlifE_EEvlNS_15PhiloxCudaStateESF_SG_,"axG",@progbits,_ZN2at6native12_GLOBAL__N_143distribution_elementwise_grid_stride_kernelIfLi4EZNS0_9templates4cuda21uniform_and_transformIafPNS_17CUDAGeneratorImplEZZZNS4_16bernoulli_kernelIS7_EEvRNS_18TensorIteratorBaseEdT_ENKUlvE_clEvENKUlvE0_clEvEUlfE_EEvSA_T1_T2_EUlP25hiprandStatePhilox4_32_10E0_ZNS1_27distribution_nullary_kernelIaf15HIP_vector_typeIfLj4EES7_SJ_SE_EEvSA_SG_RKT3_T4_EUlifE_EEvlNS_15PhiloxCudaStateESF_SG_,comdat
.Lfunc_end127:
	.size	_ZN2at6native12_GLOBAL__N_143distribution_elementwise_grid_stride_kernelIfLi4EZNS0_9templates4cuda21uniform_and_transformIafPNS_17CUDAGeneratorImplEZZZNS4_16bernoulli_kernelIS7_EEvRNS_18TensorIteratorBaseEdT_ENKUlvE_clEvENKUlvE0_clEvEUlfE_EEvSA_T1_T2_EUlP25hiprandStatePhilox4_32_10E0_ZNS1_27distribution_nullary_kernelIaf15HIP_vector_typeIfLj4EES7_SJ_SE_EEvSA_SG_RKT3_T4_EUlifE_EEvlNS_15PhiloxCudaStateESF_SG_, .Lfunc_end127-_ZN2at6native12_GLOBAL__N_143distribution_elementwise_grid_stride_kernelIfLi4EZNS0_9templates4cuda21uniform_and_transformIafPNS_17CUDAGeneratorImplEZZZNS4_16bernoulli_kernelIS7_EEvRNS_18TensorIteratorBaseEdT_ENKUlvE_clEvENKUlvE0_clEvEUlfE_EEvSA_T1_T2_EUlP25hiprandStatePhilox4_32_10E0_ZNS1_27distribution_nullary_kernelIaf15HIP_vector_typeIfLj4EES7_SJ_SE_EEvSA_SG_RKT3_T4_EUlifE_EEvlNS_15PhiloxCudaStateESF_SG_
                                        ; -- End function
	.section	.AMDGPU.csdata,"",@progbits
; Kernel info:
; codeLenInByte = 2476
; NumSgprs: 28
; NumVgprs: 48
; NumAgprs: 0
; TotalNumVgprs: 48
; ScratchSize: 0
; MemoryBound: 0
; FloatMode: 240
; IeeeMode: 1
; LDSByteSize: 0 bytes/workgroup (compile time only)
; SGPRBlocks: 3
; VGPRBlocks: 5
; NumSGPRsForWavesPerEU: 28
; NumVGPRsForWavesPerEU: 48
; AccumOffset: 48
; Occupancy: 8
; WaveLimiterHint : 0
; COMPUTE_PGM_RSRC2:SCRATCH_EN: 0
; COMPUTE_PGM_RSRC2:USER_SGPR: 6
; COMPUTE_PGM_RSRC2:TRAP_HANDLER: 0
; COMPUTE_PGM_RSRC2:TGID_X_EN: 1
; COMPUTE_PGM_RSRC2:TGID_Y_EN: 0
; COMPUTE_PGM_RSRC2:TGID_Z_EN: 0
; COMPUTE_PGM_RSRC2:TIDIG_COMP_CNT: 0
; COMPUTE_PGM_RSRC3_GFX90A:ACCUM_OFFSET: 11
; COMPUTE_PGM_RSRC3_GFX90A:TG_SPLIT: 0
	.section	.text._ZN2at6native12_GLOBAL__N_143distribution_elementwise_grid_stride_kernelIfLi4EZNS0_9templates4cuda21uniform_and_transformIafPNS_17CUDAGeneratorImplEZZZNS4_16bernoulli_kernelIS7_EEvRNS_18TensorIteratorBaseEdT_ENKUlvE_clEvENKUlvE0_clEvEUlfE_EEvSA_T1_T2_EUlP25hiprandStatePhilox4_32_10E0_ZNS1_27distribution_nullary_kernelIaf15HIP_vector_typeIfLj4EES7_SJ_SE_EEvSA_SG_RKT3_T4_EUlifE0_EEvlNS_15PhiloxCudaStateESF_SG_,"axG",@progbits,_ZN2at6native12_GLOBAL__N_143distribution_elementwise_grid_stride_kernelIfLi4EZNS0_9templates4cuda21uniform_and_transformIafPNS_17CUDAGeneratorImplEZZZNS4_16bernoulli_kernelIS7_EEvRNS_18TensorIteratorBaseEdT_ENKUlvE_clEvENKUlvE0_clEvEUlfE_EEvSA_T1_T2_EUlP25hiprandStatePhilox4_32_10E0_ZNS1_27distribution_nullary_kernelIaf15HIP_vector_typeIfLj4EES7_SJ_SE_EEvSA_SG_RKT3_T4_EUlifE0_EEvlNS_15PhiloxCudaStateESF_SG_,comdat
	.globl	_ZN2at6native12_GLOBAL__N_143distribution_elementwise_grid_stride_kernelIfLi4EZNS0_9templates4cuda21uniform_and_transformIafPNS_17CUDAGeneratorImplEZZZNS4_16bernoulli_kernelIS7_EEvRNS_18TensorIteratorBaseEdT_ENKUlvE_clEvENKUlvE0_clEvEUlfE_EEvSA_T1_T2_EUlP25hiprandStatePhilox4_32_10E0_ZNS1_27distribution_nullary_kernelIaf15HIP_vector_typeIfLj4EES7_SJ_SE_EEvSA_SG_RKT3_T4_EUlifE0_EEvlNS_15PhiloxCudaStateESF_SG_ ; -- Begin function _ZN2at6native12_GLOBAL__N_143distribution_elementwise_grid_stride_kernelIfLi4EZNS0_9templates4cuda21uniform_and_transformIafPNS_17CUDAGeneratorImplEZZZNS4_16bernoulli_kernelIS7_EEvRNS_18TensorIteratorBaseEdT_ENKUlvE_clEvENKUlvE0_clEvEUlfE_EEvSA_T1_T2_EUlP25hiprandStatePhilox4_32_10E0_ZNS1_27distribution_nullary_kernelIaf15HIP_vector_typeIfLj4EES7_SJ_SE_EEvSA_SG_RKT3_T4_EUlifE0_EEvlNS_15PhiloxCudaStateESF_SG_
	.p2align	8
	.type	_ZN2at6native12_GLOBAL__N_143distribution_elementwise_grid_stride_kernelIfLi4EZNS0_9templates4cuda21uniform_and_transformIafPNS_17CUDAGeneratorImplEZZZNS4_16bernoulli_kernelIS7_EEvRNS_18TensorIteratorBaseEdT_ENKUlvE_clEvENKUlvE0_clEvEUlfE_EEvSA_T1_T2_EUlP25hiprandStatePhilox4_32_10E0_ZNS1_27distribution_nullary_kernelIaf15HIP_vector_typeIfLj4EES7_SJ_SE_EEvSA_SG_RKT3_T4_EUlifE0_EEvlNS_15PhiloxCudaStateESF_SG_,@function
_ZN2at6native12_GLOBAL__N_143distribution_elementwise_grid_stride_kernelIfLi4EZNS0_9templates4cuda21uniform_and_transformIafPNS_17CUDAGeneratorImplEZZZNS4_16bernoulli_kernelIS7_EEvRNS_18TensorIteratorBaseEdT_ENKUlvE_clEvENKUlvE0_clEvEUlfE_EEvSA_T1_T2_EUlP25hiprandStatePhilox4_32_10E0_ZNS1_27distribution_nullary_kernelIaf15HIP_vector_typeIfLj4EES7_SJ_SE_EEvSA_SG_RKT3_T4_EUlifE0_EEvlNS_15PhiloxCudaStateESF_SG_: ; @_ZN2at6native12_GLOBAL__N_143distribution_elementwise_grid_stride_kernelIfLi4EZNS0_9templates4cuda21uniform_and_transformIafPNS_17CUDAGeneratorImplEZZZNS4_16bernoulli_kernelIS7_EEvRNS_18TensorIteratorBaseEdT_ENKUlvE_clEvENKUlvE0_clEvEUlfE_EEvSA_T1_T2_EUlP25hiprandStatePhilox4_32_10E0_ZNS1_27distribution_nullary_kernelIaf15HIP_vector_typeIfLj4EES7_SJ_SE_EEvSA_SG_RKT3_T4_EUlifE0_EEvlNS_15PhiloxCudaStateESF_SG_
; %bb.0:
	s_load_dword s2, s[4:5], 0x20
	s_load_dwordx2 s[0:1], s[4:5], 0x10
	s_load_dwordx4 s[24:27], s[4:5], 0x0
	s_waitcnt lgkmcnt(0)
	s_bitcmp0_b32 s2, 0
	s_mov_b32 s2, 0
	v_pk_mov_b32 v[2:3], s[0:1], s[0:1] op_sel:[0,1]
	v_pk_mov_b32 v[12:13], s[26:27], s[26:27] op_sel:[0,1]
	s_cbranch_scc1 .LBB128_2
; %bb.1:
	v_pk_mov_b32 v[2:3], s[0:1], s[0:1] op_sel:[0,1]
	flat_load_dwordx2 v[2:3], v[2:3]
	v_pk_mov_b32 v[4:5], s[26:27], s[26:27] op_sel:[0,1]
	flat_load_dwordx2 v[12:13], v[4:5]
	s_load_dwordx2 s[0:1], s[4:5], 0x18
	s_waitcnt lgkmcnt(0)
	v_mov_b32_e32 v1, s1
	s_waitcnt vmcnt(0)
	v_add_co_u32_e32 v2, vcc, s0, v2
	v_addc_co_u32_e32 v3, vcc, v3, v1, vcc
.LBB128_2:
	s_load_dword s0, s[4:5], 0x154
	s_load_dword s7, s[4:5], 0x148
	s_waitcnt lgkmcnt(0)
	s_and_b32 s8, s0, 0xffff
	s_add_u32 s9, s24, -1
	s_mul_i32 s33, s7, s8
	s_addc_u32 s3, s25, -1
	s_lshl_b32 s58, s33, 2
	s_cmp_lg_u64 s[2:3], 0
	s_mov_b64 s[0:1], -1
	s_cbranch_scc0 .LBB128_83
; %bb.3:
	v_cvt_f32_u32_e32 v1, s58
	v_cvt_f32_ubyte0_e32 v4, 0
	s_sub_u32 s2, 0, s58
	s_subb_u32 s10, 0, 0
	v_madmk_f32 v1, v4, 0x4f800000, v1
	v_rcp_f32_e32 v1, v1
	v_mul_f32_e32 v1, 0x5f7ffffc, v1
	v_mul_f32_e32 v4, 0x2f800000, v1
	v_trunc_f32_e32 v4, v4
	v_madmk_f32 v1, v4, 0xcf800000, v1
	v_cvt_u32_f32_e32 v4, v4
	v_cvt_u32_f32_e32 v1, v1
	v_readfirstlane_b32 s11, v4
	v_readfirstlane_b32 s12, v1
	s_mul_i32 s13, s2, s11
	s_mul_hi_u32 s15, s2, s12
	s_mul_i32 s14, s10, s12
	s_add_i32 s13, s15, s13
	s_add_i32 s13, s13, s14
	s_mul_i32 s16, s2, s12
	s_mul_hi_u32 s14, s12, s13
	s_mul_i32 s15, s12, s13
	s_mul_hi_u32 s12, s12, s16
	s_add_u32 s12, s12, s15
	s_addc_u32 s14, 0, s14
	s_mul_hi_u32 s17, s11, s16
	s_mul_i32 s16, s11, s16
	s_add_u32 s12, s12, s16
	s_mul_hi_u32 s15, s11, s13
	s_addc_u32 s12, s14, s17
	s_addc_u32 s14, s15, 0
	s_mul_i32 s13, s11, s13
	s_add_u32 s12, s12, s13
	s_addc_u32 s13, 0, s14
	v_add_co_u32_e32 v1, vcc, s12, v1
	s_cmp_lg_u64 vcc, 0
	s_addc_u32 s11, s11, s13
	v_readfirstlane_b32 s13, v1
	s_mul_i32 s12, s2, s11
	s_mul_hi_u32 s14, s2, s13
	s_add_i32 s12, s14, s12
	s_mul_i32 s10, s10, s13
	s_add_i32 s12, s12, s10
	s_mul_i32 s2, s2, s13
	s_mul_hi_u32 s14, s11, s2
	s_mul_i32 s15, s11, s2
	s_mul_i32 s17, s13, s12
	s_mul_hi_u32 s2, s13, s2
	s_mul_hi_u32 s16, s13, s12
	s_add_u32 s2, s2, s17
	s_addc_u32 s13, 0, s16
	s_add_u32 s2, s2, s15
	s_mul_hi_u32 s10, s11, s12
	s_addc_u32 s2, s13, s14
	s_addc_u32 s10, s10, 0
	s_mul_i32 s12, s11, s12
	s_add_u32 s2, s2, s12
	s_addc_u32 s10, 0, s10
	v_add_co_u32_e32 v1, vcc, s2, v1
	s_cmp_lg_u64 vcc, 0
	s_addc_u32 s12, s11, s10
	s_ashr_i32 s10, s3, 31
	s_add_u32 s2, s9, s10
	s_mov_b32 s11, s10
	s_addc_u32 s3, s3, s10
	s_xor_b64 s[2:3], s[2:3], s[10:11]
	v_readfirstlane_b32 s15, v1
	s_mul_i32 s14, s2, s12
	s_mul_hi_u32 s16, s2, s15
	s_mul_hi_u32 s13, s2, s12
	s_add_u32 s14, s16, s14
	s_addc_u32 s13, 0, s13
	s_mul_hi_u32 s17, s3, s15
	s_mul_i32 s15, s3, s15
	s_add_u32 s14, s14, s15
	s_mul_hi_u32 s16, s3, s12
	s_addc_u32 s13, s13, s17
	s_addc_u32 s14, s16, 0
	s_mul_i32 s12, s3, s12
	s_add_u32 s12, s13, s12
	s_addc_u32 s13, 0, s14
	s_add_u32 s14, s12, 1
	s_addc_u32 s15, s13, 0
	s_add_u32 s16, s12, 2
	s_mul_i32 s18, s58, s13
	s_mul_hi_u32 s19, s58, s12
	s_addc_u32 s17, s13, 0
	s_add_i32 s19, s19, s18
	s_mul_i32 s18, s58, s12
	v_mov_b32_e32 v1, s18
	v_sub_co_u32_e32 v1, vcc, s2, v1
	s_cmp_lg_u64 vcc, 0
	s_subb_u32 s2, s3, s19
	v_subrev_co_u32_e32 v4, vcc, s58, v1
	s_cmp_lg_u64 vcc, 0
	s_subb_u32 s3, s2, 0
	v_readfirstlane_b32 s18, v4
	s_cmp_ge_u32 s18, s58
	s_cselect_b32 s18, -1, 0
	s_cmp_eq_u32 s3, 0
	s_cselect_b32 s3, s18, -1
	s_cmp_lg_u32 s3, 0
	s_cselect_b32 s3, s17, s15
	v_readfirstlane_b32 s15, v1
	s_cselect_b32 s14, s16, s14
	s_cmp_ge_u32 s15, s58
	s_cselect_b32 s15, -1, 0
	s_cmp_eq_u32 s2, 0
	s_cselect_b32 s2, s15, -1
	s_cmp_lg_u32 s2, 0
	s_cselect_b32 s3, s3, s13
	s_cselect_b32 s2, s14, s12
	s_xor_b64 s[2:3], s[2:3], s[10:11]
	s_sub_u32 s2, s2, s10
	s_subb_u32 s3, s3, s10
	s_cbranch_execnz .LBB128_5
.LBB128_4:
	v_cvt_f32_u32_e32 v1, s58
	s_sub_i32 s0, 0, s58
	s_mov_b32 s3, 0
	v_rcp_iflag_f32_e32 v1, v1
	v_mul_f32_e32 v1, 0x4f7ffffe, v1
	v_cvt_u32_f32_e32 v1, v1
	v_readfirstlane_b32 s1, v1
	s_mul_i32 s0, s0, s1
	s_mul_hi_u32 s0, s1, s0
	s_add_i32 s1, s1, s0
	s_mul_hi_u32 s0, s9, s1
	s_mul_i32 s2, s0, s58
	s_sub_i32 s2, s9, s2
	s_add_i32 s1, s0, 1
	s_sub_i32 s9, s2, s58
	s_cmp_ge_u32 s2, s58
	s_cselect_b32 s0, s1, s0
	s_cselect_b32 s2, s9, s2
	s_add_i32 s1, s0, 1
	s_cmp_ge_u32 s2, s58
	s_cselect_b32 s2, s1, s0
.LBB128_5:
	v_mov_b32_e32 v1, 0
	v_mov_b32_e32 v4, s6
	v_mad_u64_u32 v[14:15], s[0:1], s8, v4, v[0:1]
	s_add_u32 s0, s2, 1
	s_addc_u32 s1, s3, 0
	s_mul_hi_u32 s2, s7, s8
	s_mul_i32 s1, s33, s1
	s_mul_hi_u32 s3, s33, s0
	s_add_i32 s1, s3, s1
	s_mul_i32 s2, s2, s0
	s_add_i32 s1, s1, s2
	s_mul_i32 s0, s33, s0
	s_lshl_b64 s[26:27], s[0:1], 2
	v_cmp_gt_i64_e32 vcc, s[26:27], v[14:15]
	s_and_saveexec_b64 s[0:1], vcc
	s_cbranch_execz .LBB128_82
; %bb.6:
	s_mov_b32 s0, 0x5384540f
	v_mov_b32_e32 v0, v13
	v_add_co_u32_e32 v22, vcc, s0, v12
	s_mov_b32 s0, 0x646e171e
	v_add_co_u32_e32 v23, vcc, s0, v0
	s_mov_b32 s0, 0x1715609d
	;; [unrolled: 2-line block ×6, first 2 shown]
	v_alignbit_b32 v29, v3, v2, 2
	s_mov_b32 s60, 0xd2511f53
	v_add_co_u32_e32 v28, vcc, s0, v12
	v_mad_u64_u32 v[4:5], s[0:1], v29, s60, 0
	v_xor_b32_e32 v1, v5, v13
	v_xor_b32_e32 v1, v1, v15
	s_mov_b32 s61, 0xcd9e8d57
	v_mad_u64_u32 v[6:7], s[0:1], v1, s61, 0
	v_xor_b32_e32 v1, v28, v7
	v_mad_u64_u32 v[8:9], s[0:1], v14, s61, 0
	v_and_b32_e32 v18, 3, v2
	v_xor_b32_e32 v1, v1, v8
	v_xor_b32_e32 v2, v12, v9
	v_lshrrev_b32_e32 v30, 2, v3
	v_mad_u64_u32 v[10:11], s[0:1], v1, s60, 0
	v_xor_b32_e32 v2, v2, v30
	v_xor_b32_e32 v1, v27, v11
	v_mad_u64_u32 v[2:3], s[0:1], v2, s60, 0
	v_xor_b32_e32 v1, v1, v2
	v_mad_u64_u32 v[8:9], s[0:1], v1, s61, 0
	s_mov_b32 s0, 0xbb67ae85
	v_add_co_u32_e32 v31, vcc, s0, v0
	v_xor_b32_e32 v2, v31, v3
	v_xor_b32_e32 v2, v2, v4
	v_xor_b32_e32 v1, v26, v9
	v_mad_u64_u32 v[2:3], s[0:1], v2, s61, 0
	v_xor_b32_e32 v1, v1, v2
	v_mad_u64_u32 v[4:5], s[0:1], v1, s60, 0
	s_mov_b32 s0, 0x3c6ef372
	v_add_co_u32_e32 v32, vcc, s0, v12
	v_xor_b32_e32 v2, v32, v3
	;; [unrolled: 8-line block ×6, first 2 shown]
	v_add_co_u32_e32 v21, vcc, 0xdb3d7428, v0
	v_xor_b32_e32 v2, v2, v6
	v_xor_b32_e32 v1, v21, v5
	v_mad_u64_u32 v[2:3], s[0:1], v2, s60, 0
	v_xor_b32_e32 v1, v1, v2
	v_mad_u64_u32 v[6:7], s[0:1], v1, s61, 0
	s_mov_b32 s0, 0x1fd5c5a3
	v_add_co_u32_e32 v37, vcc, s0, v0
	v_xor_b32_e32 v0, v37, v3
	v_xor_b32_e32 v0, v0, v10
	v_mad_u64_u32 v[0:1], s[0:1], v0, s61, 0
	s_mov_b32 s0, 0xf1bbcdc8
	s_load_dwordx8 s[8:15], s[4:5], 0x30
	v_add_co_u32_e32 v38, vcc, s0, v12
	v_xor_b32_e32 v1, v38, v1
	v_xor_b32_e32 v1, v1, v8
	s_add_u32 s34, s4, 48
	v_mad_u64_u32 v[8:9], s[0:1], v1, s60, 0
	s_addc_u32 s35, s5, 0
	s_waitcnt lgkmcnt(0)
	s_add_i32 s0, s8, -1
	s_cmp_gt_u32 s0, 1
	s_cselect_b64 s[40:41], -1, 0
	s_cmp_lg_u32 s8, 0
	s_cselect_b64 s[42:43], -1, 0
	s_add_u32 s44, s4, 0xf4
	s_addc_u32 s45, s5, 0
	s_load_dwordx2 s[46:47], s[4:5], 0xf4
	s_load_dwordx4 s[28:31], s[4:5], 0x138
	s_min_u32 s1, s0, 15
	s_cmp_gt_u32 s8, 1
	s_cselect_b64 s[48:49], -1, 0
	s_add_i32 s1, s1, 1
	s_mov_b32 s8, s13
	s_lshl_b32 s13, s33, 1
	s_and_b32 s64, s1, 3
	s_cmp_lg_u32 s0, 2
	s_waitcnt lgkmcnt(0)
	v_cvt_f32_f64_e32 v39, s[30:31]
	s_cselect_b64 s[30:31], -1, 0
	s_and_b32 s65, s1, 28
	s_mov_b32 s59, 0
	v_add_u32_e32 v19, 0x8ff34781, v12
	v_add_u32_e32 v20, 0x96a522ad, v13
	v_xor_b32_e32 v0, v7, v0
	v_xor_b32_e32 v1, v9, v4
	s_cmp_lg_u32 s64, 0
	v_xor_b32_e32 v0, v19, v0
	v_xor_b32_e32 v2, v20, v1
	v_mov_b32_e32 v1, v6
	v_mov_b32_e32 v3, v8
	s_mov_b32 s15, s59
	s_mul_i32 s62, s33, 3
	s_mov_b32 s63, s59
	s_mov_b64 s[50:51], 0
	s_cselect_b64 s[52:53], -1, 0
	v_mov_b32_e32 v40, v14
	v_mov_b32_e32 v41, v15
	s_branch .LBB128_9
.LBB128_7:                              ;   in Loop: Header=BB128_9 Depth=1
	v_cvt_f32_u32_e32 v0, v3
	v_mov_b32_e32 v1, 0x2f800000
	v_fmac_f32_e32 v1, 0x2f800000, v0
	v_cmp_lt_f32_e32 vcc, v1, v39
	v_cndmask_b32_e64 v0, 0, 1, vcc
	global_store_byte v8, v0, s[28:29]
.LBB128_8:                              ;   in Loop: Header=BB128_9 Depth=1
	s_or_b64 exec, exec, s[36:37]
	v_add_co_u32_e32 v14, vcc, s58, v14
	v_addc_co_u32_e32 v15, vcc, 0, v15, vcc
	v_mov_b32_e32 v7, v16
	v_cmp_le_i64_e32 vcc, s[26:27], v[14:15]
	v_pk_mov_b32 v[0:1], v[4:5], v[4:5] op_sel:[0,1]
	s_or_b64 s[50:51], vcc, s[50:51]
	v_pk_mov_b32 v[2:3], v[6:7], v[6:7] op_sel:[0,1]
	s_barrier
	s_andn2_b64 exec, exec, s[50:51]
	s_cbranch_execz .LBB128_82
.LBB128_9:                              ; =>This Loop Header: Depth=1
                                        ;     Child Loop BB128_24 Depth 2
                                        ;     Child Loop BB128_30 Depth 2
	;; [unrolled: 1-line block ×8, first 2 shown]
	v_add_co_u32_e32 v29, vcc, 1, v29
	v_cndmask_b32_e64 v4, 0, 1, vcc
	v_addc_co_u32_e32 v30, vcc, 0, v30, vcc
	v_cmp_eq_u32_e32 vcc, 0, v30
	v_cndmask_b32_e32 v4, 0, v4, vcc
	v_add_u32_e32 v40, v4, v40
	v_cmp_eq_u32_e32 vcc, 0, v40
	v_cndmask_b32_e32 v4, 0, v4, vcc
	v_add_u32_e32 v41, v4, v41
	v_mad_u64_u32 v[4:5], s[0:1], v29, s60, 0
	v_mad_u64_u32 v[6:7], s[0:1], v40, s61, 0
	v_xor_b32_e32 v5, v5, v13
	v_xor_b32_e32 v7, v7, v12
	v_xor_b32_e32 v5, v41, v5
	v_xor_b32_e32 v7, v30, v7
	v_mad_u64_u32 v[10:11], s[0:1], v5, s61, 0
	v_mad_u64_u32 v[8:9], s[0:1], v7, s60, 0
	v_xor_b32_e32 v5, v28, v11
	v_xor_b32_e32 v5, v5, v6
	v_xor_b32_e32 v6, v31, v9
	v_xor_b32_e32 v6, v6, v4
	;; [unrolled: 6-line block ×10, first 2 shown]
	v_mov_b32_e32 v5, v10
	v_mov_b32_e32 v6, v11
	v_cmp_lt_i32_e32 vcc, 1, v18
	s_and_saveexec_b64 s[0:1], vcc
	s_xor_b64 s[0:1], exec, s[0:1]
	s_cbranch_execz .LBB128_15
; %bb.10:                               ;   in Loop: Header=BB128_9 Depth=1
	v_cmp_lt_i32_e32 vcc, 2, v18
	s_and_saveexec_b64 s[2:3], vcc
	s_xor_b64 s[2:3], exec, s[2:3]
; %bb.11:                               ;   in Loop: Header=BB128_9 Depth=1
	v_mov_b32_e32 v8, v3
	v_mov_b32_e32 v9, v4
	v_pk_mov_b32 v[0:1], v[8:9], v[8:9] op_sel:[0,1]
	v_pk_mov_b32 v[2:3], v[10:11], v[10:11] op_sel:[0,1]
                                        ; implicit-def: $vgpr10_vgpr11
; %bb.12:                               ;   in Loop: Header=BB128_9 Depth=1
	s_andn2_saveexec_b64 s[2:3], s[2:3]
; %bb.13:                               ;   in Loop: Header=BB128_9 Depth=1
	v_mov_b32_e32 v0, v2
	v_mov_b32_e32 v1, v3
	v_mov_b32_e32 v2, v4
	v_mov_b32_e32 v3, v10
; %bb.14:                               ;   in Loop: Header=BB128_9 Depth=1
	s_or_b64 exec, exec, s[2:3]
.LBB128_15:                             ;   in Loop: Header=BB128_9 Depth=1
	s_andn2_saveexec_b64 s[0:1], s[0:1]
	s_cbranch_execz .LBB128_19
; %bb.16:                               ;   in Loop: Header=BB128_9 Depth=1
	v_cmp_eq_u32_e32 vcc, 1, v18
	s_and_saveexec_b64 s[2:3], vcc
; %bb.17:                               ;   in Loop: Header=BB128_9 Depth=1
	v_mov_b32_e32 v0, v1
	v_mov_b32_e32 v1, v2
	;; [unrolled: 1-line block ×4, first 2 shown]
; %bb.18:                               ;   in Loop: Header=BB128_9 Depth=1
	s_or_b64 exec, exec, s[2:3]
.LBB128_19:                             ;   in Loop: Header=BB128_9 Depth=1
	s_or_b64 exec, exec, s[0:1]
	v_cndmask_b32_e64 v7, 0, 1, s[40:41]
	v_cmp_gt_i64_e32 vcc, s[24:25], v[14:15]
	v_cmp_ne_u32_e64 s[0:1], 1, v7
	s_and_saveexec_b64 s[2:3], vcc
	s_cbranch_execz .LBB128_35
; %bb.20:                               ;   in Loop: Header=BB128_9 Depth=1
	s_and_b64 vcc, exec, s[0:1]
	s_cbranch_vccnz .LBB128_26
; %bb.21:                               ;   in Loop: Header=BB128_9 Depth=1
	s_andn2_b64 vcc, exec, s[42:43]
	s_cbranch_vccnz .LBB128_27
; %bb.22:                               ;   in Loop: Header=BB128_9 Depth=1
	s_mov_b32 s6, 0
	s_andn2_b64 vcc, exec, s[30:31]
	v_mov_b32_e32 v8, 0
	s_cbranch_vccnz .LBB128_28
; %bb.23:                               ;   in Loop: Header=BB128_9 Depth=1
	s_mov_b32 s66, 0
	v_mov_b32_e32 v8, 0
	s_mov_b64 s[54:55], s[34:35]
	s_mov_b64 s[56:57], s[44:45]
	v_mov_b32_e32 v7, v14
.LBB128_24:                             ;   Parent Loop BB128_9 Depth=1
                                        ; =>  This Inner Loop Header: Depth=2
	s_load_dwordx8 s[16:23], s[54:55], 0x4
	s_load_dwordx4 s[4:7], s[54:55], 0x24
	s_load_dwordx4 s[36:39], s[56:57], 0x0
	s_add_u32 s54, s54, 48
	s_addc_u32 s55, s55, 0
	s_waitcnt lgkmcnt(0)
	v_mul_hi_u32 v9, s17, v7
	v_add_u32_e32 v9, v7, v9
	v_lshrrev_b32_e32 v9, s18, v9
	v_mul_lo_u32 v10, v9, s16
	v_mul_hi_u32 v11, s20, v9
	v_sub_u32_e32 v7, v7, v10
	v_add_u32_e32 v10, v9, v11
	v_lshrrev_b32_e32 v10, s21, v10
	v_mul_lo_u32 v11, v10, s19
	v_mul_hi_u32 v17, s23, v10
	v_sub_u32_e32 v9, v9, v11
	v_add_u32_e32 v11, v10, v17
	v_mul_lo_u32 v7, v7, s36
	v_mul_lo_u32 v9, v9, s37
	v_lshrrev_b32_e32 v11, s4, v11
	v_add3_u32 v8, v7, v8, v9
	v_mul_lo_u32 v7, v11, s22
	v_mul_hi_u32 v9, s6, v11
	v_sub_u32_e32 v7, v10, v7
	v_add_u32_e32 v9, v11, v9
	v_mul_lo_u32 v10, v7, s38
	v_lshrrev_b32_e32 v7, s7, v9
	s_add_i32 s66, s66, 4
	v_mul_lo_u32 v9, v7, s5
	s_add_u32 s56, s56, 16
	v_sub_u32_e32 v9, v11, v9
	s_addc_u32 s57, s57, 0
	v_mul_lo_u32 v9, v9, s39
	s_cmp_lg_u32 s65, s66
	v_add3_u32 v8, v10, v8, v9
	s_cbranch_scc1 .LBB128_24
; %bb.25:                               ;   in Loop: Header=BB128_9 Depth=1
	s_mov_b32 s6, s65
	s_andn2_b64 vcc, exec, s[52:53]
	s_cbranch_vccz .LBB128_29
	s_branch .LBB128_31
.LBB128_26:                             ;   in Loop: Header=BB128_9 Depth=1
                                        ; implicit-def: $vgpr8
	s_branch .LBB128_32
.LBB128_27:                             ;   in Loop: Header=BB128_9 Depth=1
	v_mov_b32_e32 v8, 0
	s_branch .LBB128_31
.LBB128_28:                             ;   in Loop: Header=BB128_9 Depth=1
	v_mov_b32_e32 v7, v14
	s_andn2_b64 vcc, exec, s[52:53]
	s_cbranch_vccnz .LBB128_31
.LBB128_29:                             ;   in Loop: Header=BB128_9 Depth=1
	s_lshl_b32 s4, s6, 2
	s_add_u32 s4, s44, s4
	s_addc_u32 s5, s45, 0
	s_mul_i32 s6, s6, 12
	s_add_u32 s6, s34, s6
	s_addc_u32 s7, s35, 0
	s_mov_b32 s16, s64
.LBB128_30:                             ;   Parent Loop BB128_9 Depth=1
                                        ; =>  This Inner Loop Header: Depth=2
	s_load_dwordx2 s[18:19], s[6:7], 0x4
	s_load_dword s17, s[6:7], 0xc
	s_load_dword s20, s[4:5], 0x0
	s_add_u32 s6, s6, 12
	s_addc_u32 s7, s7, 0
	s_waitcnt lgkmcnt(0)
	v_mul_hi_u32 v9, s19, v7
	v_add_u32_e32 v9, v7, v9
	v_lshrrev_b32_e32 v9, s17, v9
	s_add_u32 s4, s4, 4
	v_mul_lo_u32 v10, v9, s18
	s_addc_u32 s5, s5, 0
	s_add_i32 s16, s16, -1
	v_sub_u32_e32 v10, v7, v10
	s_cmp_lg_u32 s16, 0
	v_mov_b32_e32 v7, v9
	v_mad_u64_u32 v[8:9], s[18:19], v10, s20, v[8:9]
	s_cbranch_scc1 .LBB128_30
.LBB128_31:                             ;   in Loop: Header=BB128_9 Depth=1
	s_cbranch_execnz .LBB128_34
.LBB128_32:                             ;   in Loop: Header=BB128_9 Depth=1
	v_mul_hi_u32 v7, v14, s10
	v_add_u32_e32 v7, v7, v14
	v_lshrrev_b32_e32 v7, s11, v7
	v_mul_lo_u32 v8, v7, s9
	v_sub_u32_e32 v8, v14, v8
	s_andn2_b64 vcc, exec, s[48:49]
	v_mul_lo_u32 v8, v8, s46
	s_cbranch_vccnz .LBB128_34
; %bb.33:                               ;   in Loop: Header=BB128_9 Depth=1
	v_mul_hi_u32 v9, s8, v7
	v_add_u32_e32 v9, v7, v9
	v_lshrrev_b32_e32 v9, s14, v9
	v_mul_lo_u32 v9, v9, s12
	v_sub_u32_e32 v7, v7, v9
	v_mad_u64_u32 v[8:9], s[4:5], v7, s47, v[8:9]
.LBB128_34:                             ;   in Loop: Header=BB128_9 Depth=1
	v_cvt_f32_u32_e32 v0, v0
	v_mov_b32_e32 v7, 0x2f800000
	v_fmac_f32_e32 v7, 0x2f800000, v0
	v_cmp_lt_f32_e32 vcc, v7, v39
	v_cndmask_b32_e64 v0, 0, 1, vcc
	global_store_byte v8, v0, s[28:29]
.LBB128_35:                             ;   in Loop: Header=BB128_9 Depth=1
	s_or_b64 exec, exec, s[2:3]
	v_mov_b32_e32 v0, s59
	v_add_co_u32_e32 v8, vcc, s33, v14
	v_addc_co_u32_e32 v9, vcc, v15, v0, vcc
	v_cmp_gt_i64_e32 vcc, s[24:25], v[8:9]
	s_and_saveexec_b64 s[2:3], vcc
	s_cbranch_execz .LBB128_51
; %bb.36:                               ;   in Loop: Header=BB128_9 Depth=1
	s_and_b64 vcc, exec, s[0:1]
	s_cbranch_vccnz .LBB128_42
; %bb.37:                               ;   in Loop: Header=BB128_9 Depth=1
	s_andn2_b64 vcc, exec, s[42:43]
	s_cbranch_vccnz .LBB128_43
; %bb.38:                               ;   in Loop: Header=BB128_9 Depth=1
	s_mov_b32 s6, 0
	s_andn2_b64 vcc, exec, s[30:31]
	v_mov_b32_e32 v10, 0
	s_cbranch_vccnz .LBB128_44
; %bb.39:                               ;   in Loop: Header=BB128_9 Depth=1
	s_mov_b32 s66, 0
	v_mov_b32_e32 v10, 0
	s_mov_b64 s[54:55], s[34:35]
	s_mov_b64 s[56:57], s[44:45]
	v_mov_b32_e32 v0, v8
.LBB128_40:                             ;   Parent Loop BB128_9 Depth=1
                                        ; =>  This Inner Loop Header: Depth=2
	s_load_dwordx8 s[16:23], s[54:55], 0x4
	s_load_dwordx4 s[4:7], s[54:55], 0x24
	s_load_dwordx4 s[36:39], s[56:57], 0x0
	s_add_u32 s54, s54, 48
	s_addc_u32 s55, s55, 0
	s_waitcnt lgkmcnt(0)
	v_mul_hi_u32 v7, s17, v0
	v_add_u32_e32 v7, v0, v7
	v_lshrrev_b32_e32 v7, s18, v7
	v_mul_lo_u32 v9, v7, s16
	v_mul_hi_u32 v11, s20, v7
	v_sub_u32_e32 v0, v0, v9
	v_add_u32_e32 v9, v7, v11
	v_lshrrev_b32_e32 v9, s21, v9
	v_mul_lo_u32 v11, v9, s19
	v_mul_hi_u32 v17, s23, v9
	v_sub_u32_e32 v7, v7, v11
	v_add_u32_e32 v11, v9, v17
	v_mul_lo_u32 v0, v0, s36
	v_mul_lo_u32 v7, v7, s37
	v_lshrrev_b32_e32 v11, s4, v11
	v_add3_u32 v7, v0, v10, v7
	v_mul_lo_u32 v0, v11, s22
	v_mul_hi_u32 v10, s6, v11
	v_sub_u32_e32 v0, v9, v0
	v_add_u32_e32 v9, v11, v10
	v_mul_lo_u32 v10, v0, s38
	v_lshrrev_b32_e32 v0, s7, v9
	s_add_i32 s66, s66, 4
	v_mul_lo_u32 v9, v0, s5
	s_add_u32 s56, s56, 16
	v_sub_u32_e32 v9, v11, v9
	s_addc_u32 s57, s57, 0
	v_mul_lo_u32 v9, v9, s39
	s_cmp_eq_u32 s65, s66
	v_add3_u32 v10, v10, v7, v9
	s_cbranch_scc0 .LBB128_40
; %bb.41:                               ;   in Loop: Header=BB128_9 Depth=1
	s_mov_b32 s6, s65
	s_andn2_b64 vcc, exec, s[52:53]
	s_cbranch_vccz .LBB128_45
	s_branch .LBB128_47
.LBB128_42:                             ;   in Loop: Header=BB128_9 Depth=1
                                        ; implicit-def: $vgpr10
	s_branch .LBB128_48
.LBB128_43:                             ;   in Loop: Header=BB128_9 Depth=1
	v_mov_b32_e32 v10, 0
	s_branch .LBB128_47
.LBB128_44:                             ;   in Loop: Header=BB128_9 Depth=1
	v_mov_b32_e32 v0, v8
	s_andn2_b64 vcc, exec, s[52:53]
	s_cbranch_vccnz .LBB128_47
.LBB128_45:                             ;   in Loop: Header=BB128_9 Depth=1
	s_lshl_b32 s4, s6, 2
	s_add_u32 s4, s44, s4
	s_addc_u32 s5, s45, 0
	s_mul_i32 s6, s6, 12
	s_add_u32 s6, s34, s6
	s_addc_u32 s7, s35, 0
	s_mov_b32 s16, s64
.LBB128_46:                             ;   Parent Loop BB128_9 Depth=1
                                        ; =>  This Inner Loop Header: Depth=2
	s_load_dwordx2 s[18:19], s[6:7], 0x4
	s_load_dword s17, s[6:7], 0xc
	s_load_dword s20, s[4:5], 0x0
	s_add_u32 s6, s6, 12
	s_addc_u32 s7, s7, 0
	s_waitcnt lgkmcnt(0)
	v_mul_hi_u32 v7, s19, v0
	v_add_u32_e32 v7, v0, v7
	v_lshrrev_b32_e32 v7, s17, v7
	s_add_u32 s4, s4, 4
	v_mul_lo_u32 v9, v7, s18
	s_addc_u32 s5, s5, 0
	s_add_i32 s16, s16, -1
	v_sub_u32_e32 v9, v0, v9
	s_cmp_lg_u32 s16, 0
	v_mov_b32_e32 v0, v7
	v_mad_u64_u32 v[10:11], s[18:19], v9, s20, v[10:11]
	s_cbranch_scc1 .LBB128_46
.LBB128_47:                             ;   in Loop: Header=BB128_9 Depth=1
	s_cbranch_execnz .LBB128_50
.LBB128_48:                             ;   in Loop: Header=BB128_9 Depth=1
	v_mul_hi_u32 v0, v8, s10
	v_add_u32_e32 v0, v0, v8
	v_lshrrev_b32_e32 v0, s11, v0
	v_mul_lo_u32 v7, v0, s9
	v_sub_u32_e32 v7, v8, v7
	s_andn2_b64 vcc, exec, s[48:49]
	v_mul_lo_u32 v10, v7, s46
	s_cbranch_vccnz .LBB128_50
; %bb.49:                               ;   in Loop: Header=BB128_9 Depth=1
	v_mul_hi_u32 v7, s8, v0
	v_add_u32_e32 v7, v0, v7
	v_lshrrev_b32_e32 v7, s14, v7
	v_mul_lo_u32 v7, v7, s12
	v_sub_u32_e32 v0, v0, v7
	v_mad_u64_u32 v[10:11], s[4:5], v0, s47, v[10:11]
.LBB128_50:                             ;   in Loop: Header=BB128_9 Depth=1
	v_cvt_f32_u32_e32 v0, v1
	v_mov_b32_e32 v1, 0x2f800000
	v_fmac_f32_e32 v1, 0x2f800000, v0
	v_cmp_lt_f32_e32 vcc, v1, v39
	v_cndmask_b32_e64 v0, 0, 1, vcc
	global_store_byte v10, v0, s[28:29]
.LBB128_51:                             ;   in Loop: Header=BB128_9 Depth=1
	s_or_b64 exec, exec, s[2:3]
	v_mov_b32_e32 v1, s15
	v_add_co_u32_e32 v0, vcc, s13, v14
	v_addc_co_u32_e32 v1, vcc, v15, v1, vcc
	v_cmp_gt_i64_e32 vcc, s[24:25], v[0:1]
	s_and_saveexec_b64 s[2:3], vcc
	s_cbranch_execz .LBB128_67
; %bb.52:                               ;   in Loop: Header=BB128_9 Depth=1
	s_and_b64 vcc, exec, s[0:1]
	s_cbranch_vccnz .LBB128_58
; %bb.53:                               ;   in Loop: Header=BB128_9 Depth=1
	s_andn2_b64 vcc, exec, s[42:43]
	s_cbranch_vccnz .LBB128_59
; %bb.54:                               ;   in Loop: Header=BB128_9 Depth=1
	s_mov_b32 s6, 0
	s_andn2_b64 vcc, exec, s[30:31]
	v_mov_b32_e32 v8, 0
	s_cbranch_vccnz .LBB128_60
; %bb.55:                               ;   in Loop: Header=BB128_9 Depth=1
	s_mov_b32 s66, 0
	v_mov_b32_e32 v8, 0
	s_mov_b64 s[54:55], s[34:35]
	s_mov_b64 s[56:57], s[44:45]
	v_mov_b32_e32 v1, v0
.LBB128_56:                             ;   Parent Loop BB128_9 Depth=1
                                        ; =>  This Inner Loop Header: Depth=2
	s_load_dwordx8 s[16:23], s[54:55], 0x4
	s_load_dwordx4 s[4:7], s[54:55], 0x24
	s_load_dwordx4 s[36:39], s[56:57], 0x0
	s_add_u32 s54, s54, 48
	s_addc_u32 s55, s55, 0
	s_waitcnt lgkmcnt(0)
	v_mul_hi_u32 v7, s17, v1
	v_add_u32_e32 v7, v1, v7
	v_lshrrev_b32_e32 v7, s18, v7
	v_mul_lo_u32 v9, v7, s16
	v_mul_hi_u32 v10, s20, v7
	v_sub_u32_e32 v1, v1, v9
	v_add_u32_e32 v9, v7, v10
	v_lshrrev_b32_e32 v9, s21, v9
	v_mul_lo_u32 v10, v9, s19
	v_mul_hi_u32 v11, s23, v9
	v_sub_u32_e32 v7, v7, v10
	v_add_u32_e32 v10, v9, v11
	v_mul_lo_u32 v1, v1, s36
	v_mul_lo_u32 v7, v7, s37
	v_lshrrev_b32_e32 v10, s4, v10
	v_add3_u32 v7, v1, v8, v7
	v_mul_lo_u32 v1, v10, s22
	v_mul_hi_u32 v8, s6, v10
	v_sub_u32_e32 v1, v9, v1
	v_add_u32_e32 v8, v10, v8
	v_mul_lo_u32 v9, v1, s38
	v_lshrrev_b32_e32 v1, s7, v8
	s_add_i32 s66, s66, 4
	v_mul_lo_u32 v8, v1, s5
	s_add_u32 s56, s56, 16
	v_sub_u32_e32 v8, v10, v8
	s_addc_u32 s57, s57, 0
	v_mul_lo_u32 v8, v8, s39
	s_cmp_eq_u32 s65, s66
	v_add3_u32 v8, v9, v7, v8
	s_cbranch_scc0 .LBB128_56
; %bb.57:                               ;   in Loop: Header=BB128_9 Depth=1
	s_mov_b32 s6, s65
	s_andn2_b64 vcc, exec, s[52:53]
	s_cbranch_vccz .LBB128_61
	s_branch .LBB128_63
.LBB128_58:                             ;   in Loop: Header=BB128_9 Depth=1
                                        ; implicit-def: $vgpr8
	s_branch .LBB128_64
.LBB128_59:                             ;   in Loop: Header=BB128_9 Depth=1
	v_mov_b32_e32 v8, 0
	s_branch .LBB128_63
.LBB128_60:                             ;   in Loop: Header=BB128_9 Depth=1
	v_mov_b32_e32 v1, v0
	s_andn2_b64 vcc, exec, s[52:53]
	s_cbranch_vccnz .LBB128_63
.LBB128_61:                             ;   in Loop: Header=BB128_9 Depth=1
	s_lshl_b32 s4, s6, 2
	s_add_u32 s4, s44, s4
	s_addc_u32 s5, s45, 0
	s_mul_i32 s6, s6, 12
	s_add_u32 s6, s34, s6
	s_addc_u32 s7, s35, 0
	s_mov_b32 s16, s64
.LBB128_62:                             ;   Parent Loop BB128_9 Depth=1
                                        ; =>  This Inner Loop Header: Depth=2
	s_load_dwordx2 s[18:19], s[6:7], 0x4
	s_load_dword s17, s[6:7], 0xc
	s_load_dword s20, s[4:5], 0x0
	s_add_u32 s6, s6, 12
	s_addc_u32 s7, s7, 0
	s_waitcnt lgkmcnt(0)
	v_mul_hi_u32 v7, s19, v1
	v_add_u32_e32 v7, v1, v7
	v_lshrrev_b32_e32 v7, s17, v7
	s_add_u32 s4, s4, 4
	v_mul_lo_u32 v9, v7, s18
	s_addc_u32 s5, s5, 0
	s_add_i32 s16, s16, -1
	v_sub_u32_e32 v9, v1, v9
	s_cmp_lg_u32 s16, 0
	v_mov_b32_e32 v1, v7
	v_mad_u64_u32 v[8:9], s[18:19], v9, s20, v[8:9]
	s_cbranch_scc1 .LBB128_62
.LBB128_63:                             ;   in Loop: Header=BB128_9 Depth=1
	s_cbranch_execnz .LBB128_66
.LBB128_64:                             ;   in Loop: Header=BB128_9 Depth=1
	v_mul_hi_u32 v1, v0, s10
	v_add_u32_e32 v1, v1, v0
	v_lshrrev_b32_e32 v1, s11, v1
	v_mul_lo_u32 v7, v1, s9
	v_sub_u32_e32 v0, v0, v7
	s_andn2_b64 vcc, exec, s[48:49]
	v_mul_lo_u32 v8, v0, s46
	s_cbranch_vccnz .LBB128_66
; %bb.65:                               ;   in Loop: Header=BB128_9 Depth=1
	v_mul_hi_u32 v0, s8, v1
	v_add_u32_e32 v0, v1, v0
	v_lshrrev_b32_e32 v0, s14, v0
	v_mul_lo_u32 v0, v0, s12
	v_sub_u32_e32 v0, v1, v0
	v_mad_u64_u32 v[8:9], s[4:5], v0, s47, v[8:9]
.LBB128_66:                             ;   in Loop: Header=BB128_9 Depth=1
	v_cvt_f32_u32_e32 v0, v2
	v_mov_b32_e32 v1, 0x2f800000
	v_fmac_f32_e32 v1, 0x2f800000, v0
	v_cmp_lt_f32_e32 vcc, v1, v39
	v_cndmask_b32_e64 v0, 0, 1, vcc
	global_store_byte v8, v0, s[28:29]
.LBB128_67:                             ;   in Loop: Header=BB128_9 Depth=1
	s_or_b64 exec, exec, s[2:3]
	v_mov_b32_e32 v1, s63
	v_add_co_u32_e32 v0, vcc, s62, v14
	v_addc_co_u32_e32 v1, vcc, v15, v1, vcc
	v_cmp_gt_i64_e32 vcc, s[24:25], v[0:1]
	s_and_saveexec_b64 s[36:37], vcc
	s_cbranch_execz .LBB128_8
; %bb.68:                               ;   in Loop: Header=BB128_9 Depth=1
	s_and_b64 vcc, exec, s[0:1]
	s_cbranch_vccnz .LBB128_74
; %bb.69:                               ;   in Loop: Header=BB128_9 Depth=1
	s_andn2_b64 vcc, exec, s[42:43]
	s_cbranch_vccnz .LBB128_75
; %bb.70:                               ;   in Loop: Header=BB128_9 Depth=1
	s_mov_b32 s2, 0
	s_andn2_b64 vcc, exec, s[30:31]
	v_mov_b32_e32 v8, 0
	s_cbranch_vccnz .LBB128_76
; %bb.71:                               ;   in Loop: Header=BB128_9 Depth=1
	s_mov_b32 s56, 0
	v_mov_b32_e32 v8, 0
	s_mov_b64 s[38:39], s[34:35]
	s_mov_b64 s[54:55], s[44:45]
	v_mov_b32_e32 v1, v0
.LBB128_72:                             ;   Parent Loop BB128_9 Depth=1
                                        ; =>  This Inner Loop Header: Depth=2
	s_load_dwordx8 s[0:7], s[38:39], 0x4
	s_load_dwordx4 s[16:19], s[38:39], 0x24
	s_load_dwordx4 s[20:23], s[54:55], 0x0
	s_add_u32 s38, s38, 48
	s_addc_u32 s39, s39, 0
	s_waitcnt lgkmcnt(0)
	v_mul_hi_u32 v2, s1, v1
	v_add_u32_e32 v2, v1, v2
	v_lshrrev_b32_e32 v2, s2, v2
	v_mul_lo_u32 v7, v2, s0
	v_mul_hi_u32 v9, s4, v2
	v_sub_u32_e32 v1, v1, v7
	v_add_u32_e32 v7, v2, v9
	v_lshrrev_b32_e32 v7, s5, v7
	v_mul_lo_u32 v9, v7, s3
	v_mul_hi_u32 v10, s7, v7
	v_sub_u32_e32 v2, v2, v9
	v_add_u32_e32 v9, v7, v10
	v_mul_lo_u32 v1, v1, s20
	v_mul_lo_u32 v2, v2, s21
	v_lshrrev_b32_e32 v9, s16, v9
	v_add3_u32 v2, v1, v8, v2
	v_mul_lo_u32 v1, v9, s6
	v_mul_hi_u32 v8, s18, v9
	v_sub_u32_e32 v1, v7, v1
	v_add_u32_e32 v7, v9, v8
	v_mul_lo_u32 v8, v1, s22
	v_lshrrev_b32_e32 v1, s19, v7
	s_add_i32 s56, s56, 4
	v_mul_lo_u32 v7, v1, s17
	s_add_u32 s54, s54, 16
	v_sub_u32_e32 v7, v9, v7
	s_addc_u32 s55, s55, 0
	v_mul_lo_u32 v7, v7, s23
	s_cmp_eq_u32 s65, s56
	v_add3_u32 v8, v8, v2, v7
	s_cbranch_scc0 .LBB128_72
; %bb.73:                               ;   in Loop: Header=BB128_9 Depth=1
	s_mov_b32 s2, s65
	s_andn2_b64 vcc, exec, s[52:53]
	s_cbranch_vccz .LBB128_77
	s_branch .LBB128_79
.LBB128_74:                             ;   in Loop: Header=BB128_9 Depth=1
                                        ; implicit-def: $vgpr8
	s_branch .LBB128_80
.LBB128_75:                             ;   in Loop: Header=BB128_9 Depth=1
	v_mov_b32_e32 v8, 0
	s_branch .LBB128_79
.LBB128_76:                             ;   in Loop: Header=BB128_9 Depth=1
	v_mov_b32_e32 v1, v0
	s_andn2_b64 vcc, exec, s[52:53]
	s_cbranch_vccnz .LBB128_79
.LBB128_77:                             ;   in Loop: Header=BB128_9 Depth=1
	s_lshl_b32 s0, s2, 2
	s_add_u32 s0, s44, s0
	s_addc_u32 s1, s45, 0
	s_mul_i32 s2, s2, 12
	s_add_u32 s2, s34, s2
	s_addc_u32 s3, s35, 0
	s_mov_b32 s4, s64
.LBB128_78:                             ;   Parent Loop BB128_9 Depth=1
                                        ; =>  This Inner Loop Header: Depth=2
	s_load_dwordx2 s[6:7], s[2:3], 0x4
	s_load_dword s5, s[2:3], 0xc
	s_load_dword s16, s[0:1], 0x0
	s_add_u32 s2, s2, 12
	s_addc_u32 s3, s3, 0
	s_waitcnt lgkmcnt(0)
	v_mul_hi_u32 v2, s7, v1
	v_add_u32_e32 v2, v1, v2
	v_lshrrev_b32_e32 v2, s5, v2
	s_add_u32 s0, s0, 4
	v_mul_lo_u32 v7, v2, s6
	s_addc_u32 s1, s1, 0
	s_add_i32 s4, s4, -1
	v_sub_u32_e32 v7, v1, v7
	s_cmp_lg_u32 s4, 0
	v_mov_b32_e32 v1, v2
	v_mad_u64_u32 v[8:9], s[6:7], v7, s16, v[8:9]
	s_cbranch_scc1 .LBB128_78
.LBB128_79:                             ;   in Loop: Header=BB128_9 Depth=1
	s_cbranch_execnz .LBB128_7
.LBB128_80:                             ;   in Loop: Header=BB128_9 Depth=1
	v_mul_hi_u32 v1, v0, s10
	v_add_u32_e32 v1, v1, v0
	v_lshrrev_b32_e32 v1, s11, v1
	v_mul_lo_u32 v2, v1, s9
	v_sub_u32_e32 v0, v0, v2
	s_andn2_b64 vcc, exec, s[48:49]
	v_mul_lo_u32 v8, v0, s46
	s_cbranch_vccnz .LBB128_7
; %bb.81:                               ;   in Loop: Header=BB128_9 Depth=1
	v_mul_hi_u32 v0, s8, v1
	v_add_u32_e32 v0, v1, v0
	v_lshrrev_b32_e32 v0, s14, v0
	v_mul_lo_u32 v0, v0, s12
	v_sub_u32_e32 v0, v1, v0
	v_mad_u64_u32 v[8:9], s[0:1], v0, s47, v[8:9]
	s_branch .LBB128_7
.LBB128_82:
	s_endpgm
.LBB128_83:
                                        ; implicit-def: $sgpr2_sgpr3
	s_andn2_b64 vcc, exec, s[0:1]
	s_cbranch_vccz .LBB128_4
	s_branch .LBB128_5
	.section	.rodata,"a",@progbits
	.p2align	6, 0x0
	.amdhsa_kernel _ZN2at6native12_GLOBAL__N_143distribution_elementwise_grid_stride_kernelIfLi4EZNS0_9templates4cuda21uniform_and_transformIafPNS_17CUDAGeneratorImplEZZZNS4_16bernoulli_kernelIS7_EEvRNS_18TensorIteratorBaseEdT_ENKUlvE_clEvENKUlvE0_clEvEUlfE_EEvSA_T1_T2_EUlP25hiprandStatePhilox4_32_10E0_ZNS1_27distribution_nullary_kernelIaf15HIP_vector_typeIfLj4EES7_SJ_SE_EEvSA_SG_RKT3_T4_EUlifE0_EEvlNS_15PhiloxCudaStateESF_SG_
		.amdhsa_group_segment_fixed_size 0
		.amdhsa_private_segment_fixed_size 0
		.amdhsa_kernarg_size 584
		.amdhsa_user_sgpr_count 6
		.amdhsa_user_sgpr_private_segment_buffer 1
		.amdhsa_user_sgpr_dispatch_ptr 0
		.amdhsa_user_sgpr_queue_ptr 0
		.amdhsa_user_sgpr_kernarg_segment_ptr 1
		.amdhsa_user_sgpr_dispatch_id 0
		.amdhsa_user_sgpr_flat_scratch_init 0
		.amdhsa_user_sgpr_kernarg_preload_length 0
		.amdhsa_user_sgpr_kernarg_preload_offset 0
		.amdhsa_user_sgpr_private_segment_size 0
		.amdhsa_uses_dynamic_stack 0
		.amdhsa_system_sgpr_private_segment_wavefront_offset 0
		.amdhsa_system_sgpr_workgroup_id_x 1
		.amdhsa_system_sgpr_workgroup_id_y 0
		.amdhsa_system_sgpr_workgroup_id_z 0
		.amdhsa_system_sgpr_workgroup_info 0
		.amdhsa_system_vgpr_workitem_id 0
		.amdhsa_next_free_vgpr 42
		.amdhsa_next_free_sgpr 67
		.amdhsa_accum_offset 44
		.amdhsa_reserve_vcc 1
		.amdhsa_reserve_flat_scratch 0
		.amdhsa_float_round_mode_32 0
		.amdhsa_float_round_mode_16_64 0
		.amdhsa_float_denorm_mode_32 3
		.amdhsa_float_denorm_mode_16_64 3
		.amdhsa_dx10_clamp 1
		.amdhsa_ieee_mode 1
		.amdhsa_fp16_overflow 0
		.amdhsa_tg_split 0
		.amdhsa_exception_fp_ieee_invalid_op 0
		.amdhsa_exception_fp_denorm_src 0
		.amdhsa_exception_fp_ieee_div_zero 0
		.amdhsa_exception_fp_ieee_overflow 0
		.amdhsa_exception_fp_ieee_underflow 0
		.amdhsa_exception_fp_ieee_inexact 0
		.amdhsa_exception_int_div_zero 0
	.end_amdhsa_kernel
	.section	.text._ZN2at6native12_GLOBAL__N_143distribution_elementwise_grid_stride_kernelIfLi4EZNS0_9templates4cuda21uniform_and_transformIafPNS_17CUDAGeneratorImplEZZZNS4_16bernoulli_kernelIS7_EEvRNS_18TensorIteratorBaseEdT_ENKUlvE_clEvENKUlvE0_clEvEUlfE_EEvSA_T1_T2_EUlP25hiprandStatePhilox4_32_10E0_ZNS1_27distribution_nullary_kernelIaf15HIP_vector_typeIfLj4EES7_SJ_SE_EEvSA_SG_RKT3_T4_EUlifE0_EEvlNS_15PhiloxCudaStateESF_SG_,"axG",@progbits,_ZN2at6native12_GLOBAL__N_143distribution_elementwise_grid_stride_kernelIfLi4EZNS0_9templates4cuda21uniform_and_transformIafPNS_17CUDAGeneratorImplEZZZNS4_16bernoulli_kernelIS7_EEvRNS_18TensorIteratorBaseEdT_ENKUlvE_clEvENKUlvE0_clEvEUlfE_EEvSA_T1_T2_EUlP25hiprandStatePhilox4_32_10E0_ZNS1_27distribution_nullary_kernelIaf15HIP_vector_typeIfLj4EES7_SJ_SE_EEvSA_SG_RKT3_T4_EUlifE0_EEvlNS_15PhiloxCudaStateESF_SG_,comdat
.Lfunc_end128:
	.size	_ZN2at6native12_GLOBAL__N_143distribution_elementwise_grid_stride_kernelIfLi4EZNS0_9templates4cuda21uniform_and_transformIafPNS_17CUDAGeneratorImplEZZZNS4_16bernoulli_kernelIS7_EEvRNS_18TensorIteratorBaseEdT_ENKUlvE_clEvENKUlvE0_clEvEUlfE_EEvSA_T1_T2_EUlP25hiprandStatePhilox4_32_10E0_ZNS1_27distribution_nullary_kernelIaf15HIP_vector_typeIfLj4EES7_SJ_SE_EEvSA_SG_RKT3_T4_EUlifE0_EEvlNS_15PhiloxCudaStateESF_SG_, .Lfunc_end128-_ZN2at6native12_GLOBAL__N_143distribution_elementwise_grid_stride_kernelIfLi4EZNS0_9templates4cuda21uniform_and_transformIafPNS_17CUDAGeneratorImplEZZZNS4_16bernoulli_kernelIS7_EEvRNS_18TensorIteratorBaseEdT_ENKUlvE_clEvENKUlvE0_clEvEUlfE_EEvSA_T1_T2_EUlP25hiprandStatePhilox4_32_10E0_ZNS1_27distribution_nullary_kernelIaf15HIP_vector_typeIfLj4EES7_SJ_SE_EEvSA_SG_RKT3_T4_EUlifE0_EEvlNS_15PhiloxCudaStateESF_SG_
                                        ; -- End function
	.section	.AMDGPU.csdata,"",@progbits
; Kernel info:
; codeLenInByte = 4432
; NumSgprs: 71
; NumVgprs: 42
; NumAgprs: 0
; TotalNumVgprs: 42
; ScratchSize: 0
; MemoryBound: 0
; FloatMode: 240
; IeeeMode: 1
; LDSByteSize: 0 bytes/workgroup (compile time only)
; SGPRBlocks: 8
; VGPRBlocks: 5
; NumSGPRsForWavesPerEU: 71
; NumVGPRsForWavesPerEU: 42
; AccumOffset: 44
; Occupancy: 8
; WaveLimiterHint : 1
; COMPUTE_PGM_RSRC2:SCRATCH_EN: 0
; COMPUTE_PGM_RSRC2:USER_SGPR: 6
; COMPUTE_PGM_RSRC2:TRAP_HANDLER: 0
; COMPUTE_PGM_RSRC2:TGID_X_EN: 1
; COMPUTE_PGM_RSRC2:TGID_Y_EN: 0
; COMPUTE_PGM_RSRC2:TGID_Z_EN: 0
; COMPUTE_PGM_RSRC2:TIDIG_COMP_CNT: 0
; COMPUTE_PGM_RSRC3_GFX90A:ACCUM_OFFSET: 10
; COMPUTE_PGM_RSRC3_GFX90A:TG_SPLIT: 0
	.section	.text._ZN2at6native12_GLOBAL__N_143distribution_elementwise_grid_stride_kernelIfLi4EZNS0_9templates4cuda21uniform_and_transformIifPNS_17CUDAGeneratorImplEZZZNS4_16bernoulli_kernelIS7_EEvRNS_18TensorIteratorBaseEdT_ENKUlvE_clEvENKUlvE1_clEvEUlfE_EEvSA_T1_T2_EUlP25hiprandStatePhilox4_32_10E_ZNS1_27distribution_nullary_kernelIif15HIP_vector_typeIdLj2EES7_SJ_SE_EEvSA_SG_RKT3_T4_EUlifE_EEvlNS_15PhiloxCudaStateESF_SG_,"axG",@progbits,_ZN2at6native12_GLOBAL__N_143distribution_elementwise_grid_stride_kernelIfLi4EZNS0_9templates4cuda21uniform_and_transformIifPNS_17CUDAGeneratorImplEZZZNS4_16bernoulli_kernelIS7_EEvRNS_18TensorIteratorBaseEdT_ENKUlvE_clEvENKUlvE1_clEvEUlfE_EEvSA_T1_T2_EUlP25hiprandStatePhilox4_32_10E_ZNS1_27distribution_nullary_kernelIif15HIP_vector_typeIdLj2EES7_SJ_SE_EEvSA_SG_RKT3_T4_EUlifE_EEvlNS_15PhiloxCudaStateESF_SG_,comdat
	.globl	_ZN2at6native12_GLOBAL__N_143distribution_elementwise_grid_stride_kernelIfLi4EZNS0_9templates4cuda21uniform_and_transformIifPNS_17CUDAGeneratorImplEZZZNS4_16bernoulli_kernelIS7_EEvRNS_18TensorIteratorBaseEdT_ENKUlvE_clEvENKUlvE1_clEvEUlfE_EEvSA_T1_T2_EUlP25hiprandStatePhilox4_32_10E_ZNS1_27distribution_nullary_kernelIif15HIP_vector_typeIdLj2EES7_SJ_SE_EEvSA_SG_RKT3_T4_EUlifE_EEvlNS_15PhiloxCudaStateESF_SG_ ; -- Begin function _ZN2at6native12_GLOBAL__N_143distribution_elementwise_grid_stride_kernelIfLi4EZNS0_9templates4cuda21uniform_and_transformIifPNS_17CUDAGeneratorImplEZZZNS4_16bernoulli_kernelIS7_EEvRNS_18TensorIteratorBaseEdT_ENKUlvE_clEvENKUlvE1_clEvEUlfE_EEvSA_T1_T2_EUlP25hiprandStatePhilox4_32_10E_ZNS1_27distribution_nullary_kernelIif15HIP_vector_typeIdLj2EES7_SJ_SE_EEvSA_SG_RKT3_T4_EUlifE_EEvlNS_15PhiloxCudaStateESF_SG_
	.p2align	8
	.type	_ZN2at6native12_GLOBAL__N_143distribution_elementwise_grid_stride_kernelIfLi4EZNS0_9templates4cuda21uniform_and_transformIifPNS_17CUDAGeneratorImplEZZZNS4_16bernoulli_kernelIS7_EEvRNS_18TensorIteratorBaseEdT_ENKUlvE_clEvENKUlvE1_clEvEUlfE_EEvSA_T1_T2_EUlP25hiprandStatePhilox4_32_10E_ZNS1_27distribution_nullary_kernelIif15HIP_vector_typeIdLj2EES7_SJ_SE_EEvSA_SG_RKT3_T4_EUlifE_EEvlNS_15PhiloxCudaStateESF_SG_,@function
_ZN2at6native12_GLOBAL__N_143distribution_elementwise_grid_stride_kernelIfLi4EZNS0_9templates4cuda21uniform_and_transformIifPNS_17CUDAGeneratorImplEZZZNS4_16bernoulli_kernelIS7_EEvRNS_18TensorIteratorBaseEdT_ENKUlvE_clEvENKUlvE1_clEvEUlfE_EEvSA_T1_T2_EUlP25hiprandStatePhilox4_32_10E_ZNS1_27distribution_nullary_kernelIif15HIP_vector_typeIdLj2EES7_SJ_SE_EEvSA_SG_RKT3_T4_EUlifE_EEvlNS_15PhiloxCudaStateESF_SG_: ; @_ZN2at6native12_GLOBAL__N_143distribution_elementwise_grid_stride_kernelIfLi4EZNS0_9templates4cuda21uniform_and_transformIifPNS_17CUDAGeneratorImplEZZZNS4_16bernoulli_kernelIS7_EEvRNS_18TensorIteratorBaseEdT_ENKUlvE_clEvENKUlvE1_clEvEUlfE_EEvSA_T1_T2_EUlP25hiprandStatePhilox4_32_10E_ZNS1_27distribution_nullary_kernelIif15HIP_vector_typeIdLj2EES7_SJ_SE_EEvSA_SG_RKT3_T4_EUlifE_EEvlNS_15PhiloxCudaStateESF_SG_
; %bb.0:
	s_load_dword s7, s[4:5], 0x20
	s_load_dwordx2 s[10:11], s[4:5], 0x10
	s_load_dwordx4 s[0:3], s[4:5], 0x0
	s_mov_b32 s8, 0
	s_waitcnt lgkmcnt(0)
	s_bitcmp0_b32 s7, 0
	v_pk_mov_b32 v[2:3], s[10:11], s[10:11] op_sel:[0,1]
	v_pk_mov_b32 v[14:15], s[2:3], s[2:3] op_sel:[0,1]
	s_cbranch_scc1 .LBB129_2
; %bb.1:
	v_pk_mov_b32 v[2:3], s[10:11], s[10:11] op_sel:[0,1]
	flat_load_dwordx2 v[2:3], v[2:3]
	v_pk_mov_b32 v[4:5], s[2:3], s[2:3] op_sel:[0,1]
	flat_load_dwordx2 v[14:15], v[4:5]
	s_load_dwordx2 s[2:3], s[4:5], 0x18
	s_waitcnt lgkmcnt(0)
	v_mov_b32_e32 v1, s3
	s_waitcnt vmcnt(0)
	v_add_co_u32_e32 v2, vcc, s2, v2
	v_addc_co_u32_e32 v3, vcc, v3, v1, vcc
.LBB129_2:
	s_load_dword s2, s[4:5], 0x54
	s_load_dword s17, s[4:5], 0x48
	s_waitcnt lgkmcnt(0)
	s_and_b32 s7, s2, 0xffff
	s_add_u32 s10, s0, -1
	s_mul_i32 s12, s17, s7
	s_addc_u32 s9, s1, -1
	s_lshl_b32 s13, s12, 2
	s_cmp_lg_u64 s[8:9], 0
	s_mov_b64 s[2:3], -1
	s_cbranch_scc0 .LBB129_23
; %bb.3:
	v_cvt_f32_u32_e32 v1, s13
	v_cvt_f32_ubyte0_e32 v4, 0
	s_sub_u32 s8, 0, s13
	s_subb_u32 s11, 0, 0
	v_madmk_f32 v1, v4, 0x4f800000, v1
	v_rcp_f32_e32 v1, v1
	v_mul_f32_e32 v1, 0x5f7ffffc, v1
	v_mul_f32_e32 v4, 0x2f800000, v1
	v_trunc_f32_e32 v4, v4
	v_madmk_f32 v1, v4, 0xcf800000, v1
	v_cvt_u32_f32_e32 v4, v4
	v_cvt_u32_f32_e32 v1, v1
	v_readfirstlane_b32 s14, v4
	v_readfirstlane_b32 s15, v1
	s_mul_i32 s16, s8, s14
	s_mul_hi_u32 s19, s8, s15
	s_mul_i32 s18, s11, s15
	s_add_i32 s16, s19, s16
	s_add_i32 s16, s16, s18
	s_mul_i32 s20, s8, s15
	s_mul_hi_u32 s18, s15, s16
	s_mul_i32 s19, s15, s16
	s_mul_hi_u32 s15, s15, s20
	s_add_u32 s15, s15, s19
	s_addc_u32 s18, 0, s18
	s_mul_hi_u32 s21, s14, s20
	s_mul_i32 s20, s14, s20
	s_add_u32 s15, s15, s20
	s_mul_hi_u32 s19, s14, s16
	s_addc_u32 s15, s18, s21
	s_addc_u32 s18, s19, 0
	s_mul_i32 s16, s14, s16
	s_add_u32 s15, s15, s16
	s_addc_u32 s16, 0, s18
	v_add_co_u32_e32 v1, vcc, s15, v1
	s_cmp_lg_u64 vcc, 0
	s_addc_u32 s14, s14, s16
	v_readfirstlane_b32 s16, v1
	s_mul_i32 s15, s8, s14
	s_mul_hi_u32 s18, s8, s16
	s_add_i32 s15, s18, s15
	s_mul_i32 s11, s11, s16
	s_add_i32 s15, s15, s11
	s_mul_i32 s8, s8, s16
	s_mul_hi_u32 s18, s14, s8
	s_mul_i32 s19, s14, s8
	s_mul_i32 s21, s16, s15
	s_mul_hi_u32 s8, s16, s8
	s_mul_hi_u32 s20, s16, s15
	s_add_u32 s8, s8, s21
	s_addc_u32 s16, 0, s20
	s_add_u32 s8, s8, s19
	s_mul_hi_u32 s11, s14, s15
	s_addc_u32 s8, s16, s18
	s_addc_u32 s11, s11, 0
	s_mul_i32 s15, s14, s15
	s_add_u32 s8, s8, s15
	s_addc_u32 s11, 0, s11
	v_add_co_u32_e32 v1, vcc, s8, v1
	s_cmp_lg_u64 vcc, 0
	s_addc_u32 s11, s14, s11
	s_ashr_i32 s14, s9, 31
	s_add_u32 s8, s10, s14
	s_mov_b32 s15, s14
	s_addc_u32 s9, s9, s14
	s_xor_b64 s[8:9], s[8:9], s[14:15]
	v_readfirstlane_b32 s19, v1
	s_mul_i32 s18, s8, s11
	s_mul_hi_u32 s20, s8, s19
	s_mul_hi_u32 s16, s8, s11
	s_add_u32 s18, s20, s18
	s_addc_u32 s16, 0, s16
	s_mul_hi_u32 s21, s9, s19
	s_mul_i32 s19, s9, s19
	s_add_u32 s18, s18, s19
	s_mul_hi_u32 s20, s9, s11
	s_addc_u32 s16, s16, s21
	s_addc_u32 s18, s20, 0
	s_mul_i32 s11, s9, s11
	s_add_u32 s11, s16, s11
	s_addc_u32 s16, 0, s18
	s_add_u32 s18, s11, 1
	s_addc_u32 s19, s16, 0
	s_add_u32 s20, s11, 2
	s_mul_i32 s22, s13, s16
	s_mul_hi_u32 s23, s13, s11
	s_addc_u32 s21, s16, 0
	s_add_i32 s23, s23, s22
	s_mul_i32 s22, s13, s11
	v_mov_b32_e32 v1, s22
	v_sub_co_u32_e32 v1, vcc, s8, v1
	s_cmp_lg_u64 vcc, 0
	s_subb_u32 s8, s9, s23
	v_subrev_co_u32_e32 v4, vcc, s13, v1
	s_cmp_lg_u64 vcc, 0
	s_subb_u32 s9, s8, 0
	v_readfirstlane_b32 s22, v4
	s_cmp_ge_u32 s22, s13
	s_cselect_b32 s22, -1, 0
	s_cmp_eq_u32 s9, 0
	s_cselect_b32 s9, s22, -1
	s_cmp_lg_u32 s9, 0
	s_cselect_b32 s9, s21, s19
	v_readfirstlane_b32 s19, v1
	s_cselect_b32 s18, s20, s18
	s_cmp_ge_u32 s19, s13
	s_cselect_b32 s19, -1, 0
	s_cmp_eq_u32 s8, 0
	s_cselect_b32 s8, s19, -1
	s_cmp_lg_u32 s8, 0
	s_cselect_b32 s9, s9, s16
	s_cselect_b32 s8, s18, s11
	s_xor_b64 s[8:9], s[8:9], s[14:15]
	s_sub_u32 s8, s8, s14
	s_subb_u32 s9, s9, s14
	s_cbranch_execnz .LBB129_5
.LBB129_4:
	v_cvt_f32_u32_e32 v1, s13
	s_sub_i32 s2, 0, s13
	s_mov_b32 s9, 0
	v_rcp_iflag_f32_e32 v1, v1
	v_mul_f32_e32 v1, 0x4f7ffffe, v1
	v_cvt_u32_f32_e32 v1, v1
	v_readfirstlane_b32 s3, v1
	s_mul_i32 s2, s2, s3
	s_mul_hi_u32 s2, s3, s2
	s_add_i32 s3, s3, s2
	s_mul_hi_u32 s2, s10, s3
	s_mul_i32 s8, s2, s13
	s_sub_i32 s8, s10, s8
	s_add_i32 s3, s2, 1
	s_sub_i32 s10, s8, s13
	s_cmp_ge_u32 s8, s13
	s_cselect_b32 s2, s3, s2
	s_cselect_b32 s8, s10, s8
	s_add_i32 s3, s2, 1
	s_cmp_ge_u32 s8, s13
	s_cselect_b32 s8, s3, s2
.LBB129_5:
	v_mov_b32_e32 v1, 0
	v_mov_b32_e32 v4, s6
	v_mad_u64_u32 v[16:17], s[2:3], s7, v4, v[0:1]
	s_add_u32 s2, s8, 1
	s_addc_u32 s3, s9, 0
	s_mul_hi_u32 s8, s17, s7
	s_mul_i32 s3, s12, s3
	s_mul_hi_u32 s9, s12, s2
	s_add_i32 s3, s9, s3
	s_mul_i32 s8, s8, s2
	s_add_i32 s3, s3, s8
	s_mul_i32 s2, s12, s2
	s_lshl_b64 s[2:3], s[2:3], 2
	v_cmp_gt_i64_e32 vcc, s[2:3], v[16:17]
	s_and_saveexec_b64 s[8:9], vcc
	s_cbranch_execz .LBB129_22
; %bb.6:
	s_load_dwordx2 s[8:9], s[4:5], 0x30
	s_load_dword s19, s[4:5], 0x38
	s_load_dwordx2 s[10:11], s[4:5], 0x40
	s_mov_b32 s4, 0x5384540f
	v_mov_b32_e32 v4, v15
	v_add_co_u32_e32 v22, vcc, s4, v14
	s_mov_b32 s4, 0x646e171e
	v_add_co_u32_e32 v23, vcc, s4, v4
	s_mov_b32 s4, 0x1715609d
	;; [unrolled: 2-line block ×6, first 2 shown]
	v_alignbit_b32 v29, v3, v2, 2
	s_mov_b32 s15, 0xd2511f53
	v_add_co_u32_e32 v28, vcc, s4, v14
	v_mad_u64_u32 v[6:7], s[4:5], v29, s15, 0
	v_xor_b32_e32 v1, v7, v15
	v_xor_b32_e32 v1, v1, v17
	s_mov_b32 s16, 0xcd9e8d57
	v_mad_u64_u32 v[8:9], s[4:5], v1, s16, 0
	v_xor_b32_e32 v1, v28, v9
	v_mad_u64_u32 v[10:11], s[4:5], v16, s16, 0
	v_and_b32_e32 v18, 3, v2
	v_xor_b32_e32 v1, v1, v10
	v_xor_b32_e32 v2, v14, v11
	v_lshrrev_b32_e32 v30, 2, v3
	v_mad_u64_u32 v[12:13], s[4:5], v1, s15, 0
	v_xor_b32_e32 v2, v2, v30
	v_xor_b32_e32 v1, v27, v13
	v_mad_u64_u32 v[2:3], s[4:5], v2, s15, 0
	v_xor_b32_e32 v1, v1, v2
	v_mad_u64_u32 v[10:11], s[4:5], v1, s16, 0
	s_mov_b32 s4, 0xbb67ae85
	v_add_co_u32_e32 v31, vcc, s4, v4
	v_xor_b32_e32 v2, v31, v3
	v_xor_b32_e32 v2, v2, v6
	v_xor_b32_e32 v1, v26, v11
	v_mad_u64_u32 v[2:3], s[4:5], v2, s16, 0
	v_xor_b32_e32 v1, v1, v2
	v_mad_u64_u32 v[6:7], s[4:5], v1, s15, 0
	s_mov_b32 s4, 0x3c6ef372
	v_add_co_u32_e32 v32, vcc, s4, v14
	v_xor_b32_e32 v2, v32, v3
	;; [unrolled: 8-line block ×6, first 2 shown]
	v_add_co_u32_e32 v21, vcc, 0xdb3d7428, v4
	v_xor_b32_e32 v2, v2, v8
	v_xor_b32_e32 v1, v21, v7
	v_mad_u64_u32 v[2:3], s[4:5], v2, s15, 0
	v_xor_b32_e32 v1, v1, v2
	v_mad_u64_u32 v[8:9], s[4:5], v1, s16, 0
	s_mov_b32 s4, 0x1fd5c5a3
	v_add_co_u32_e32 v37, vcc, s4, v4
	v_xor_b32_e32 v1, v37, v3
	v_xor_b32_e32 v1, v1, v12
	v_mad_u64_u32 v[2:3], s[4:5], v1, s16, 0
	s_mov_b32 s4, 0xf1bbcdc8
	v_add_u32_e32 v19, 0x8ff34781, v14
	v_xor_b32_e32 v1, v9, v2
	v_add_co_u32_e32 v38, vcc, s4, v14
	v_xor_b32_e32 v2, v19, v1
	v_xor_b32_e32 v1, v38, v3
	;; [unrolled: 1-line block ×3, first 2 shown]
	v_mad_u64_u32 v[10:11], s[4:5], v1, s15, 0
	v_add_u32_e32 v20, 0x96a522ad, v15
	v_xor_b32_e32 v1, v11, v6
	s_mul_i32 s4, s6, s7
	v_xor_b32_e32 v4, v20, v1
	v_add_u32_e32 v1, s4, v0
	s_waitcnt lgkmcnt(0)
	s_mul_i32 s4, s17, s19
	s_mul_i32 s4, s4, s7
	s_lshl_b32 s18, s4, 2
	s_add_i32 s4, s6, s17
	s_mul_i32 s4, s4, s7
	s_mov_b32 s14, 0
	v_add_u32_e32 v0, s4, v0
	v_mov_b32_e32 v3, v8
	v_mov_b32_e32 v5, v10
	v_cvt_f32_f64_e32 v39, s[10:11]
	v_mul_lo_u32 v40, s19, v1
	v_mul_lo_u32 v41, s19, v0
	s_mov_b64 s[4:5], 0
	s_mov_b32 s17, s14
	v_mov_b32_e32 v42, v16
	v_mov_b32_e32 v43, v17
	s_branch .LBB129_8
.LBB129_7:                              ;   in Loop: Header=BB129_8 Depth=1
	s_or_b64 exec, exec, s[6:7]
	v_add_co_u32_e32 v16, vcc, s13, v16
	v_addc_co_u32_e32 v17, vcc, 0, v17, vcc
	v_mov_b32_e32 v9, v0
	s_add_i32 s17, s17, s18
	v_cmp_le_i64_e32 vcc, s[2:3], v[16:17]
	v_pk_mov_b32 v[2:3], v[6:7], v[6:7] op_sel:[0,1]
	s_or_b64 s[4:5], vcc, s[4:5]
	v_pk_mov_b32 v[4:5], v[8:9], v[8:9] op_sel:[0,1]
	s_barrier
	s_andn2_b64 exec, exec, s[4:5]
	s_cbranch_execz .LBB129_22
.LBB129_8:                              ; =>This Inner Loop Header: Depth=1
	v_add_co_u32_e32 v29, vcc, 1, v29
	v_cndmask_b32_e64 v0, 0, 1, vcc
	v_addc_co_u32_e32 v30, vcc, 0, v30, vcc
	v_cmp_eq_u32_e32 vcc, 0, v30
	v_cndmask_b32_e32 v0, 0, v0, vcc
	v_add_u32_e32 v42, v0, v42
	v_cmp_eq_u32_e32 vcc, 0, v42
	v_cndmask_b32_e32 v0, 0, v0, vcc
	v_add_u32_e32 v43, v0, v43
	v_mad_u64_u32 v[0:1], s[6:7], v29, s15, 0
	v_mad_u64_u32 v[6:7], s[6:7], v42, s16, 0
	v_xor_b32_e32 v1, v1, v15
	v_xor_b32_e32 v7, v7, v14
	v_xor_b32_e32 v1, v43, v1
	v_xor_b32_e32 v7, v30, v7
	v_mad_u64_u32 v[10:11], s[6:7], v1, s16, 0
	v_mad_u64_u32 v[8:9], s[6:7], v7, s15, 0
	v_xor_b32_e32 v1, v28, v11
	v_xor_b32_e32 v1, v1, v6
	v_xor_b32_e32 v6, v31, v9
	v_xor_b32_e32 v6, v6, v0
	;; [unrolled: 6-line block ×10, first 2 shown]
	v_mov_b32_e32 v7, v12
	v_mov_b32_e32 v8, v13
	v_cmp_lt_i32_e32 vcc, 1, v18
	s_and_saveexec_b64 s[6:7], vcc
	s_xor_b64 s[6:7], exec, s[6:7]
	s_cbranch_execnz .LBB129_14
; %bb.9:                                ;   in Loop: Header=BB129_8 Depth=1
	s_andn2_saveexec_b64 s[6:7], s[6:7]
	s_cbranch_execnz .LBB129_19
.LBB129_10:                             ;   in Loop: Header=BB129_8 Depth=1
	s_or_b64 exec, exec, s[6:7]
	v_cmp_gt_i64_e32 vcc, s[0:1], v[16:17]
	s_and_saveexec_b64 s[6:7], vcc
	s_cbranch_execz .LBB129_12
.LBB129_11:                             ;   in Loop: Header=BB129_8 Depth=1
	v_lshrrev_b32_e32 v1, 11, v3
	v_cvt_f64_u32_e32 v[10:11], v1
	v_ldexp_f64 v[10:11], v[10:11], 32
	v_cvt_f64_u32_e32 v[2:3], v2
	v_add_f64 v[2:3], v[10:11], v[2:3]
	v_mov_b32_e32 v10, 0
	v_mov_b32_e32 v11, 0x3ca00000
	v_fmac_f64_e32 v[10:11], 0x3ca00000, v[2:3]
	v_add_u32_e32 v2, s17, v40
	v_ashrrev_i32_e32 v3, 31, v2
	v_mov_b32_e32 v9, s9
	v_add_co_u32_e32 v2, vcc, s8, v2
	v_cvt_f32_f64_e32 v1, v[10:11]
	v_addc_co_u32_e32 v3, vcc, v9, v3, vcc
	v_cmp_gt_f32_e32 vcc, v39, v1
	v_cndmask_b32_e64 v1, 0, 1, vcc
	global_store_dword v[2:3], v1, off
.LBB129_12:                             ;   in Loop: Header=BB129_8 Depth=1
	s_or_b64 exec, exec, s[6:7]
	v_mov_b32_e32 v1, s14
	v_add_co_u32_e32 v2, vcc, s12, v16
	v_addc_co_u32_e32 v3, vcc, v1, v17, vcc
	v_cmp_gt_i64_e32 vcc, s[0:1], v[2:3]
	s_and_saveexec_b64 s[6:7], vcc
	s_cbranch_execz .LBB129_7
; %bb.13:                               ;   in Loop: Header=BB129_8 Depth=1
	v_lshrrev_b32_e32 v1, 11, v5
	v_cvt_f64_u32_e32 v[2:3], v1
	v_ldexp_f64 v[2:3], v[2:3], 32
	v_cvt_f64_u32_e32 v[4:5], v4
	v_add_f64 v[2:3], v[2:3], v[4:5]
	v_mov_b32_e32 v4, 0
	v_mov_b32_e32 v5, 0x3ca00000
	v_fmac_f64_e32 v[4:5], 0x3ca00000, v[2:3]
	v_add_u32_e32 v2, s17, v41
	v_cvt_f32_f64_e32 v1, v[4:5]
	v_ashrrev_i32_e32 v3, 31, v2
	v_mov_b32_e32 v4, s9
	v_add_co_u32_e32 v2, vcc, s8, v2
	v_addc_co_u32_e32 v3, vcc, v4, v3, vcc
	v_cmp_gt_f32_e32 vcc, v39, v1
	v_cndmask_b32_e64 v1, 0, 1, vcc
	global_store_dword v[2:3], v1, off
	s_branch .LBB129_7
.LBB129_14:                             ;   in Loop: Header=BB129_8 Depth=1
	v_cmp_lt_i32_e32 vcc, 2, v18
	s_and_saveexec_b64 s[10:11], vcc
	s_xor_b64 s[10:11], exec, s[10:11]
; %bb.15:                               ;   in Loop: Header=BB129_8 Depth=1
	v_mov_b32_e32 v10, v5
	v_mov_b32_e32 v11, v6
	v_pk_mov_b32 v[2:3], v[10:11], v[10:11] op_sel:[0,1]
	v_pk_mov_b32 v[4:5], v[12:13], v[12:13] op_sel:[0,1]
                                        ; implicit-def: $vgpr12_vgpr13
; %bb.16:                               ;   in Loop: Header=BB129_8 Depth=1
	s_andn2_saveexec_b64 s[10:11], s[10:11]
; %bb.17:                               ;   in Loop: Header=BB129_8 Depth=1
	v_mov_b32_e32 v2, v4
	v_mov_b32_e32 v3, v5
	;; [unrolled: 1-line block ×4, first 2 shown]
; %bb.18:                               ;   in Loop: Header=BB129_8 Depth=1
	s_or_b64 exec, exec, s[10:11]
	s_andn2_saveexec_b64 s[6:7], s[6:7]
	s_cbranch_execz .LBB129_10
.LBB129_19:                             ;   in Loop: Header=BB129_8 Depth=1
	v_cmp_eq_u32_e32 vcc, 1, v18
	s_and_saveexec_b64 s[10:11], vcc
; %bb.20:                               ;   in Loop: Header=BB129_8 Depth=1
	v_mov_b32_e32 v2, v3
	v_mov_b32_e32 v3, v4
	;; [unrolled: 1-line block ×4, first 2 shown]
; %bb.21:                               ;   in Loop: Header=BB129_8 Depth=1
	s_or_b64 exec, exec, s[10:11]
	s_or_b64 exec, exec, s[6:7]
	v_cmp_gt_i64_e32 vcc, s[0:1], v[16:17]
	s_and_saveexec_b64 s[6:7], vcc
	s_cbranch_execnz .LBB129_11
	s_branch .LBB129_12
.LBB129_22:
	s_endpgm
.LBB129_23:
                                        ; implicit-def: $sgpr8_sgpr9
	s_andn2_b64 vcc, exec, s[2:3]
	s_cbranch_vccz .LBB129_4
	s_branch .LBB129_5
	.section	.rodata,"a",@progbits
	.p2align	6, 0x0
	.amdhsa_kernel _ZN2at6native12_GLOBAL__N_143distribution_elementwise_grid_stride_kernelIfLi4EZNS0_9templates4cuda21uniform_and_transformIifPNS_17CUDAGeneratorImplEZZZNS4_16bernoulli_kernelIS7_EEvRNS_18TensorIteratorBaseEdT_ENKUlvE_clEvENKUlvE1_clEvEUlfE_EEvSA_T1_T2_EUlP25hiprandStatePhilox4_32_10E_ZNS1_27distribution_nullary_kernelIif15HIP_vector_typeIdLj2EES7_SJ_SE_EEvSA_SG_RKT3_T4_EUlifE_EEvlNS_15PhiloxCudaStateESF_SG_
		.amdhsa_group_segment_fixed_size 0
		.amdhsa_private_segment_fixed_size 0
		.amdhsa_kernarg_size 328
		.amdhsa_user_sgpr_count 6
		.amdhsa_user_sgpr_private_segment_buffer 1
		.amdhsa_user_sgpr_dispatch_ptr 0
		.amdhsa_user_sgpr_queue_ptr 0
		.amdhsa_user_sgpr_kernarg_segment_ptr 1
		.amdhsa_user_sgpr_dispatch_id 0
		.amdhsa_user_sgpr_flat_scratch_init 0
		.amdhsa_user_sgpr_kernarg_preload_length 0
		.amdhsa_user_sgpr_kernarg_preload_offset 0
		.amdhsa_user_sgpr_private_segment_size 0
		.amdhsa_uses_dynamic_stack 0
		.amdhsa_system_sgpr_private_segment_wavefront_offset 0
		.amdhsa_system_sgpr_workgroup_id_x 1
		.amdhsa_system_sgpr_workgroup_id_y 0
		.amdhsa_system_sgpr_workgroup_id_z 0
		.amdhsa_system_sgpr_workgroup_info 0
		.amdhsa_system_vgpr_workitem_id 0
		.amdhsa_next_free_vgpr 46
		.amdhsa_next_free_sgpr 24
		.amdhsa_accum_offset 48
		.amdhsa_reserve_vcc 1
		.amdhsa_reserve_flat_scratch 0
		.amdhsa_float_round_mode_32 0
		.amdhsa_float_round_mode_16_64 0
		.amdhsa_float_denorm_mode_32 3
		.amdhsa_float_denorm_mode_16_64 3
		.amdhsa_dx10_clamp 1
		.amdhsa_ieee_mode 1
		.amdhsa_fp16_overflow 0
		.amdhsa_tg_split 0
		.amdhsa_exception_fp_ieee_invalid_op 0
		.amdhsa_exception_fp_denorm_src 0
		.amdhsa_exception_fp_ieee_div_zero 0
		.amdhsa_exception_fp_ieee_overflow 0
		.amdhsa_exception_fp_ieee_underflow 0
		.amdhsa_exception_fp_ieee_inexact 0
		.amdhsa_exception_int_div_zero 0
	.end_amdhsa_kernel
	.section	.text._ZN2at6native12_GLOBAL__N_143distribution_elementwise_grid_stride_kernelIfLi4EZNS0_9templates4cuda21uniform_and_transformIifPNS_17CUDAGeneratorImplEZZZNS4_16bernoulli_kernelIS7_EEvRNS_18TensorIteratorBaseEdT_ENKUlvE_clEvENKUlvE1_clEvEUlfE_EEvSA_T1_T2_EUlP25hiprandStatePhilox4_32_10E_ZNS1_27distribution_nullary_kernelIif15HIP_vector_typeIdLj2EES7_SJ_SE_EEvSA_SG_RKT3_T4_EUlifE_EEvlNS_15PhiloxCudaStateESF_SG_,"axG",@progbits,_ZN2at6native12_GLOBAL__N_143distribution_elementwise_grid_stride_kernelIfLi4EZNS0_9templates4cuda21uniform_and_transformIifPNS_17CUDAGeneratorImplEZZZNS4_16bernoulli_kernelIS7_EEvRNS_18TensorIteratorBaseEdT_ENKUlvE_clEvENKUlvE1_clEvEUlfE_EEvSA_T1_T2_EUlP25hiprandStatePhilox4_32_10E_ZNS1_27distribution_nullary_kernelIif15HIP_vector_typeIdLj2EES7_SJ_SE_EEvSA_SG_RKT3_T4_EUlifE_EEvlNS_15PhiloxCudaStateESF_SG_,comdat
.Lfunc_end129:
	.size	_ZN2at6native12_GLOBAL__N_143distribution_elementwise_grid_stride_kernelIfLi4EZNS0_9templates4cuda21uniform_and_transformIifPNS_17CUDAGeneratorImplEZZZNS4_16bernoulli_kernelIS7_EEvRNS_18TensorIteratorBaseEdT_ENKUlvE_clEvENKUlvE1_clEvEUlfE_EEvSA_T1_T2_EUlP25hiprandStatePhilox4_32_10E_ZNS1_27distribution_nullary_kernelIif15HIP_vector_typeIdLj2EES7_SJ_SE_EEvSA_SG_RKT3_T4_EUlifE_EEvlNS_15PhiloxCudaStateESF_SG_, .Lfunc_end129-_ZN2at6native12_GLOBAL__N_143distribution_elementwise_grid_stride_kernelIfLi4EZNS0_9templates4cuda21uniform_and_transformIifPNS_17CUDAGeneratorImplEZZZNS4_16bernoulli_kernelIS7_EEvRNS_18TensorIteratorBaseEdT_ENKUlvE_clEvENKUlvE1_clEvEUlfE_EEvSA_T1_T2_EUlP25hiprandStatePhilox4_32_10E_ZNS1_27distribution_nullary_kernelIif15HIP_vector_typeIdLj2EES7_SJ_SE_EEvSA_SG_RKT3_T4_EUlifE_EEvlNS_15PhiloxCudaStateESF_SG_
                                        ; -- End function
	.section	.AMDGPU.csdata,"",@progbits
; Kernel info:
; codeLenInByte = 2300
; NumSgprs: 28
; NumVgprs: 46
; NumAgprs: 0
; TotalNumVgprs: 46
; ScratchSize: 0
; MemoryBound: 0
; FloatMode: 240
; IeeeMode: 1
; LDSByteSize: 0 bytes/workgroup (compile time only)
; SGPRBlocks: 3
; VGPRBlocks: 5
; NumSGPRsForWavesPerEU: 28
; NumVGPRsForWavesPerEU: 46
; AccumOffset: 48
; Occupancy: 8
; WaveLimiterHint : 0
; COMPUTE_PGM_RSRC2:SCRATCH_EN: 0
; COMPUTE_PGM_RSRC2:USER_SGPR: 6
; COMPUTE_PGM_RSRC2:TRAP_HANDLER: 0
; COMPUTE_PGM_RSRC2:TGID_X_EN: 1
; COMPUTE_PGM_RSRC2:TGID_Y_EN: 0
; COMPUTE_PGM_RSRC2:TGID_Z_EN: 0
; COMPUTE_PGM_RSRC2:TIDIG_COMP_CNT: 0
; COMPUTE_PGM_RSRC3_GFX90A:ACCUM_OFFSET: 11
; COMPUTE_PGM_RSRC3_GFX90A:TG_SPLIT: 0
	.section	.text._ZN2at6native12_GLOBAL__N_143distribution_elementwise_grid_stride_kernelIfLi4EZNS0_9templates4cuda21uniform_and_transformIifPNS_17CUDAGeneratorImplEZZZNS4_16bernoulli_kernelIS7_EEvRNS_18TensorIteratorBaseEdT_ENKUlvE_clEvENKUlvE1_clEvEUlfE_EEvSA_T1_T2_EUlP25hiprandStatePhilox4_32_10E_ZNS1_27distribution_nullary_kernelIif15HIP_vector_typeIdLj2EES7_SJ_SE_EEvSA_SG_RKT3_T4_EUlifE0_EEvlNS_15PhiloxCudaStateESF_SG_,"axG",@progbits,_ZN2at6native12_GLOBAL__N_143distribution_elementwise_grid_stride_kernelIfLi4EZNS0_9templates4cuda21uniform_and_transformIifPNS_17CUDAGeneratorImplEZZZNS4_16bernoulli_kernelIS7_EEvRNS_18TensorIteratorBaseEdT_ENKUlvE_clEvENKUlvE1_clEvEUlfE_EEvSA_T1_T2_EUlP25hiprandStatePhilox4_32_10E_ZNS1_27distribution_nullary_kernelIif15HIP_vector_typeIdLj2EES7_SJ_SE_EEvSA_SG_RKT3_T4_EUlifE0_EEvlNS_15PhiloxCudaStateESF_SG_,comdat
	.globl	_ZN2at6native12_GLOBAL__N_143distribution_elementwise_grid_stride_kernelIfLi4EZNS0_9templates4cuda21uniform_and_transformIifPNS_17CUDAGeneratorImplEZZZNS4_16bernoulli_kernelIS7_EEvRNS_18TensorIteratorBaseEdT_ENKUlvE_clEvENKUlvE1_clEvEUlfE_EEvSA_T1_T2_EUlP25hiprandStatePhilox4_32_10E_ZNS1_27distribution_nullary_kernelIif15HIP_vector_typeIdLj2EES7_SJ_SE_EEvSA_SG_RKT3_T4_EUlifE0_EEvlNS_15PhiloxCudaStateESF_SG_ ; -- Begin function _ZN2at6native12_GLOBAL__N_143distribution_elementwise_grid_stride_kernelIfLi4EZNS0_9templates4cuda21uniform_and_transformIifPNS_17CUDAGeneratorImplEZZZNS4_16bernoulli_kernelIS7_EEvRNS_18TensorIteratorBaseEdT_ENKUlvE_clEvENKUlvE1_clEvEUlfE_EEvSA_T1_T2_EUlP25hiprandStatePhilox4_32_10E_ZNS1_27distribution_nullary_kernelIif15HIP_vector_typeIdLj2EES7_SJ_SE_EEvSA_SG_RKT3_T4_EUlifE0_EEvlNS_15PhiloxCudaStateESF_SG_
	.p2align	8
	.type	_ZN2at6native12_GLOBAL__N_143distribution_elementwise_grid_stride_kernelIfLi4EZNS0_9templates4cuda21uniform_and_transformIifPNS_17CUDAGeneratorImplEZZZNS4_16bernoulli_kernelIS7_EEvRNS_18TensorIteratorBaseEdT_ENKUlvE_clEvENKUlvE1_clEvEUlfE_EEvSA_T1_T2_EUlP25hiprandStatePhilox4_32_10E_ZNS1_27distribution_nullary_kernelIif15HIP_vector_typeIdLj2EES7_SJ_SE_EEvSA_SG_RKT3_T4_EUlifE0_EEvlNS_15PhiloxCudaStateESF_SG_,@function
_ZN2at6native12_GLOBAL__N_143distribution_elementwise_grid_stride_kernelIfLi4EZNS0_9templates4cuda21uniform_and_transformIifPNS_17CUDAGeneratorImplEZZZNS4_16bernoulli_kernelIS7_EEvRNS_18TensorIteratorBaseEdT_ENKUlvE_clEvENKUlvE1_clEvEUlfE_EEvSA_T1_T2_EUlP25hiprandStatePhilox4_32_10E_ZNS1_27distribution_nullary_kernelIif15HIP_vector_typeIdLj2EES7_SJ_SE_EEvSA_SG_RKT3_T4_EUlifE0_EEvlNS_15PhiloxCudaStateESF_SG_: ; @_ZN2at6native12_GLOBAL__N_143distribution_elementwise_grid_stride_kernelIfLi4EZNS0_9templates4cuda21uniform_and_transformIifPNS_17CUDAGeneratorImplEZZZNS4_16bernoulli_kernelIS7_EEvRNS_18TensorIteratorBaseEdT_ENKUlvE_clEvENKUlvE1_clEvEUlfE_EEvSA_T1_T2_EUlP25hiprandStatePhilox4_32_10E_ZNS1_27distribution_nullary_kernelIif15HIP_vector_typeIdLj2EES7_SJ_SE_EEvSA_SG_RKT3_T4_EUlifE0_EEvlNS_15PhiloxCudaStateESF_SG_
; %bb.0:
	s_load_dword s2, s[4:5], 0x20
	s_load_dwordx2 s[0:1], s[4:5], 0x10
	s_load_dwordx4 s[24:27], s[4:5], 0x0
	s_waitcnt lgkmcnt(0)
	s_bitcmp0_b32 s2, 0
	s_mov_b32 s2, 0
	v_pk_mov_b32 v[2:3], s[0:1], s[0:1] op_sel:[0,1]
	v_pk_mov_b32 v[12:13], s[26:27], s[26:27] op_sel:[0,1]
	s_cbranch_scc1 .LBB130_2
; %bb.1:
	v_pk_mov_b32 v[2:3], s[0:1], s[0:1] op_sel:[0,1]
	flat_load_dwordx2 v[2:3], v[2:3]
	v_pk_mov_b32 v[4:5], s[26:27], s[26:27] op_sel:[0,1]
	flat_load_dwordx2 v[12:13], v[4:5]
	s_load_dwordx2 s[0:1], s[4:5], 0x18
	s_waitcnt lgkmcnt(0)
	v_mov_b32_e32 v1, s1
	s_waitcnt vmcnt(0)
	v_add_co_u32_e32 v2, vcc, s0, v2
	v_addc_co_u32_e32 v3, vcc, v3, v1, vcc
.LBB130_2:
	s_load_dword s0, s[4:5], 0x154
	s_load_dword s7, s[4:5], 0x148
	s_waitcnt lgkmcnt(0)
	s_and_b32 s8, s0, 0xffff
	s_add_u32 s9, s24, -1
	s_mul_i32 s33, s7, s8
	s_addc_u32 s3, s25, -1
	s_lshl_b32 s58, s33, 2
	s_cmp_lg_u64 s[2:3], 0
	s_mov_b64 s[0:1], -1
	s_cbranch_scc0 .LBB130_51
; %bb.3:
	v_cvt_f32_u32_e32 v1, s58
	v_cvt_f32_ubyte0_e32 v4, 0
	s_sub_u32 s2, 0, s58
	s_subb_u32 s10, 0, 0
	v_madmk_f32 v1, v4, 0x4f800000, v1
	v_rcp_f32_e32 v1, v1
	v_mul_f32_e32 v1, 0x5f7ffffc, v1
	v_mul_f32_e32 v4, 0x2f800000, v1
	v_trunc_f32_e32 v4, v4
	v_madmk_f32 v1, v4, 0xcf800000, v1
	v_cvt_u32_f32_e32 v4, v4
	v_cvt_u32_f32_e32 v1, v1
	v_readfirstlane_b32 s11, v4
	v_readfirstlane_b32 s12, v1
	s_mul_i32 s13, s2, s11
	s_mul_hi_u32 s15, s2, s12
	s_mul_i32 s14, s10, s12
	s_add_i32 s13, s15, s13
	s_add_i32 s13, s13, s14
	s_mul_i32 s16, s2, s12
	s_mul_hi_u32 s14, s12, s13
	s_mul_i32 s15, s12, s13
	s_mul_hi_u32 s12, s12, s16
	s_add_u32 s12, s12, s15
	s_addc_u32 s14, 0, s14
	s_mul_hi_u32 s17, s11, s16
	s_mul_i32 s16, s11, s16
	s_add_u32 s12, s12, s16
	s_mul_hi_u32 s15, s11, s13
	s_addc_u32 s12, s14, s17
	s_addc_u32 s14, s15, 0
	s_mul_i32 s13, s11, s13
	s_add_u32 s12, s12, s13
	s_addc_u32 s13, 0, s14
	v_add_co_u32_e32 v1, vcc, s12, v1
	s_cmp_lg_u64 vcc, 0
	s_addc_u32 s11, s11, s13
	v_readfirstlane_b32 s13, v1
	s_mul_i32 s12, s2, s11
	s_mul_hi_u32 s14, s2, s13
	s_add_i32 s12, s14, s12
	s_mul_i32 s10, s10, s13
	s_add_i32 s12, s12, s10
	s_mul_i32 s2, s2, s13
	s_mul_hi_u32 s14, s11, s2
	s_mul_i32 s15, s11, s2
	s_mul_i32 s17, s13, s12
	s_mul_hi_u32 s2, s13, s2
	s_mul_hi_u32 s16, s13, s12
	s_add_u32 s2, s2, s17
	s_addc_u32 s13, 0, s16
	s_add_u32 s2, s2, s15
	s_mul_hi_u32 s10, s11, s12
	s_addc_u32 s2, s13, s14
	s_addc_u32 s10, s10, 0
	s_mul_i32 s12, s11, s12
	s_add_u32 s2, s2, s12
	s_addc_u32 s10, 0, s10
	v_add_co_u32_e32 v1, vcc, s2, v1
	s_cmp_lg_u64 vcc, 0
	s_addc_u32 s12, s11, s10
	s_ashr_i32 s10, s3, 31
	s_add_u32 s2, s9, s10
	s_mov_b32 s11, s10
	s_addc_u32 s3, s3, s10
	s_xor_b64 s[2:3], s[2:3], s[10:11]
	v_readfirstlane_b32 s15, v1
	s_mul_i32 s14, s2, s12
	s_mul_hi_u32 s16, s2, s15
	s_mul_hi_u32 s13, s2, s12
	s_add_u32 s14, s16, s14
	s_addc_u32 s13, 0, s13
	s_mul_hi_u32 s17, s3, s15
	s_mul_i32 s15, s3, s15
	s_add_u32 s14, s14, s15
	s_mul_hi_u32 s16, s3, s12
	s_addc_u32 s13, s13, s17
	s_addc_u32 s14, s16, 0
	s_mul_i32 s12, s3, s12
	s_add_u32 s12, s13, s12
	s_addc_u32 s13, 0, s14
	s_add_u32 s14, s12, 1
	s_addc_u32 s15, s13, 0
	s_add_u32 s16, s12, 2
	s_mul_i32 s18, s58, s13
	s_mul_hi_u32 s19, s58, s12
	s_addc_u32 s17, s13, 0
	s_add_i32 s19, s19, s18
	s_mul_i32 s18, s58, s12
	v_mov_b32_e32 v1, s18
	v_sub_co_u32_e32 v1, vcc, s2, v1
	s_cmp_lg_u64 vcc, 0
	s_subb_u32 s2, s3, s19
	v_subrev_co_u32_e32 v4, vcc, s58, v1
	s_cmp_lg_u64 vcc, 0
	s_subb_u32 s3, s2, 0
	v_readfirstlane_b32 s18, v4
	s_cmp_ge_u32 s18, s58
	s_cselect_b32 s18, -1, 0
	s_cmp_eq_u32 s3, 0
	s_cselect_b32 s3, s18, -1
	s_cmp_lg_u32 s3, 0
	s_cselect_b32 s3, s17, s15
	v_readfirstlane_b32 s15, v1
	s_cselect_b32 s14, s16, s14
	s_cmp_ge_u32 s15, s58
	s_cselect_b32 s15, -1, 0
	s_cmp_eq_u32 s2, 0
	s_cselect_b32 s2, s15, -1
	s_cmp_lg_u32 s2, 0
	s_cselect_b32 s3, s3, s13
	s_cselect_b32 s2, s14, s12
	s_xor_b64 s[2:3], s[2:3], s[10:11]
	s_sub_u32 s2, s2, s10
	s_subb_u32 s3, s3, s10
	s_cbranch_execnz .LBB130_5
.LBB130_4:
	v_cvt_f32_u32_e32 v1, s58
	s_sub_i32 s0, 0, s58
	s_mov_b32 s3, 0
	v_rcp_iflag_f32_e32 v1, v1
	v_mul_f32_e32 v1, 0x4f7ffffe, v1
	v_cvt_u32_f32_e32 v1, v1
	v_readfirstlane_b32 s1, v1
	s_mul_i32 s0, s0, s1
	s_mul_hi_u32 s0, s1, s0
	s_add_i32 s1, s1, s0
	s_mul_hi_u32 s0, s9, s1
	s_mul_i32 s2, s0, s58
	s_sub_i32 s2, s9, s2
	s_add_i32 s1, s0, 1
	s_sub_i32 s9, s2, s58
	s_cmp_ge_u32 s2, s58
	s_cselect_b32 s0, s1, s0
	s_cselect_b32 s2, s9, s2
	s_add_i32 s1, s0, 1
	s_cmp_ge_u32 s2, s58
	s_cselect_b32 s2, s1, s0
.LBB130_5:
	v_mov_b32_e32 v1, 0
	v_mov_b32_e32 v4, s6
	v_mad_u64_u32 v[14:15], s[0:1], s8, v4, v[0:1]
	s_add_u32 s0, s2, 1
	s_addc_u32 s1, s3, 0
	s_mul_hi_u32 s2, s7, s8
	s_mul_i32 s1, s33, s1
	s_mul_hi_u32 s3, s33, s0
	s_add_i32 s1, s3, s1
	s_mul_i32 s2, s2, s0
	s_add_i32 s1, s1, s2
	s_mul_i32 s0, s33, s0
	s_lshl_b64 s[26:27], s[0:1], 2
	v_cmp_gt_i64_e32 vcc, s[26:27], v[14:15]
	s_and_saveexec_b64 s[0:1], vcc
	s_cbranch_execz .LBB130_50
; %bb.6:
	s_mov_b32 s0, 0x5384540f
	v_mov_b32_e32 v0, v13
	v_add_co_u32_e32 v22, vcc, s0, v12
	s_mov_b32 s0, 0x646e171e
	v_add_co_u32_e32 v23, vcc, s0, v0
	s_mov_b32 s0, 0x1715609d
	v_add_co_u32_e32 v24, vcc, s0, v12
	s_mov_b32 s0, 0xed9eba14
	v_add_co_u32_e32 v25, vcc, s0, v0
	s_mov_b32 s0, 0xdaa66d2b
	v_add_co_u32_e32 v26, vcc, s0, v12
	s_mov_b32 s0, 0x76cf5d0a
	v_add_co_u32_e32 v27, vcc, s0, v0
	s_mov_b32 s0, 0x9e3779b9
	v_alignbit_b32 v29, v3, v2, 2
	s_mov_b32 s60, 0xd2511f53
	v_add_co_u32_e32 v28, vcc, s0, v12
	v_mad_u64_u32 v[4:5], s[0:1], v29, s60, 0
	v_xor_b32_e32 v1, v5, v13
	v_xor_b32_e32 v1, v1, v15
	s_mov_b32 s61, 0xcd9e8d57
	v_mad_u64_u32 v[6:7], s[0:1], v1, s61, 0
	v_xor_b32_e32 v1, v28, v7
	v_mad_u64_u32 v[8:9], s[0:1], v14, s61, 0
	v_and_b32_e32 v18, 3, v2
	v_xor_b32_e32 v1, v1, v8
	v_xor_b32_e32 v2, v12, v9
	v_lshrrev_b32_e32 v30, 2, v3
	v_mad_u64_u32 v[10:11], s[0:1], v1, s60, 0
	v_xor_b32_e32 v2, v2, v30
	v_xor_b32_e32 v1, v27, v11
	v_mad_u64_u32 v[2:3], s[0:1], v2, s60, 0
	v_xor_b32_e32 v1, v1, v2
	v_mad_u64_u32 v[8:9], s[0:1], v1, s61, 0
	s_mov_b32 s0, 0xbb67ae85
	v_add_co_u32_e32 v31, vcc, s0, v0
	v_xor_b32_e32 v2, v31, v3
	v_xor_b32_e32 v2, v2, v4
	v_xor_b32_e32 v1, v26, v9
	v_mad_u64_u32 v[2:3], s[0:1], v2, s61, 0
	v_xor_b32_e32 v1, v1, v2
	v_mad_u64_u32 v[4:5], s[0:1], v1, s60, 0
	s_mov_b32 s0, 0x3c6ef372
	v_add_co_u32_e32 v32, vcc, s0, v12
	v_xor_b32_e32 v2, v32, v3
	;; [unrolled: 8-line block ×6, first 2 shown]
	v_add_co_u32_e32 v21, vcc, 0xdb3d7428, v0
	v_xor_b32_e32 v2, v2, v6
	v_xor_b32_e32 v1, v21, v5
	v_mad_u64_u32 v[2:3], s[0:1], v2, s60, 0
	v_xor_b32_e32 v1, v1, v2
	v_mad_u64_u32 v[6:7], s[0:1], v1, s61, 0
	s_mov_b32 s0, 0x1fd5c5a3
	v_add_co_u32_e32 v37, vcc, s0, v0
	v_xor_b32_e32 v0, v37, v3
	v_xor_b32_e32 v0, v0, v10
	v_mad_u64_u32 v[0:1], s[0:1], v0, s61, 0
	s_mov_b32 s0, 0xf1bbcdc8
	s_load_dwordx8 s[8:15], s[4:5], 0x30
	v_add_co_u32_e32 v38, vcc, s0, v12
	v_xor_b32_e32 v1, v38, v1
	v_xor_b32_e32 v1, v1, v8
	s_add_u32 s34, s4, 48
	v_mad_u64_u32 v[8:9], s[0:1], v1, s60, 0
	s_addc_u32 s35, s5, 0
	s_waitcnt lgkmcnt(0)
	s_add_i32 s0, s8, -1
	s_cmp_gt_u32 s0, 1
	s_cselect_b64 s[40:41], -1, 0
	s_cmp_lg_u32 s8, 0
	s_cselect_b64 s[42:43], -1, 0
	s_add_u32 s44, s4, 0xf4
	s_addc_u32 s45, s5, 0
	s_load_dwordx2 s[46:47], s[4:5], 0xf4
	s_load_dwordx4 s[28:31], s[4:5], 0x138
	s_min_u32 s1, s0, 15
	s_cmp_gt_u32 s8, 1
	s_cselect_b64 s[48:49], -1, 0
	s_add_i32 s1, s1, 1
	s_mov_b32 s8, s13
	s_and_b32 s13, s1, 3
	s_cmp_lg_u32 s0, 2
	s_waitcnt lgkmcnt(0)
	v_cvt_f32_f64_e32 v39, s[30:31]
	s_cselect_b64 s[30:31], -1, 0
	s_and_b32 s15, s1, 28
	v_add_u32_e32 v19, 0x8ff34781, v12
	v_add_u32_e32 v20, 0x96a522ad, v13
	v_xor_b32_e32 v0, v7, v0
	v_xor_b32_e32 v1, v9, v4
	s_cmp_lg_u32 s13, 0
	s_mov_b32 s59, 0
	v_xor_b32_e32 v0, v19, v0
	v_xor_b32_e32 v2, v20, v1
	v_mov_b32_e32 v1, v6
	v_mov_b32_e32 v3, v8
	s_mov_b64 s[50:51], 0
	s_cselect_b64 s[52:53], -1, 0
	v_mov_b32_e32 v40, v14
	v_mov_b32_e32 v41, v15
	s_branch .LBB130_9
.LBB130_7:                              ;   in Loop: Header=BB130_9 Depth=1
	v_lshrrev_b32_e32 v0, 11, v3
	v_cvt_f64_u32_e32 v[0:1], v0
	v_ldexp_f64 v[0:1], v[0:1], 32
	v_cvt_f64_u32_e32 v[2:3], v2
	v_add_f64 v[0:1], v[0:1], v[2:3]
	v_mov_b32_e32 v2, 0
	v_mov_b32_e32 v3, 0x3ca00000
	v_fmac_f64_e32 v[2:3], 0x3ca00000, v[0:1]
	v_cvt_f32_f64_e32 v0, v[2:3]
	v_cmp_gt_f32_e32 vcc, v39, v0
	v_cndmask_b32_e64 v0, 0, 1, vcc
	global_store_dword v8, v0, s[28:29]
.LBB130_8:                              ;   in Loop: Header=BB130_9 Depth=1
	s_or_b64 exec, exec, s[36:37]
	v_add_co_u32_e32 v14, vcc, s58, v14
	v_addc_co_u32_e32 v15, vcc, 0, v15, vcc
	v_mov_b32_e32 v7, v16
	v_cmp_le_i64_e32 vcc, s[26:27], v[14:15]
	v_pk_mov_b32 v[0:1], v[4:5], v[4:5] op_sel:[0,1]
	s_or_b64 s[50:51], vcc, s[50:51]
	v_pk_mov_b32 v[2:3], v[6:7], v[6:7] op_sel:[0,1]
	s_barrier
	s_andn2_b64 exec, exec, s[50:51]
	s_cbranch_execz .LBB130_50
.LBB130_9:                              ; =>This Loop Header: Depth=1
                                        ;     Child Loop BB130_24 Depth 2
                                        ;     Child Loop BB130_30 Depth 2
	;; [unrolled: 1-line block ×4, first 2 shown]
	v_add_co_u32_e32 v29, vcc, 1, v29
	v_cndmask_b32_e64 v4, 0, 1, vcc
	v_addc_co_u32_e32 v30, vcc, 0, v30, vcc
	v_cmp_eq_u32_e32 vcc, 0, v30
	v_cndmask_b32_e32 v4, 0, v4, vcc
	v_add_u32_e32 v40, v4, v40
	v_cmp_eq_u32_e32 vcc, 0, v40
	v_cndmask_b32_e32 v4, 0, v4, vcc
	v_add_u32_e32 v41, v4, v41
	v_mad_u64_u32 v[4:5], s[0:1], v29, s60, 0
	v_mad_u64_u32 v[6:7], s[0:1], v40, s61, 0
	v_xor_b32_e32 v5, v5, v13
	v_xor_b32_e32 v7, v7, v12
	v_xor_b32_e32 v5, v41, v5
	v_xor_b32_e32 v7, v30, v7
	v_mad_u64_u32 v[10:11], s[0:1], v5, s61, 0
	v_mad_u64_u32 v[8:9], s[0:1], v7, s60, 0
	v_xor_b32_e32 v5, v28, v11
	v_xor_b32_e32 v5, v5, v6
	v_xor_b32_e32 v6, v31, v9
	v_xor_b32_e32 v6, v6, v4
	;; [unrolled: 6-line block ×10, first 2 shown]
	v_mov_b32_e32 v5, v10
	v_mov_b32_e32 v6, v11
	v_cmp_lt_i32_e32 vcc, 1, v18
	s_and_saveexec_b64 s[0:1], vcc
	s_xor_b64 s[0:1], exec, s[0:1]
	s_cbranch_execz .LBB130_15
; %bb.10:                               ;   in Loop: Header=BB130_9 Depth=1
	v_cmp_lt_i32_e32 vcc, 2, v18
	s_and_saveexec_b64 s[2:3], vcc
	s_xor_b64 s[2:3], exec, s[2:3]
; %bb.11:                               ;   in Loop: Header=BB130_9 Depth=1
	v_mov_b32_e32 v8, v3
	v_mov_b32_e32 v9, v4
	v_pk_mov_b32 v[0:1], v[8:9], v[8:9] op_sel:[0,1]
	v_pk_mov_b32 v[2:3], v[10:11], v[10:11] op_sel:[0,1]
                                        ; implicit-def: $vgpr10_vgpr11
; %bb.12:                               ;   in Loop: Header=BB130_9 Depth=1
	s_andn2_saveexec_b64 s[2:3], s[2:3]
; %bb.13:                               ;   in Loop: Header=BB130_9 Depth=1
	v_mov_b32_e32 v0, v2
	v_mov_b32_e32 v1, v3
	;; [unrolled: 1-line block ×4, first 2 shown]
; %bb.14:                               ;   in Loop: Header=BB130_9 Depth=1
	s_or_b64 exec, exec, s[2:3]
.LBB130_15:                             ;   in Loop: Header=BB130_9 Depth=1
	s_andn2_saveexec_b64 s[0:1], s[0:1]
	s_cbranch_execz .LBB130_19
; %bb.16:                               ;   in Loop: Header=BB130_9 Depth=1
	v_cmp_eq_u32_e32 vcc, 1, v18
	s_and_saveexec_b64 s[2:3], vcc
; %bb.17:                               ;   in Loop: Header=BB130_9 Depth=1
	v_mov_b32_e32 v0, v1
	v_mov_b32_e32 v1, v2
	;; [unrolled: 1-line block ×4, first 2 shown]
; %bb.18:                               ;   in Loop: Header=BB130_9 Depth=1
	s_or_b64 exec, exec, s[2:3]
.LBB130_19:                             ;   in Loop: Header=BB130_9 Depth=1
	s_or_b64 exec, exec, s[0:1]
	v_cndmask_b32_e64 v7, 0, 1, s[40:41]
	v_cmp_gt_i64_e32 vcc, s[24:25], v[14:15]
	v_cmp_ne_u32_e64 s[0:1], 1, v7
	s_and_saveexec_b64 s[2:3], vcc
	s_cbranch_execz .LBB130_35
; %bb.20:                               ;   in Loop: Header=BB130_9 Depth=1
	s_and_b64 vcc, exec, s[0:1]
	s_cbranch_vccnz .LBB130_26
; %bb.21:                               ;   in Loop: Header=BB130_9 Depth=1
	s_andn2_b64 vcc, exec, s[42:43]
	s_cbranch_vccnz .LBB130_27
; %bb.22:                               ;   in Loop: Header=BB130_9 Depth=1
	s_mov_b32 s6, 0
	s_andn2_b64 vcc, exec, s[30:31]
	v_mov_b32_e32 v8, 0
	s_cbranch_vccnz .LBB130_28
; %bb.23:                               ;   in Loop: Header=BB130_9 Depth=1
	s_mov_b32 s62, 0
	v_mov_b32_e32 v8, 0
	s_mov_b64 s[54:55], s[34:35]
	s_mov_b64 s[56:57], s[44:45]
	v_mov_b32_e32 v7, v14
.LBB130_24:                             ;   Parent Loop BB130_9 Depth=1
                                        ; =>  This Inner Loop Header: Depth=2
	s_load_dwordx8 s[16:23], s[54:55], 0x4
	s_load_dwordx4 s[4:7], s[54:55], 0x24
	s_load_dwordx4 s[36:39], s[56:57], 0x0
	s_add_u32 s54, s54, 48
	s_addc_u32 s55, s55, 0
	s_waitcnt lgkmcnt(0)
	v_mul_hi_u32 v9, s17, v7
	v_add_u32_e32 v9, v7, v9
	v_lshrrev_b32_e32 v9, s18, v9
	v_mul_lo_u32 v10, v9, s16
	v_mul_hi_u32 v11, s20, v9
	v_sub_u32_e32 v7, v7, v10
	v_add_u32_e32 v10, v9, v11
	v_lshrrev_b32_e32 v10, s21, v10
	v_mul_lo_u32 v11, v10, s19
	v_mul_hi_u32 v17, s23, v10
	v_sub_u32_e32 v9, v9, v11
	v_add_u32_e32 v11, v10, v17
	v_mul_lo_u32 v7, v7, s36
	v_mul_lo_u32 v9, v9, s37
	v_lshrrev_b32_e32 v11, s4, v11
	v_add3_u32 v8, v7, v8, v9
	v_mul_lo_u32 v7, v11, s22
	v_mul_hi_u32 v9, s6, v11
	v_sub_u32_e32 v7, v10, v7
	v_add_u32_e32 v9, v11, v9
	v_mul_lo_u32 v10, v7, s38
	v_lshrrev_b32_e32 v7, s7, v9
	s_add_i32 s62, s62, 4
	v_mul_lo_u32 v9, v7, s5
	s_add_u32 s56, s56, 16
	v_sub_u32_e32 v9, v11, v9
	s_addc_u32 s57, s57, 0
	v_mul_lo_u32 v9, v9, s39
	s_cmp_lg_u32 s15, s62
	v_add3_u32 v8, v10, v8, v9
	s_cbranch_scc1 .LBB130_24
; %bb.25:                               ;   in Loop: Header=BB130_9 Depth=1
	s_mov_b32 s6, s15
	s_andn2_b64 vcc, exec, s[52:53]
	s_cbranch_vccz .LBB130_29
	s_branch .LBB130_31
.LBB130_26:                             ;   in Loop: Header=BB130_9 Depth=1
                                        ; implicit-def: $vgpr8
	s_branch .LBB130_32
.LBB130_27:                             ;   in Loop: Header=BB130_9 Depth=1
	v_mov_b32_e32 v8, 0
	s_branch .LBB130_31
.LBB130_28:                             ;   in Loop: Header=BB130_9 Depth=1
	v_mov_b32_e32 v7, v14
	s_andn2_b64 vcc, exec, s[52:53]
	s_cbranch_vccnz .LBB130_31
.LBB130_29:                             ;   in Loop: Header=BB130_9 Depth=1
	s_lshl_b32 s4, s6, 2
	s_add_u32 s4, s44, s4
	s_addc_u32 s5, s45, 0
	s_mul_i32 s6, s6, 12
	s_add_u32 s6, s34, s6
	s_addc_u32 s7, s35, 0
	s_mov_b32 s16, s13
.LBB130_30:                             ;   Parent Loop BB130_9 Depth=1
                                        ; =>  This Inner Loop Header: Depth=2
	s_load_dwordx2 s[18:19], s[6:7], 0x4
	s_load_dword s17, s[6:7], 0xc
	s_load_dword s20, s[4:5], 0x0
	s_add_u32 s6, s6, 12
	s_addc_u32 s7, s7, 0
	s_waitcnt lgkmcnt(0)
	v_mul_hi_u32 v9, s19, v7
	v_add_u32_e32 v9, v7, v9
	v_lshrrev_b32_e32 v9, s17, v9
	s_add_u32 s4, s4, 4
	v_mul_lo_u32 v10, v9, s18
	s_addc_u32 s5, s5, 0
	s_add_i32 s16, s16, -1
	v_sub_u32_e32 v10, v7, v10
	s_cmp_lg_u32 s16, 0
	v_mov_b32_e32 v7, v9
	v_mad_u64_u32 v[8:9], s[18:19], v10, s20, v[8:9]
	s_cbranch_scc1 .LBB130_30
.LBB130_31:                             ;   in Loop: Header=BB130_9 Depth=1
	s_cbranch_execnz .LBB130_34
.LBB130_32:                             ;   in Loop: Header=BB130_9 Depth=1
	v_mul_hi_u32 v7, v14, s10
	v_add_u32_e32 v7, v7, v14
	v_lshrrev_b32_e32 v7, s11, v7
	v_mul_lo_u32 v8, v7, s9
	v_sub_u32_e32 v8, v14, v8
	s_andn2_b64 vcc, exec, s[48:49]
	v_mul_lo_u32 v8, v8, s46
	s_cbranch_vccnz .LBB130_34
; %bb.33:                               ;   in Loop: Header=BB130_9 Depth=1
	v_mul_hi_u32 v9, s8, v7
	v_add_u32_e32 v9, v7, v9
	v_lshrrev_b32_e32 v9, s14, v9
	v_mul_lo_u32 v9, v9, s12
	v_sub_u32_e32 v7, v7, v9
	v_mad_u64_u32 v[8:9], s[4:5], v7, s47, v[8:9]
.LBB130_34:                             ;   in Loop: Header=BB130_9 Depth=1
	v_lshrrev_b32_e32 v1, 11, v1
	v_cvt_f64_u32_e32 v[10:11], v1
	v_ldexp_f64 v[10:11], v[10:11], 32
	v_cvt_f64_u32_e32 v[0:1], v0
	v_add_f64 v[0:1], v[10:11], v[0:1]
	v_mov_b32_e32 v10, 0
	v_mov_b32_e32 v11, 0x3ca00000
	v_fmac_f64_e32 v[10:11], 0x3ca00000, v[0:1]
	v_cvt_f32_f64_e32 v0, v[10:11]
	v_cmp_gt_f32_e32 vcc, v39, v0
	v_cndmask_b32_e64 v0, 0, 1, vcc
	global_store_dword v8, v0, s[28:29]
.LBB130_35:                             ;   in Loop: Header=BB130_9 Depth=1
	s_or_b64 exec, exec, s[2:3]
	v_mov_b32_e32 v1, s59
	v_add_co_u32_e32 v0, vcc, s33, v14
	v_addc_co_u32_e32 v1, vcc, v15, v1, vcc
	v_cmp_gt_i64_e32 vcc, s[24:25], v[0:1]
	s_and_saveexec_b64 s[36:37], vcc
	s_cbranch_execz .LBB130_8
; %bb.36:                               ;   in Loop: Header=BB130_9 Depth=1
	s_and_b64 vcc, exec, s[0:1]
	s_cbranch_vccnz .LBB130_42
; %bb.37:                               ;   in Loop: Header=BB130_9 Depth=1
	s_andn2_b64 vcc, exec, s[42:43]
	s_cbranch_vccnz .LBB130_43
; %bb.38:                               ;   in Loop: Header=BB130_9 Depth=1
	s_mov_b32 s2, 0
	s_andn2_b64 vcc, exec, s[30:31]
	v_mov_b32_e32 v8, 0
	s_cbranch_vccnz .LBB130_44
; %bb.39:                               ;   in Loop: Header=BB130_9 Depth=1
	s_mov_b32 s56, 0
	v_mov_b32_e32 v8, 0
	s_mov_b64 s[38:39], s[34:35]
	s_mov_b64 s[54:55], s[44:45]
	v_mov_b32_e32 v1, v0
.LBB130_40:                             ;   Parent Loop BB130_9 Depth=1
                                        ; =>  This Inner Loop Header: Depth=2
	s_load_dwordx8 s[0:7], s[38:39], 0x4
	s_load_dwordx4 s[16:19], s[38:39], 0x24
	s_load_dwordx4 s[20:23], s[54:55], 0x0
	s_add_u32 s38, s38, 48
	s_addc_u32 s39, s39, 0
	s_waitcnt lgkmcnt(0)
	v_mul_hi_u32 v7, s1, v1
	v_add_u32_e32 v7, v1, v7
	v_lshrrev_b32_e32 v7, s2, v7
	v_mul_lo_u32 v9, v7, s0
	v_mul_hi_u32 v10, s4, v7
	v_sub_u32_e32 v1, v1, v9
	v_add_u32_e32 v9, v7, v10
	v_lshrrev_b32_e32 v9, s5, v9
	v_mul_lo_u32 v10, v9, s3
	v_mul_hi_u32 v11, s7, v9
	v_sub_u32_e32 v7, v7, v10
	v_add_u32_e32 v10, v9, v11
	v_mul_lo_u32 v1, v1, s20
	v_mul_lo_u32 v7, v7, s21
	v_lshrrev_b32_e32 v10, s16, v10
	v_add3_u32 v7, v1, v8, v7
	v_mul_lo_u32 v1, v10, s6
	v_mul_hi_u32 v8, s18, v10
	v_sub_u32_e32 v1, v9, v1
	v_add_u32_e32 v8, v10, v8
	v_mul_lo_u32 v9, v1, s22
	v_lshrrev_b32_e32 v1, s19, v8
	s_add_i32 s56, s56, 4
	v_mul_lo_u32 v8, v1, s17
	s_add_u32 s54, s54, 16
	v_sub_u32_e32 v8, v10, v8
	s_addc_u32 s55, s55, 0
	v_mul_lo_u32 v8, v8, s23
	s_cmp_eq_u32 s15, s56
	v_add3_u32 v8, v9, v7, v8
	s_cbranch_scc0 .LBB130_40
; %bb.41:                               ;   in Loop: Header=BB130_9 Depth=1
	s_mov_b32 s2, s15
	s_andn2_b64 vcc, exec, s[52:53]
	s_cbranch_vccz .LBB130_45
	s_branch .LBB130_47
.LBB130_42:                             ;   in Loop: Header=BB130_9 Depth=1
                                        ; implicit-def: $vgpr8
	s_branch .LBB130_48
.LBB130_43:                             ;   in Loop: Header=BB130_9 Depth=1
	v_mov_b32_e32 v8, 0
	s_branch .LBB130_47
.LBB130_44:                             ;   in Loop: Header=BB130_9 Depth=1
	v_mov_b32_e32 v1, v0
	s_andn2_b64 vcc, exec, s[52:53]
	s_cbranch_vccnz .LBB130_47
.LBB130_45:                             ;   in Loop: Header=BB130_9 Depth=1
	s_lshl_b32 s0, s2, 2
	s_add_u32 s0, s44, s0
	s_addc_u32 s1, s45, 0
	s_mul_i32 s2, s2, 12
	s_add_u32 s2, s34, s2
	s_addc_u32 s3, s35, 0
	s_mov_b32 s4, s13
.LBB130_46:                             ;   Parent Loop BB130_9 Depth=1
                                        ; =>  This Inner Loop Header: Depth=2
	s_load_dwordx2 s[6:7], s[2:3], 0x4
	s_load_dword s5, s[2:3], 0xc
	s_load_dword s16, s[0:1], 0x0
	s_add_u32 s2, s2, 12
	s_addc_u32 s3, s3, 0
	s_waitcnt lgkmcnt(0)
	v_mul_hi_u32 v7, s7, v1
	v_add_u32_e32 v7, v1, v7
	v_lshrrev_b32_e32 v7, s5, v7
	s_add_u32 s0, s0, 4
	v_mul_lo_u32 v9, v7, s6
	s_addc_u32 s1, s1, 0
	s_add_i32 s4, s4, -1
	v_sub_u32_e32 v9, v1, v9
	s_cmp_lg_u32 s4, 0
	v_mov_b32_e32 v1, v7
	v_mad_u64_u32 v[8:9], s[6:7], v9, s16, v[8:9]
	s_cbranch_scc1 .LBB130_46
.LBB130_47:                             ;   in Loop: Header=BB130_9 Depth=1
	s_cbranch_execnz .LBB130_7
.LBB130_48:                             ;   in Loop: Header=BB130_9 Depth=1
	v_mul_hi_u32 v1, v0, s10
	v_add_u32_e32 v1, v1, v0
	v_lshrrev_b32_e32 v1, s11, v1
	v_mul_lo_u32 v7, v1, s9
	v_sub_u32_e32 v0, v0, v7
	s_andn2_b64 vcc, exec, s[48:49]
	v_mul_lo_u32 v8, v0, s46
	s_cbranch_vccnz .LBB130_7
; %bb.49:                               ;   in Loop: Header=BB130_9 Depth=1
	v_mul_hi_u32 v0, s8, v1
	v_add_u32_e32 v0, v1, v0
	v_lshrrev_b32_e32 v0, s14, v0
	v_mul_lo_u32 v0, v0, s12
	v_sub_u32_e32 v0, v1, v0
	v_mad_u64_u32 v[8:9], s[0:1], v0, s47, v[8:9]
	s_branch .LBB130_7
.LBB130_50:
	s_endpgm
.LBB130_51:
                                        ; implicit-def: $sgpr2_sgpr3
	s_andn2_b64 vcc, exec, s[0:1]
	s_cbranch_vccz .LBB130_4
	s_branch .LBB130_5
	.section	.rodata,"a",@progbits
	.p2align	6, 0x0
	.amdhsa_kernel _ZN2at6native12_GLOBAL__N_143distribution_elementwise_grid_stride_kernelIfLi4EZNS0_9templates4cuda21uniform_and_transformIifPNS_17CUDAGeneratorImplEZZZNS4_16bernoulli_kernelIS7_EEvRNS_18TensorIteratorBaseEdT_ENKUlvE_clEvENKUlvE1_clEvEUlfE_EEvSA_T1_T2_EUlP25hiprandStatePhilox4_32_10E_ZNS1_27distribution_nullary_kernelIif15HIP_vector_typeIdLj2EES7_SJ_SE_EEvSA_SG_RKT3_T4_EUlifE0_EEvlNS_15PhiloxCudaStateESF_SG_
		.amdhsa_group_segment_fixed_size 0
		.amdhsa_private_segment_fixed_size 0
		.amdhsa_kernarg_size 584
		.amdhsa_user_sgpr_count 6
		.amdhsa_user_sgpr_private_segment_buffer 1
		.amdhsa_user_sgpr_dispatch_ptr 0
		.amdhsa_user_sgpr_queue_ptr 0
		.amdhsa_user_sgpr_kernarg_segment_ptr 1
		.amdhsa_user_sgpr_dispatch_id 0
		.amdhsa_user_sgpr_flat_scratch_init 0
		.amdhsa_user_sgpr_kernarg_preload_length 0
		.amdhsa_user_sgpr_kernarg_preload_offset 0
		.amdhsa_user_sgpr_private_segment_size 0
		.amdhsa_uses_dynamic_stack 0
		.amdhsa_system_sgpr_private_segment_wavefront_offset 0
		.amdhsa_system_sgpr_workgroup_id_x 1
		.amdhsa_system_sgpr_workgroup_id_y 0
		.amdhsa_system_sgpr_workgroup_id_z 0
		.amdhsa_system_sgpr_workgroup_info 0
		.amdhsa_system_vgpr_workitem_id 0
		.amdhsa_next_free_vgpr 42
		.amdhsa_next_free_sgpr 63
		.amdhsa_accum_offset 44
		.amdhsa_reserve_vcc 1
		.amdhsa_reserve_flat_scratch 0
		.amdhsa_float_round_mode_32 0
		.amdhsa_float_round_mode_16_64 0
		.amdhsa_float_denorm_mode_32 3
		.amdhsa_float_denorm_mode_16_64 3
		.amdhsa_dx10_clamp 1
		.amdhsa_ieee_mode 1
		.amdhsa_fp16_overflow 0
		.amdhsa_tg_split 0
		.amdhsa_exception_fp_ieee_invalid_op 0
		.amdhsa_exception_fp_denorm_src 0
		.amdhsa_exception_fp_ieee_div_zero 0
		.amdhsa_exception_fp_ieee_overflow 0
		.amdhsa_exception_fp_ieee_underflow 0
		.amdhsa_exception_fp_ieee_inexact 0
		.amdhsa_exception_int_div_zero 0
	.end_amdhsa_kernel
	.section	.text._ZN2at6native12_GLOBAL__N_143distribution_elementwise_grid_stride_kernelIfLi4EZNS0_9templates4cuda21uniform_and_transformIifPNS_17CUDAGeneratorImplEZZZNS4_16bernoulli_kernelIS7_EEvRNS_18TensorIteratorBaseEdT_ENKUlvE_clEvENKUlvE1_clEvEUlfE_EEvSA_T1_T2_EUlP25hiprandStatePhilox4_32_10E_ZNS1_27distribution_nullary_kernelIif15HIP_vector_typeIdLj2EES7_SJ_SE_EEvSA_SG_RKT3_T4_EUlifE0_EEvlNS_15PhiloxCudaStateESF_SG_,"axG",@progbits,_ZN2at6native12_GLOBAL__N_143distribution_elementwise_grid_stride_kernelIfLi4EZNS0_9templates4cuda21uniform_and_transformIifPNS_17CUDAGeneratorImplEZZZNS4_16bernoulli_kernelIS7_EEvRNS_18TensorIteratorBaseEdT_ENKUlvE_clEvENKUlvE1_clEvEUlfE_EEvSA_T1_T2_EUlP25hiprandStatePhilox4_32_10E_ZNS1_27distribution_nullary_kernelIif15HIP_vector_typeIdLj2EES7_SJ_SE_EEvSA_SG_RKT3_T4_EUlifE0_EEvlNS_15PhiloxCudaStateESF_SG_,comdat
.Lfunc_end130:
	.size	_ZN2at6native12_GLOBAL__N_143distribution_elementwise_grid_stride_kernelIfLi4EZNS0_9templates4cuda21uniform_and_transformIifPNS_17CUDAGeneratorImplEZZZNS4_16bernoulli_kernelIS7_EEvRNS_18TensorIteratorBaseEdT_ENKUlvE_clEvENKUlvE1_clEvEUlfE_EEvSA_T1_T2_EUlP25hiprandStatePhilox4_32_10E_ZNS1_27distribution_nullary_kernelIif15HIP_vector_typeIdLj2EES7_SJ_SE_EEvSA_SG_RKT3_T4_EUlifE0_EEvlNS_15PhiloxCudaStateESF_SG_, .Lfunc_end130-_ZN2at6native12_GLOBAL__N_143distribution_elementwise_grid_stride_kernelIfLi4EZNS0_9templates4cuda21uniform_and_transformIifPNS_17CUDAGeneratorImplEZZZNS4_16bernoulli_kernelIS7_EEvRNS_18TensorIteratorBaseEdT_ENKUlvE_clEvENKUlvE1_clEvEUlfE_EEvSA_T1_T2_EUlP25hiprandStatePhilox4_32_10E_ZNS1_27distribution_nullary_kernelIif15HIP_vector_typeIdLj2EES7_SJ_SE_EEvSA_SG_RKT3_T4_EUlifE0_EEvlNS_15PhiloxCudaStateESF_SG_
                                        ; -- End function
	.section	.AMDGPU.csdata,"",@progbits
; Kernel info:
; codeLenInByte = 3312
; NumSgprs: 67
; NumVgprs: 42
; NumAgprs: 0
; TotalNumVgprs: 42
; ScratchSize: 0
; MemoryBound: 0
; FloatMode: 240
; IeeeMode: 1
; LDSByteSize: 0 bytes/workgroup (compile time only)
; SGPRBlocks: 8
; VGPRBlocks: 5
; NumSGPRsForWavesPerEU: 67
; NumVGPRsForWavesPerEU: 42
; AccumOffset: 44
; Occupancy: 8
; WaveLimiterHint : 1
; COMPUTE_PGM_RSRC2:SCRATCH_EN: 0
; COMPUTE_PGM_RSRC2:USER_SGPR: 6
; COMPUTE_PGM_RSRC2:TRAP_HANDLER: 0
; COMPUTE_PGM_RSRC2:TGID_X_EN: 1
; COMPUTE_PGM_RSRC2:TGID_Y_EN: 0
; COMPUTE_PGM_RSRC2:TGID_Z_EN: 0
; COMPUTE_PGM_RSRC2:TIDIG_COMP_CNT: 0
; COMPUTE_PGM_RSRC3_GFX90A:ACCUM_OFFSET: 10
; COMPUTE_PGM_RSRC3_GFX90A:TG_SPLIT: 0
	.section	.text._ZN2at6native12_GLOBAL__N_143distribution_elementwise_grid_stride_kernelIfLi4EZNS0_9templates4cuda21uniform_and_transformIifPNS_17CUDAGeneratorImplEZZZNS4_16bernoulli_kernelIS7_EEvRNS_18TensorIteratorBaseEdT_ENKUlvE_clEvENKUlvE1_clEvEUlfE_EEvSA_T1_T2_EUlP25hiprandStatePhilox4_32_10E0_ZNS1_27distribution_nullary_kernelIif15HIP_vector_typeIfLj4EES7_SJ_SE_EEvSA_SG_RKT3_T4_EUlifE_EEvlNS_15PhiloxCudaStateESF_SG_,"axG",@progbits,_ZN2at6native12_GLOBAL__N_143distribution_elementwise_grid_stride_kernelIfLi4EZNS0_9templates4cuda21uniform_and_transformIifPNS_17CUDAGeneratorImplEZZZNS4_16bernoulli_kernelIS7_EEvRNS_18TensorIteratorBaseEdT_ENKUlvE_clEvENKUlvE1_clEvEUlfE_EEvSA_T1_T2_EUlP25hiprandStatePhilox4_32_10E0_ZNS1_27distribution_nullary_kernelIif15HIP_vector_typeIfLj4EES7_SJ_SE_EEvSA_SG_RKT3_T4_EUlifE_EEvlNS_15PhiloxCudaStateESF_SG_,comdat
	.globl	_ZN2at6native12_GLOBAL__N_143distribution_elementwise_grid_stride_kernelIfLi4EZNS0_9templates4cuda21uniform_and_transformIifPNS_17CUDAGeneratorImplEZZZNS4_16bernoulli_kernelIS7_EEvRNS_18TensorIteratorBaseEdT_ENKUlvE_clEvENKUlvE1_clEvEUlfE_EEvSA_T1_T2_EUlP25hiprandStatePhilox4_32_10E0_ZNS1_27distribution_nullary_kernelIif15HIP_vector_typeIfLj4EES7_SJ_SE_EEvSA_SG_RKT3_T4_EUlifE_EEvlNS_15PhiloxCudaStateESF_SG_ ; -- Begin function _ZN2at6native12_GLOBAL__N_143distribution_elementwise_grid_stride_kernelIfLi4EZNS0_9templates4cuda21uniform_and_transformIifPNS_17CUDAGeneratorImplEZZZNS4_16bernoulli_kernelIS7_EEvRNS_18TensorIteratorBaseEdT_ENKUlvE_clEvENKUlvE1_clEvEUlfE_EEvSA_T1_T2_EUlP25hiprandStatePhilox4_32_10E0_ZNS1_27distribution_nullary_kernelIif15HIP_vector_typeIfLj4EES7_SJ_SE_EEvSA_SG_RKT3_T4_EUlifE_EEvlNS_15PhiloxCudaStateESF_SG_
	.p2align	8
	.type	_ZN2at6native12_GLOBAL__N_143distribution_elementwise_grid_stride_kernelIfLi4EZNS0_9templates4cuda21uniform_and_transformIifPNS_17CUDAGeneratorImplEZZZNS4_16bernoulli_kernelIS7_EEvRNS_18TensorIteratorBaseEdT_ENKUlvE_clEvENKUlvE1_clEvEUlfE_EEvSA_T1_T2_EUlP25hiprandStatePhilox4_32_10E0_ZNS1_27distribution_nullary_kernelIif15HIP_vector_typeIfLj4EES7_SJ_SE_EEvSA_SG_RKT3_T4_EUlifE_EEvlNS_15PhiloxCudaStateESF_SG_,@function
_ZN2at6native12_GLOBAL__N_143distribution_elementwise_grid_stride_kernelIfLi4EZNS0_9templates4cuda21uniform_and_transformIifPNS_17CUDAGeneratorImplEZZZNS4_16bernoulli_kernelIS7_EEvRNS_18TensorIteratorBaseEdT_ENKUlvE_clEvENKUlvE1_clEvEUlfE_EEvSA_T1_T2_EUlP25hiprandStatePhilox4_32_10E0_ZNS1_27distribution_nullary_kernelIif15HIP_vector_typeIfLj4EES7_SJ_SE_EEvSA_SG_RKT3_T4_EUlifE_EEvlNS_15PhiloxCudaStateESF_SG_: ; @_ZN2at6native12_GLOBAL__N_143distribution_elementwise_grid_stride_kernelIfLi4EZNS0_9templates4cuda21uniform_and_transformIifPNS_17CUDAGeneratorImplEZZZNS4_16bernoulli_kernelIS7_EEvRNS_18TensorIteratorBaseEdT_ENKUlvE_clEvENKUlvE1_clEvEUlfE_EEvSA_T1_T2_EUlP25hiprandStatePhilox4_32_10E0_ZNS1_27distribution_nullary_kernelIif15HIP_vector_typeIfLj4EES7_SJ_SE_EEvSA_SG_RKT3_T4_EUlifE_EEvlNS_15PhiloxCudaStateESF_SG_
; %bb.0:
	s_load_dword s7, s[4:5], 0x20
	s_load_dwordx2 s[10:11], s[4:5], 0x10
	s_load_dwordx4 s[0:3], s[4:5], 0x0
	s_mov_b32 s8, 0
	s_waitcnt lgkmcnt(0)
	s_bitcmp0_b32 s7, 0
	v_pk_mov_b32 v[2:3], s[10:11], s[10:11] op_sel:[0,1]
	v_pk_mov_b32 v[14:15], s[2:3], s[2:3] op_sel:[0,1]
	s_cbranch_scc1 .LBB131_2
; %bb.1:
	v_pk_mov_b32 v[2:3], s[10:11], s[10:11] op_sel:[0,1]
	flat_load_dwordx2 v[2:3], v[2:3]
	v_pk_mov_b32 v[4:5], s[2:3], s[2:3] op_sel:[0,1]
	flat_load_dwordx2 v[14:15], v[4:5]
	s_load_dwordx2 s[2:3], s[4:5], 0x18
	s_waitcnt lgkmcnt(0)
	v_mov_b32_e32 v1, s3
	s_waitcnt vmcnt(0)
	v_add_co_u32_e32 v2, vcc, s2, v2
	v_addc_co_u32_e32 v3, vcc, v3, v1, vcc
.LBB131_2:
	s_load_dword s2, s[4:5], 0x54
	s_load_dword s17, s[4:5], 0x48
	s_waitcnt lgkmcnt(0)
	s_and_b32 s7, s2, 0xffff
	s_add_u32 s10, s0, -1
	s_mul_i32 s12, s17, s7
	s_addc_u32 s9, s1, -1
	s_lshl_b32 s13, s12, 2
	s_cmp_lg_u64 s[8:9], 0
	s_mov_b64 s[2:3], -1
	s_cbranch_scc0 .LBB131_27
; %bb.3:
	v_cvt_f32_u32_e32 v1, s13
	v_cvt_f32_ubyte0_e32 v4, 0
	s_sub_u32 s8, 0, s13
	s_subb_u32 s11, 0, 0
	v_madmk_f32 v1, v4, 0x4f800000, v1
	v_rcp_f32_e32 v1, v1
	v_mul_f32_e32 v1, 0x5f7ffffc, v1
	v_mul_f32_e32 v4, 0x2f800000, v1
	v_trunc_f32_e32 v4, v4
	v_madmk_f32 v1, v4, 0xcf800000, v1
	v_cvt_u32_f32_e32 v4, v4
	v_cvt_u32_f32_e32 v1, v1
	v_readfirstlane_b32 s14, v4
	v_readfirstlane_b32 s15, v1
	s_mul_i32 s16, s8, s14
	s_mul_hi_u32 s19, s8, s15
	s_mul_i32 s18, s11, s15
	s_add_i32 s16, s19, s16
	s_add_i32 s16, s16, s18
	s_mul_i32 s20, s8, s15
	s_mul_hi_u32 s18, s15, s16
	s_mul_i32 s19, s15, s16
	s_mul_hi_u32 s15, s15, s20
	s_add_u32 s15, s15, s19
	s_addc_u32 s18, 0, s18
	s_mul_hi_u32 s21, s14, s20
	s_mul_i32 s20, s14, s20
	s_add_u32 s15, s15, s20
	s_mul_hi_u32 s19, s14, s16
	s_addc_u32 s15, s18, s21
	s_addc_u32 s18, s19, 0
	s_mul_i32 s16, s14, s16
	s_add_u32 s15, s15, s16
	s_addc_u32 s16, 0, s18
	v_add_co_u32_e32 v1, vcc, s15, v1
	s_cmp_lg_u64 vcc, 0
	s_addc_u32 s14, s14, s16
	v_readfirstlane_b32 s16, v1
	s_mul_i32 s15, s8, s14
	s_mul_hi_u32 s18, s8, s16
	s_add_i32 s15, s18, s15
	s_mul_i32 s11, s11, s16
	s_add_i32 s15, s15, s11
	s_mul_i32 s8, s8, s16
	s_mul_hi_u32 s18, s14, s8
	s_mul_i32 s19, s14, s8
	s_mul_i32 s21, s16, s15
	s_mul_hi_u32 s8, s16, s8
	s_mul_hi_u32 s20, s16, s15
	s_add_u32 s8, s8, s21
	s_addc_u32 s16, 0, s20
	s_add_u32 s8, s8, s19
	s_mul_hi_u32 s11, s14, s15
	s_addc_u32 s8, s16, s18
	s_addc_u32 s11, s11, 0
	s_mul_i32 s15, s14, s15
	s_add_u32 s8, s8, s15
	s_addc_u32 s11, 0, s11
	v_add_co_u32_e32 v1, vcc, s8, v1
	s_cmp_lg_u64 vcc, 0
	s_addc_u32 s11, s14, s11
	s_ashr_i32 s14, s9, 31
	s_add_u32 s8, s10, s14
	s_mov_b32 s15, s14
	s_addc_u32 s9, s9, s14
	s_xor_b64 s[8:9], s[8:9], s[14:15]
	v_readfirstlane_b32 s19, v1
	s_mul_i32 s18, s8, s11
	s_mul_hi_u32 s20, s8, s19
	s_mul_hi_u32 s16, s8, s11
	s_add_u32 s18, s20, s18
	s_addc_u32 s16, 0, s16
	s_mul_hi_u32 s21, s9, s19
	s_mul_i32 s19, s9, s19
	s_add_u32 s18, s18, s19
	s_mul_hi_u32 s20, s9, s11
	s_addc_u32 s16, s16, s21
	s_addc_u32 s18, s20, 0
	s_mul_i32 s11, s9, s11
	s_add_u32 s11, s16, s11
	s_addc_u32 s16, 0, s18
	s_add_u32 s18, s11, 1
	s_addc_u32 s19, s16, 0
	s_add_u32 s20, s11, 2
	s_mul_i32 s22, s13, s16
	s_mul_hi_u32 s23, s13, s11
	s_addc_u32 s21, s16, 0
	s_add_i32 s23, s23, s22
	s_mul_i32 s22, s13, s11
	v_mov_b32_e32 v1, s22
	v_sub_co_u32_e32 v1, vcc, s8, v1
	s_cmp_lg_u64 vcc, 0
	s_subb_u32 s8, s9, s23
	v_subrev_co_u32_e32 v4, vcc, s13, v1
	s_cmp_lg_u64 vcc, 0
	s_subb_u32 s9, s8, 0
	v_readfirstlane_b32 s22, v4
	s_cmp_ge_u32 s22, s13
	s_cselect_b32 s22, -1, 0
	s_cmp_eq_u32 s9, 0
	s_cselect_b32 s9, s22, -1
	s_cmp_lg_u32 s9, 0
	s_cselect_b32 s9, s21, s19
	v_readfirstlane_b32 s19, v1
	s_cselect_b32 s18, s20, s18
	s_cmp_ge_u32 s19, s13
	s_cselect_b32 s19, -1, 0
	s_cmp_eq_u32 s8, 0
	s_cselect_b32 s8, s19, -1
	s_cmp_lg_u32 s8, 0
	s_cselect_b32 s9, s9, s16
	s_cselect_b32 s8, s18, s11
	s_xor_b64 s[8:9], s[8:9], s[14:15]
	s_sub_u32 s8, s8, s14
	s_subb_u32 s9, s9, s14
	s_cbranch_execnz .LBB131_5
.LBB131_4:
	v_cvt_f32_u32_e32 v1, s13
	s_sub_i32 s2, 0, s13
	s_mov_b32 s9, 0
	v_rcp_iflag_f32_e32 v1, v1
	v_mul_f32_e32 v1, 0x4f7ffffe, v1
	v_cvt_u32_f32_e32 v1, v1
	v_readfirstlane_b32 s3, v1
	s_mul_i32 s2, s2, s3
	s_mul_hi_u32 s2, s3, s2
	s_add_i32 s3, s3, s2
	s_mul_hi_u32 s2, s10, s3
	s_mul_i32 s8, s2, s13
	s_sub_i32 s8, s10, s8
	s_add_i32 s3, s2, 1
	s_sub_i32 s10, s8, s13
	s_cmp_ge_u32 s8, s13
	s_cselect_b32 s2, s3, s2
	s_cselect_b32 s8, s10, s8
	s_add_i32 s3, s2, 1
	s_cmp_ge_u32 s8, s13
	s_cselect_b32 s8, s3, s2
.LBB131_5:
	v_mov_b32_e32 v1, 0
	v_mov_b32_e32 v4, s6
	v_mad_u64_u32 v[16:17], s[2:3], s7, v4, v[0:1]
	s_add_u32 s2, s8, 1
	s_addc_u32 s3, s9, 0
	s_mul_hi_u32 s8, s17, s7
	s_mul_i32 s3, s12, s3
	s_mul_hi_u32 s9, s12, s2
	s_add_i32 s3, s9, s3
	s_mul_i32 s8, s8, s2
	s_add_i32 s3, s3, s8
	s_mul_i32 s2, s12, s2
	s_lshl_b64 s[2:3], s[2:3], 2
	v_cmp_gt_i64_e32 vcc, s[2:3], v[16:17]
	s_and_saveexec_b64 s[8:9], vcc
	s_cbranch_execz .LBB131_26
; %bb.6:
	s_load_dwordx2 s[8:9], s[4:5], 0x30
	s_load_dword s23, s[4:5], 0x38
	s_load_dwordx2 s[10:11], s[4:5], 0x40
	s_mov_b32 s4, 0x5384540f
	v_mov_b32_e32 v4, v15
	v_add_co_u32_e32 v22, vcc, s4, v14
	s_mov_b32 s4, 0x646e171e
	v_add_co_u32_e32 v23, vcc, s4, v4
	s_mov_b32 s4, 0x1715609d
	;; [unrolled: 2-line block ×6, first 2 shown]
	v_alignbit_b32 v29, v3, v2, 2
	s_mov_b32 s15, 0xd2511f53
	v_add_co_u32_e32 v28, vcc, s4, v14
	v_mad_u64_u32 v[6:7], s[4:5], v29, s15, 0
	v_xor_b32_e32 v1, v7, v15
	v_xor_b32_e32 v1, v1, v17
	s_mov_b32 s16, 0xcd9e8d57
	v_mad_u64_u32 v[8:9], s[4:5], v1, s16, 0
	v_xor_b32_e32 v1, v28, v9
	v_mad_u64_u32 v[10:11], s[4:5], v16, s16, 0
	v_and_b32_e32 v18, 3, v2
	v_xor_b32_e32 v1, v1, v10
	v_xor_b32_e32 v2, v14, v11
	v_lshrrev_b32_e32 v30, 2, v3
	v_mad_u64_u32 v[12:13], s[4:5], v1, s15, 0
	v_xor_b32_e32 v2, v2, v30
	v_xor_b32_e32 v1, v27, v13
	v_mad_u64_u32 v[2:3], s[4:5], v2, s15, 0
	v_xor_b32_e32 v1, v1, v2
	v_mad_u64_u32 v[10:11], s[4:5], v1, s16, 0
	s_mov_b32 s4, 0xbb67ae85
	v_add_co_u32_e32 v31, vcc, s4, v4
	v_xor_b32_e32 v2, v31, v3
	v_xor_b32_e32 v2, v2, v6
	v_xor_b32_e32 v1, v26, v11
	v_mad_u64_u32 v[2:3], s[4:5], v2, s16, 0
	v_xor_b32_e32 v1, v1, v2
	v_mad_u64_u32 v[6:7], s[4:5], v1, s15, 0
	s_mov_b32 s4, 0x3c6ef372
	v_add_co_u32_e32 v32, vcc, s4, v14
	v_xor_b32_e32 v2, v32, v3
	;; [unrolled: 8-line block ×6, first 2 shown]
	v_add_co_u32_e32 v21, vcc, 0xdb3d7428, v4
	v_xor_b32_e32 v2, v2, v8
	v_xor_b32_e32 v1, v21, v7
	v_mad_u64_u32 v[2:3], s[4:5], v2, s15, 0
	v_xor_b32_e32 v1, v1, v2
	v_mad_u64_u32 v[8:9], s[4:5], v1, s16, 0
	s_mov_b32 s4, 0x1fd5c5a3
	v_add_co_u32_e32 v37, vcc, s4, v4
	v_xor_b32_e32 v1, v37, v3
	v_xor_b32_e32 v1, v1, v12
	v_mad_u64_u32 v[2:3], s[4:5], v1, s16, 0
	s_mov_b32 s4, 0xf1bbcdc8
	v_add_u32_e32 v19, 0x8ff34781, v14
	v_xor_b32_e32 v1, v9, v2
	v_add_co_u32_e32 v38, vcc, s4, v14
	v_xor_b32_e32 v2, v19, v1
	v_xor_b32_e32 v1, v38, v3
	v_xor_b32_e32 v1, v1, v10
	v_mad_u64_u32 v[10:11], s[4:5], v1, s15, 0
	v_add_u32_e32 v20, 0x96a522ad, v15
	v_xor_b32_e32 v1, v11, v6
	s_mul_i32 s4, s6, s7
	v_xor_b32_e32 v4, v20, v1
	v_add_u32_e32 v1, s4, v0
	s_waitcnt lgkmcnt(0)
	s_mul_i32 s4, s17, s23
	s_mul_i32 s4, s4, s7
	s_lshl_b32 s22, s4, 2
	s_mul_i32 s4, s17, 3
	s_add_i32 s4, s6, s4
	s_mul_i32 s4, s4, s7
	v_mul_lo_u32 v40, s23, v1
	v_add_u32_e32 v1, s4, v0
	s_lshl_b32 s4, s17, 1
	s_add_i32 s4, s6, s4
	s_mul_i32 s4, s4, s7
	v_mul_lo_u32 v41, s23, v1
	v_add_u32_e32 v1, s4, v0
	s_add_i32 s4, s6, s17
	s_mul_i32 s4, s4, s7
	s_mov_b32 s14, 0
	v_add_u32_e32 v0, s4, v0
	v_mov_b32_e32 v3, v8
	v_mov_b32_e32 v5, v10
	v_cvt_f32_f64_e32 v39, s[10:11]
	s_lshl_b32 s18, s12, 1
	s_mov_b32 s19, s14
	s_mul_i32 s20, s12, 3
	s_mov_b32 s21, s14
	v_mul_lo_u32 v42, s23, v1
	v_mul_lo_u32 v43, s23, v0
	s_mov_b64 s[4:5], 0
	s_mov_b32 s17, s14
	v_mov_b32_e32 v44, v16
	v_mov_b32_e32 v45, v17
	s_branch .LBB131_8
.LBB131_7:                              ;   in Loop: Header=BB131_8 Depth=1
	s_or_b64 exec, exec, s[6:7]
	v_add_co_u32_e32 v16, vcc, s13, v16
	v_addc_co_u32_e32 v17, vcc, 0, v17, vcc
	v_mov_b32_e32 v9, v0
	s_add_i32 s17, s17, s22
	v_cmp_le_i64_e32 vcc, s[2:3], v[16:17]
	v_pk_mov_b32 v[2:3], v[6:7], v[6:7] op_sel:[0,1]
	s_or_b64 s[4:5], vcc, s[4:5]
	v_pk_mov_b32 v[4:5], v[8:9], v[8:9] op_sel:[0,1]
	s_barrier
	s_andn2_b64 exec, exec, s[4:5]
	s_cbranch_execz .LBB131_26
.LBB131_8:                              ; =>This Inner Loop Header: Depth=1
	v_add_co_u32_e32 v29, vcc, 1, v29
	v_cndmask_b32_e64 v0, 0, 1, vcc
	v_addc_co_u32_e32 v30, vcc, 0, v30, vcc
	v_cmp_eq_u32_e32 vcc, 0, v30
	v_cndmask_b32_e32 v0, 0, v0, vcc
	v_add_u32_e32 v44, v0, v44
	v_cmp_eq_u32_e32 vcc, 0, v44
	v_cndmask_b32_e32 v0, 0, v0, vcc
	v_add_u32_e32 v45, v0, v45
	v_mad_u64_u32 v[0:1], s[6:7], v29, s15, 0
	v_mad_u64_u32 v[6:7], s[6:7], v44, s16, 0
	v_xor_b32_e32 v1, v1, v15
	v_xor_b32_e32 v7, v7, v14
	v_xor_b32_e32 v1, v45, v1
	v_xor_b32_e32 v7, v30, v7
	v_mad_u64_u32 v[10:11], s[6:7], v1, s16, 0
	v_mad_u64_u32 v[8:9], s[6:7], v7, s15, 0
	v_xor_b32_e32 v1, v28, v11
	v_xor_b32_e32 v1, v1, v6
	v_xor_b32_e32 v6, v31, v9
	v_xor_b32_e32 v6, v6, v0
	;; [unrolled: 6-line block ×10, first 2 shown]
	v_mov_b32_e32 v7, v12
	v_mov_b32_e32 v8, v13
	v_cmp_lt_i32_e32 vcc, 1, v18
	s_and_saveexec_b64 s[6:7], vcc
	s_xor_b64 s[6:7], exec, s[6:7]
	s_cbranch_execnz .LBB131_18
; %bb.9:                                ;   in Loop: Header=BB131_8 Depth=1
	s_andn2_saveexec_b64 s[6:7], s[6:7]
	s_cbranch_execnz .LBB131_23
.LBB131_10:                             ;   in Loop: Header=BB131_8 Depth=1
	s_or_b64 exec, exec, s[6:7]
	v_cmp_gt_i64_e32 vcc, s[0:1], v[16:17]
	s_and_saveexec_b64 s[6:7], vcc
	s_cbranch_execz .LBB131_12
.LBB131_11:                             ;   in Loop: Header=BB131_8 Depth=1
	v_cvt_f32_u32_e32 v1, v2
	v_mov_b32_e32 v2, 0x2f800000
	v_add_u32_e32 v9, s17, v40
	v_ashrrev_i32_e32 v11, 31, v9
	v_fmac_f32_e32 v2, 0x2f800000, v1
	v_mov_b32_e32 v1, s9
	v_add_co_u32_e32 v10, vcc, s8, v9
	v_addc_co_u32_e32 v11, vcc, v1, v11, vcc
	v_cmp_lt_f32_e32 vcc, v2, v39
	v_cndmask_b32_e64 v1, 0, 1, vcc
	global_store_dword v[10:11], v1, off
.LBB131_12:                             ;   in Loop: Header=BB131_8 Depth=1
	s_or_b64 exec, exec, s[6:7]
	v_mov_b32_e32 v1, s14
	v_add_co_u32_e32 v10, vcc, s12, v16
	v_addc_co_u32_e32 v11, vcc, v1, v17, vcc
	v_cmp_gt_i64_e32 vcc, s[0:1], v[10:11]
	s_and_saveexec_b64 s[6:7], vcc
	s_cbranch_execz .LBB131_14
; %bb.13:                               ;   in Loop: Header=BB131_8 Depth=1
	v_cvt_f32_u32_e32 v1, v3
	v_mov_b32_e32 v9, 0x2f800000
	v_add_u32_e32 v2, s17, v43
	v_ashrrev_i32_e32 v3, 31, v2
	v_fmac_f32_e32 v9, 0x2f800000, v1
	v_mov_b32_e32 v1, s9
	v_add_co_u32_e32 v2, vcc, s8, v2
	v_addc_co_u32_e32 v3, vcc, v1, v3, vcc
	v_cmp_lt_f32_e32 vcc, v9, v39
	v_cndmask_b32_e64 v1, 0, 1, vcc
	global_store_dword v[2:3], v1, off
.LBB131_14:                             ;   in Loop: Header=BB131_8 Depth=1
	s_or_b64 exec, exec, s[6:7]
	v_mov_b32_e32 v1, s19
	v_add_co_u32_e32 v2, vcc, s18, v16
	v_addc_co_u32_e32 v3, vcc, v1, v17, vcc
	v_cmp_gt_i64_e32 vcc, s[0:1], v[2:3]
	s_and_saveexec_b64 s[6:7], vcc
	s_cbranch_execz .LBB131_16
; %bb.15:                               ;   in Loop: Header=BB131_8 Depth=1
	v_cvt_f32_u32_e32 v1, v4
	v_mov_b32_e32 v4, 0x2f800000
	v_add_u32_e32 v2, s17, v42
	v_ashrrev_i32_e32 v3, 31, v2
	v_fmac_f32_e32 v4, 0x2f800000, v1
	v_mov_b32_e32 v1, s9
	v_add_co_u32_e32 v2, vcc, s8, v2
	v_addc_co_u32_e32 v3, vcc, v1, v3, vcc
	v_cmp_lt_f32_e32 vcc, v4, v39
	v_cndmask_b32_e64 v1, 0, 1, vcc
	global_store_dword v[2:3], v1, off
.LBB131_16:                             ;   in Loop: Header=BB131_8 Depth=1
	s_or_b64 exec, exec, s[6:7]
	v_mov_b32_e32 v1, s21
	v_add_co_u32_e32 v2, vcc, s20, v16
	v_addc_co_u32_e32 v3, vcc, v1, v17, vcc
	v_cmp_gt_i64_e32 vcc, s[0:1], v[2:3]
	s_and_saveexec_b64 s[6:7], vcc
	s_cbranch_execz .LBB131_7
; %bb.17:                               ;   in Loop: Header=BB131_8 Depth=1
	v_cvt_f32_u32_e32 v1, v5
	v_mov_b32_e32 v4, 0x2f800000
	v_add_u32_e32 v2, s17, v41
	v_ashrrev_i32_e32 v3, 31, v2
	v_fmac_f32_e32 v4, 0x2f800000, v1
	v_mov_b32_e32 v1, s9
	v_add_co_u32_e32 v2, vcc, s8, v2
	v_addc_co_u32_e32 v3, vcc, v1, v3, vcc
	v_cmp_lt_f32_e32 vcc, v4, v39
	v_cndmask_b32_e64 v1, 0, 1, vcc
	global_store_dword v[2:3], v1, off
	s_branch .LBB131_7
.LBB131_18:                             ;   in Loop: Header=BB131_8 Depth=1
	v_cmp_lt_i32_e32 vcc, 2, v18
	s_and_saveexec_b64 s[10:11], vcc
	s_xor_b64 s[10:11], exec, s[10:11]
; %bb.19:                               ;   in Loop: Header=BB131_8 Depth=1
	v_mov_b32_e32 v10, v5
	v_mov_b32_e32 v11, v6
	v_pk_mov_b32 v[2:3], v[10:11], v[10:11] op_sel:[0,1]
	v_pk_mov_b32 v[4:5], v[12:13], v[12:13] op_sel:[0,1]
                                        ; implicit-def: $vgpr12_vgpr13
; %bb.20:                               ;   in Loop: Header=BB131_8 Depth=1
	s_andn2_saveexec_b64 s[10:11], s[10:11]
; %bb.21:                               ;   in Loop: Header=BB131_8 Depth=1
	v_mov_b32_e32 v2, v4
	v_mov_b32_e32 v3, v5
	;; [unrolled: 1-line block ×4, first 2 shown]
; %bb.22:                               ;   in Loop: Header=BB131_8 Depth=1
	s_or_b64 exec, exec, s[10:11]
	s_andn2_saveexec_b64 s[6:7], s[6:7]
	s_cbranch_execz .LBB131_10
.LBB131_23:                             ;   in Loop: Header=BB131_8 Depth=1
	v_cmp_eq_u32_e32 vcc, 1, v18
	s_and_saveexec_b64 s[10:11], vcc
; %bb.24:                               ;   in Loop: Header=BB131_8 Depth=1
	v_mov_b32_e32 v2, v3
	v_mov_b32_e32 v3, v4
	;; [unrolled: 1-line block ×4, first 2 shown]
; %bb.25:                               ;   in Loop: Header=BB131_8 Depth=1
	s_or_b64 exec, exec, s[10:11]
	s_or_b64 exec, exec, s[6:7]
	v_cmp_gt_i64_e32 vcc, s[0:1], v[16:17]
	s_and_saveexec_b64 s[6:7], vcc
	s_cbranch_execnz .LBB131_11
	s_branch .LBB131_12
.LBB131_26:
	s_endpgm
.LBB131_27:
                                        ; implicit-def: $sgpr8_sgpr9
	s_andn2_b64 vcc, exec, s[2:3]
	s_cbranch_vccz .LBB131_4
	s_branch .LBB131_5
	.section	.rodata,"a",@progbits
	.p2align	6, 0x0
	.amdhsa_kernel _ZN2at6native12_GLOBAL__N_143distribution_elementwise_grid_stride_kernelIfLi4EZNS0_9templates4cuda21uniform_and_transformIifPNS_17CUDAGeneratorImplEZZZNS4_16bernoulli_kernelIS7_EEvRNS_18TensorIteratorBaseEdT_ENKUlvE_clEvENKUlvE1_clEvEUlfE_EEvSA_T1_T2_EUlP25hiprandStatePhilox4_32_10E0_ZNS1_27distribution_nullary_kernelIif15HIP_vector_typeIfLj4EES7_SJ_SE_EEvSA_SG_RKT3_T4_EUlifE_EEvlNS_15PhiloxCudaStateESF_SG_
		.amdhsa_group_segment_fixed_size 0
		.amdhsa_private_segment_fixed_size 0
		.amdhsa_kernarg_size 328
		.amdhsa_user_sgpr_count 6
		.amdhsa_user_sgpr_private_segment_buffer 1
		.amdhsa_user_sgpr_dispatch_ptr 0
		.amdhsa_user_sgpr_queue_ptr 0
		.amdhsa_user_sgpr_kernarg_segment_ptr 1
		.amdhsa_user_sgpr_dispatch_id 0
		.amdhsa_user_sgpr_flat_scratch_init 0
		.amdhsa_user_sgpr_kernarg_preload_length 0
		.amdhsa_user_sgpr_kernarg_preload_offset 0
		.amdhsa_user_sgpr_private_segment_size 0
		.amdhsa_uses_dynamic_stack 0
		.amdhsa_system_sgpr_private_segment_wavefront_offset 0
		.amdhsa_system_sgpr_workgroup_id_x 1
		.amdhsa_system_sgpr_workgroup_id_y 0
		.amdhsa_system_sgpr_workgroup_id_z 0
		.amdhsa_system_sgpr_workgroup_info 0
		.amdhsa_system_vgpr_workitem_id 0
		.amdhsa_next_free_vgpr 48
		.amdhsa_next_free_sgpr 24
		.amdhsa_accum_offset 48
		.amdhsa_reserve_vcc 1
		.amdhsa_reserve_flat_scratch 0
		.amdhsa_float_round_mode_32 0
		.amdhsa_float_round_mode_16_64 0
		.amdhsa_float_denorm_mode_32 3
		.amdhsa_float_denorm_mode_16_64 3
		.amdhsa_dx10_clamp 1
		.amdhsa_ieee_mode 1
		.amdhsa_fp16_overflow 0
		.amdhsa_tg_split 0
		.amdhsa_exception_fp_ieee_invalid_op 0
		.amdhsa_exception_fp_denorm_src 0
		.amdhsa_exception_fp_ieee_div_zero 0
		.amdhsa_exception_fp_ieee_overflow 0
		.amdhsa_exception_fp_ieee_underflow 0
		.amdhsa_exception_fp_ieee_inexact 0
		.amdhsa_exception_int_div_zero 0
	.end_amdhsa_kernel
	.section	.text._ZN2at6native12_GLOBAL__N_143distribution_elementwise_grid_stride_kernelIfLi4EZNS0_9templates4cuda21uniform_and_transformIifPNS_17CUDAGeneratorImplEZZZNS4_16bernoulli_kernelIS7_EEvRNS_18TensorIteratorBaseEdT_ENKUlvE_clEvENKUlvE1_clEvEUlfE_EEvSA_T1_T2_EUlP25hiprandStatePhilox4_32_10E0_ZNS1_27distribution_nullary_kernelIif15HIP_vector_typeIfLj4EES7_SJ_SE_EEvSA_SG_RKT3_T4_EUlifE_EEvlNS_15PhiloxCudaStateESF_SG_,"axG",@progbits,_ZN2at6native12_GLOBAL__N_143distribution_elementwise_grid_stride_kernelIfLi4EZNS0_9templates4cuda21uniform_and_transformIifPNS_17CUDAGeneratorImplEZZZNS4_16bernoulli_kernelIS7_EEvRNS_18TensorIteratorBaseEdT_ENKUlvE_clEvENKUlvE1_clEvEUlfE_EEvSA_T1_T2_EUlP25hiprandStatePhilox4_32_10E0_ZNS1_27distribution_nullary_kernelIif15HIP_vector_typeIfLj4EES7_SJ_SE_EEvSA_SG_RKT3_T4_EUlifE_EEvlNS_15PhiloxCudaStateESF_SG_,comdat
.Lfunc_end131:
	.size	_ZN2at6native12_GLOBAL__N_143distribution_elementwise_grid_stride_kernelIfLi4EZNS0_9templates4cuda21uniform_and_transformIifPNS_17CUDAGeneratorImplEZZZNS4_16bernoulli_kernelIS7_EEvRNS_18TensorIteratorBaseEdT_ENKUlvE_clEvENKUlvE1_clEvEUlfE_EEvSA_T1_T2_EUlP25hiprandStatePhilox4_32_10E0_ZNS1_27distribution_nullary_kernelIif15HIP_vector_typeIfLj4EES7_SJ_SE_EEvSA_SG_RKT3_T4_EUlifE_EEvlNS_15PhiloxCudaStateESF_SG_, .Lfunc_end131-_ZN2at6native12_GLOBAL__N_143distribution_elementwise_grid_stride_kernelIfLi4EZNS0_9templates4cuda21uniform_and_transformIifPNS_17CUDAGeneratorImplEZZZNS4_16bernoulli_kernelIS7_EEvRNS_18TensorIteratorBaseEdT_ENKUlvE_clEvENKUlvE1_clEvEUlfE_EEvSA_T1_T2_EUlP25hiprandStatePhilox4_32_10E0_ZNS1_27distribution_nullary_kernelIif15HIP_vector_typeIfLj4EES7_SJ_SE_EEvSA_SG_RKT3_T4_EUlifE_EEvlNS_15PhiloxCudaStateESF_SG_
                                        ; -- End function
	.section	.AMDGPU.csdata,"",@progbits
; Kernel info:
; codeLenInByte = 2476
; NumSgprs: 28
; NumVgprs: 48
; NumAgprs: 0
; TotalNumVgprs: 48
; ScratchSize: 0
; MemoryBound: 0
; FloatMode: 240
; IeeeMode: 1
; LDSByteSize: 0 bytes/workgroup (compile time only)
; SGPRBlocks: 3
; VGPRBlocks: 5
; NumSGPRsForWavesPerEU: 28
; NumVGPRsForWavesPerEU: 48
; AccumOffset: 48
; Occupancy: 8
; WaveLimiterHint : 0
; COMPUTE_PGM_RSRC2:SCRATCH_EN: 0
; COMPUTE_PGM_RSRC2:USER_SGPR: 6
; COMPUTE_PGM_RSRC2:TRAP_HANDLER: 0
; COMPUTE_PGM_RSRC2:TGID_X_EN: 1
; COMPUTE_PGM_RSRC2:TGID_Y_EN: 0
; COMPUTE_PGM_RSRC2:TGID_Z_EN: 0
; COMPUTE_PGM_RSRC2:TIDIG_COMP_CNT: 0
; COMPUTE_PGM_RSRC3_GFX90A:ACCUM_OFFSET: 11
; COMPUTE_PGM_RSRC3_GFX90A:TG_SPLIT: 0
	.section	.text._ZN2at6native12_GLOBAL__N_143distribution_elementwise_grid_stride_kernelIfLi4EZNS0_9templates4cuda21uniform_and_transformIifPNS_17CUDAGeneratorImplEZZZNS4_16bernoulli_kernelIS7_EEvRNS_18TensorIteratorBaseEdT_ENKUlvE_clEvENKUlvE1_clEvEUlfE_EEvSA_T1_T2_EUlP25hiprandStatePhilox4_32_10E0_ZNS1_27distribution_nullary_kernelIif15HIP_vector_typeIfLj4EES7_SJ_SE_EEvSA_SG_RKT3_T4_EUlifE0_EEvlNS_15PhiloxCudaStateESF_SG_,"axG",@progbits,_ZN2at6native12_GLOBAL__N_143distribution_elementwise_grid_stride_kernelIfLi4EZNS0_9templates4cuda21uniform_and_transformIifPNS_17CUDAGeneratorImplEZZZNS4_16bernoulli_kernelIS7_EEvRNS_18TensorIteratorBaseEdT_ENKUlvE_clEvENKUlvE1_clEvEUlfE_EEvSA_T1_T2_EUlP25hiprandStatePhilox4_32_10E0_ZNS1_27distribution_nullary_kernelIif15HIP_vector_typeIfLj4EES7_SJ_SE_EEvSA_SG_RKT3_T4_EUlifE0_EEvlNS_15PhiloxCudaStateESF_SG_,comdat
	.globl	_ZN2at6native12_GLOBAL__N_143distribution_elementwise_grid_stride_kernelIfLi4EZNS0_9templates4cuda21uniform_and_transformIifPNS_17CUDAGeneratorImplEZZZNS4_16bernoulli_kernelIS7_EEvRNS_18TensorIteratorBaseEdT_ENKUlvE_clEvENKUlvE1_clEvEUlfE_EEvSA_T1_T2_EUlP25hiprandStatePhilox4_32_10E0_ZNS1_27distribution_nullary_kernelIif15HIP_vector_typeIfLj4EES7_SJ_SE_EEvSA_SG_RKT3_T4_EUlifE0_EEvlNS_15PhiloxCudaStateESF_SG_ ; -- Begin function _ZN2at6native12_GLOBAL__N_143distribution_elementwise_grid_stride_kernelIfLi4EZNS0_9templates4cuda21uniform_and_transformIifPNS_17CUDAGeneratorImplEZZZNS4_16bernoulli_kernelIS7_EEvRNS_18TensorIteratorBaseEdT_ENKUlvE_clEvENKUlvE1_clEvEUlfE_EEvSA_T1_T2_EUlP25hiprandStatePhilox4_32_10E0_ZNS1_27distribution_nullary_kernelIif15HIP_vector_typeIfLj4EES7_SJ_SE_EEvSA_SG_RKT3_T4_EUlifE0_EEvlNS_15PhiloxCudaStateESF_SG_
	.p2align	8
	.type	_ZN2at6native12_GLOBAL__N_143distribution_elementwise_grid_stride_kernelIfLi4EZNS0_9templates4cuda21uniform_and_transformIifPNS_17CUDAGeneratorImplEZZZNS4_16bernoulli_kernelIS7_EEvRNS_18TensorIteratorBaseEdT_ENKUlvE_clEvENKUlvE1_clEvEUlfE_EEvSA_T1_T2_EUlP25hiprandStatePhilox4_32_10E0_ZNS1_27distribution_nullary_kernelIif15HIP_vector_typeIfLj4EES7_SJ_SE_EEvSA_SG_RKT3_T4_EUlifE0_EEvlNS_15PhiloxCudaStateESF_SG_,@function
_ZN2at6native12_GLOBAL__N_143distribution_elementwise_grid_stride_kernelIfLi4EZNS0_9templates4cuda21uniform_and_transformIifPNS_17CUDAGeneratorImplEZZZNS4_16bernoulli_kernelIS7_EEvRNS_18TensorIteratorBaseEdT_ENKUlvE_clEvENKUlvE1_clEvEUlfE_EEvSA_T1_T2_EUlP25hiprandStatePhilox4_32_10E0_ZNS1_27distribution_nullary_kernelIif15HIP_vector_typeIfLj4EES7_SJ_SE_EEvSA_SG_RKT3_T4_EUlifE0_EEvlNS_15PhiloxCudaStateESF_SG_: ; @_ZN2at6native12_GLOBAL__N_143distribution_elementwise_grid_stride_kernelIfLi4EZNS0_9templates4cuda21uniform_and_transformIifPNS_17CUDAGeneratorImplEZZZNS4_16bernoulli_kernelIS7_EEvRNS_18TensorIteratorBaseEdT_ENKUlvE_clEvENKUlvE1_clEvEUlfE_EEvSA_T1_T2_EUlP25hiprandStatePhilox4_32_10E0_ZNS1_27distribution_nullary_kernelIif15HIP_vector_typeIfLj4EES7_SJ_SE_EEvSA_SG_RKT3_T4_EUlifE0_EEvlNS_15PhiloxCudaStateESF_SG_
; %bb.0:
	s_load_dword s2, s[4:5], 0x20
	s_load_dwordx2 s[0:1], s[4:5], 0x10
	s_load_dwordx4 s[24:27], s[4:5], 0x0
	s_waitcnt lgkmcnt(0)
	s_bitcmp0_b32 s2, 0
	s_mov_b32 s2, 0
	v_pk_mov_b32 v[2:3], s[0:1], s[0:1] op_sel:[0,1]
	v_pk_mov_b32 v[12:13], s[26:27], s[26:27] op_sel:[0,1]
	s_cbranch_scc1 .LBB132_2
; %bb.1:
	v_pk_mov_b32 v[2:3], s[0:1], s[0:1] op_sel:[0,1]
	flat_load_dwordx2 v[2:3], v[2:3]
	v_pk_mov_b32 v[4:5], s[26:27], s[26:27] op_sel:[0,1]
	flat_load_dwordx2 v[12:13], v[4:5]
	s_load_dwordx2 s[0:1], s[4:5], 0x18
	s_waitcnt lgkmcnt(0)
	v_mov_b32_e32 v1, s1
	s_waitcnt vmcnt(0)
	v_add_co_u32_e32 v2, vcc, s0, v2
	v_addc_co_u32_e32 v3, vcc, v3, v1, vcc
.LBB132_2:
	s_load_dword s0, s[4:5], 0x154
	s_load_dword s7, s[4:5], 0x148
	s_waitcnt lgkmcnt(0)
	s_and_b32 s8, s0, 0xffff
	s_add_u32 s9, s24, -1
	s_mul_i32 s33, s7, s8
	s_addc_u32 s3, s25, -1
	s_lshl_b32 s58, s33, 2
	s_cmp_lg_u64 s[2:3], 0
	s_mov_b64 s[0:1], -1
	s_cbranch_scc0 .LBB132_83
; %bb.3:
	v_cvt_f32_u32_e32 v1, s58
	v_cvt_f32_ubyte0_e32 v4, 0
	s_sub_u32 s2, 0, s58
	s_subb_u32 s10, 0, 0
	v_madmk_f32 v1, v4, 0x4f800000, v1
	v_rcp_f32_e32 v1, v1
	v_mul_f32_e32 v1, 0x5f7ffffc, v1
	v_mul_f32_e32 v4, 0x2f800000, v1
	v_trunc_f32_e32 v4, v4
	v_madmk_f32 v1, v4, 0xcf800000, v1
	v_cvt_u32_f32_e32 v4, v4
	v_cvt_u32_f32_e32 v1, v1
	v_readfirstlane_b32 s11, v4
	v_readfirstlane_b32 s12, v1
	s_mul_i32 s13, s2, s11
	s_mul_hi_u32 s15, s2, s12
	s_mul_i32 s14, s10, s12
	s_add_i32 s13, s15, s13
	s_add_i32 s13, s13, s14
	s_mul_i32 s16, s2, s12
	s_mul_hi_u32 s14, s12, s13
	s_mul_i32 s15, s12, s13
	s_mul_hi_u32 s12, s12, s16
	s_add_u32 s12, s12, s15
	s_addc_u32 s14, 0, s14
	s_mul_hi_u32 s17, s11, s16
	s_mul_i32 s16, s11, s16
	s_add_u32 s12, s12, s16
	s_mul_hi_u32 s15, s11, s13
	s_addc_u32 s12, s14, s17
	s_addc_u32 s14, s15, 0
	s_mul_i32 s13, s11, s13
	s_add_u32 s12, s12, s13
	s_addc_u32 s13, 0, s14
	v_add_co_u32_e32 v1, vcc, s12, v1
	s_cmp_lg_u64 vcc, 0
	s_addc_u32 s11, s11, s13
	v_readfirstlane_b32 s13, v1
	s_mul_i32 s12, s2, s11
	s_mul_hi_u32 s14, s2, s13
	s_add_i32 s12, s14, s12
	s_mul_i32 s10, s10, s13
	s_add_i32 s12, s12, s10
	s_mul_i32 s2, s2, s13
	s_mul_hi_u32 s14, s11, s2
	s_mul_i32 s15, s11, s2
	s_mul_i32 s17, s13, s12
	s_mul_hi_u32 s2, s13, s2
	s_mul_hi_u32 s16, s13, s12
	s_add_u32 s2, s2, s17
	s_addc_u32 s13, 0, s16
	s_add_u32 s2, s2, s15
	s_mul_hi_u32 s10, s11, s12
	s_addc_u32 s2, s13, s14
	s_addc_u32 s10, s10, 0
	s_mul_i32 s12, s11, s12
	s_add_u32 s2, s2, s12
	s_addc_u32 s10, 0, s10
	v_add_co_u32_e32 v1, vcc, s2, v1
	s_cmp_lg_u64 vcc, 0
	s_addc_u32 s12, s11, s10
	s_ashr_i32 s10, s3, 31
	s_add_u32 s2, s9, s10
	s_mov_b32 s11, s10
	s_addc_u32 s3, s3, s10
	s_xor_b64 s[2:3], s[2:3], s[10:11]
	v_readfirstlane_b32 s15, v1
	s_mul_i32 s14, s2, s12
	s_mul_hi_u32 s16, s2, s15
	s_mul_hi_u32 s13, s2, s12
	s_add_u32 s14, s16, s14
	s_addc_u32 s13, 0, s13
	s_mul_hi_u32 s17, s3, s15
	s_mul_i32 s15, s3, s15
	s_add_u32 s14, s14, s15
	s_mul_hi_u32 s16, s3, s12
	s_addc_u32 s13, s13, s17
	s_addc_u32 s14, s16, 0
	s_mul_i32 s12, s3, s12
	s_add_u32 s12, s13, s12
	s_addc_u32 s13, 0, s14
	s_add_u32 s14, s12, 1
	s_addc_u32 s15, s13, 0
	s_add_u32 s16, s12, 2
	s_mul_i32 s18, s58, s13
	s_mul_hi_u32 s19, s58, s12
	s_addc_u32 s17, s13, 0
	s_add_i32 s19, s19, s18
	s_mul_i32 s18, s58, s12
	v_mov_b32_e32 v1, s18
	v_sub_co_u32_e32 v1, vcc, s2, v1
	s_cmp_lg_u64 vcc, 0
	s_subb_u32 s2, s3, s19
	v_subrev_co_u32_e32 v4, vcc, s58, v1
	s_cmp_lg_u64 vcc, 0
	s_subb_u32 s3, s2, 0
	v_readfirstlane_b32 s18, v4
	s_cmp_ge_u32 s18, s58
	s_cselect_b32 s18, -1, 0
	s_cmp_eq_u32 s3, 0
	s_cselect_b32 s3, s18, -1
	s_cmp_lg_u32 s3, 0
	s_cselect_b32 s3, s17, s15
	v_readfirstlane_b32 s15, v1
	s_cselect_b32 s14, s16, s14
	s_cmp_ge_u32 s15, s58
	s_cselect_b32 s15, -1, 0
	s_cmp_eq_u32 s2, 0
	s_cselect_b32 s2, s15, -1
	s_cmp_lg_u32 s2, 0
	s_cselect_b32 s3, s3, s13
	s_cselect_b32 s2, s14, s12
	s_xor_b64 s[2:3], s[2:3], s[10:11]
	s_sub_u32 s2, s2, s10
	s_subb_u32 s3, s3, s10
	s_cbranch_execnz .LBB132_5
.LBB132_4:
	v_cvt_f32_u32_e32 v1, s58
	s_sub_i32 s0, 0, s58
	s_mov_b32 s3, 0
	v_rcp_iflag_f32_e32 v1, v1
	v_mul_f32_e32 v1, 0x4f7ffffe, v1
	v_cvt_u32_f32_e32 v1, v1
	v_readfirstlane_b32 s1, v1
	s_mul_i32 s0, s0, s1
	s_mul_hi_u32 s0, s1, s0
	s_add_i32 s1, s1, s0
	s_mul_hi_u32 s0, s9, s1
	s_mul_i32 s2, s0, s58
	s_sub_i32 s2, s9, s2
	s_add_i32 s1, s0, 1
	s_sub_i32 s9, s2, s58
	s_cmp_ge_u32 s2, s58
	s_cselect_b32 s0, s1, s0
	s_cselect_b32 s2, s9, s2
	s_add_i32 s1, s0, 1
	s_cmp_ge_u32 s2, s58
	s_cselect_b32 s2, s1, s0
.LBB132_5:
	v_mov_b32_e32 v1, 0
	v_mov_b32_e32 v4, s6
	v_mad_u64_u32 v[14:15], s[0:1], s8, v4, v[0:1]
	s_add_u32 s0, s2, 1
	s_addc_u32 s1, s3, 0
	s_mul_hi_u32 s2, s7, s8
	s_mul_i32 s1, s33, s1
	s_mul_hi_u32 s3, s33, s0
	s_add_i32 s1, s3, s1
	s_mul_i32 s2, s2, s0
	s_add_i32 s1, s1, s2
	s_mul_i32 s0, s33, s0
	s_lshl_b64 s[26:27], s[0:1], 2
	v_cmp_gt_i64_e32 vcc, s[26:27], v[14:15]
	s_and_saveexec_b64 s[0:1], vcc
	s_cbranch_execz .LBB132_82
; %bb.6:
	s_mov_b32 s0, 0x5384540f
	v_mov_b32_e32 v0, v13
	v_add_co_u32_e32 v22, vcc, s0, v12
	s_mov_b32 s0, 0x646e171e
	v_add_co_u32_e32 v23, vcc, s0, v0
	s_mov_b32 s0, 0x1715609d
	;; [unrolled: 2-line block ×6, first 2 shown]
	v_alignbit_b32 v29, v3, v2, 2
	s_mov_b32 s60, 0xd2511f53
	v_add_co_u32_e32 v28, vcc, s0, v12
	v_mad_u64_u32 v[4:5], s[0:1], v29, s60, 0
	v_xor_b32_e32 v1, v5, v13
	v_xor_b32_e32 v1, v1, v15
	s_mov_b32 s61, 0xcd9e8d57
	v_mad_u64_u32 v[6:7], s[0:1], v1, s61, 0
	v_xor_b32_e32 v1, v28, v7
	v_mad_u64_u32 v[8:9], s[0:1], v14, s61, 0
	v_and_b32_e32 v18, 3, v2
	v_xor_b32_e32 v1, v1, v8
	v_xor_b32_e32 v2, v12, v9
	v_lshrrev_b32_e32 v30, 2, v3
	v_mad_u64_u32 v[10:11], s[0:1], v1, s60, 0
	v_xor_b32_e32 v2, v2, v30
	v_xor_b32_e32 v1, v27, v11
	v_mad_u64_u32 v[2:3], s[0:1], v2, s60, 0
	v_xor_b32_e32 v1, v1, v2
	v_mad_u64_u32 v[8:9], s[0:1], v1, s61, 0
	s_mov_b32 s0, 0xbb67ae85
	v_add_co_u32_e32 v31, vcc, s0, v0
	v_xor_b32_e32 v2, v31, v3
	v_xor_b32_e32 v2, v2, v4
	v_xor_b32_e32 v1, v26, v9
	v_mad_u64_u32 v[2:3], s[0:1], v2, s61, 0
	v_xor_b32_e32 v1, v1, v2
	v_mad_u64_u32 v[4:5], s[0:1], v1, s60, 0
	s_mov_b32 s0, 0x3c6ef372
	v_add_co_u32_e32 v32, vcc, s0, v12
	v_xor_b32_e32 v2, v32, v3
	;; [unrolled: 8-line block ×6, first 2 shown]
	v_add_co_u32_e32 v21, vcc, 0xdb3d7428, v0
	v_xor_b32_e32 v2, v2, v6
	v_xor_b32_e32 v1, v21, v5
	v_mad_u64_u32 v[2:3], s[0:1], v2, s60, 0
	v_xor_b32_e32 v1, v1, v2
	v_mad_u64_u32 v[6:7], s[0:1], v1, s61, 0
	s_mov_b32 s0, 0x1fd5c5a3
	v_add_co_u32_e32 v37, vcc, s0, v0
	v_xor_b32_e32 v0, v37, v3
	v_xor_b32_e32 v0, v0, v10
	v_mad_u64_u32 v[0:1], s[0:1], v0, s61, 0
	s_mov_b32 s0, 0xf1bbcdc8
	s_load_dwordx8 s[8:15], s[4:5], 0x30
	v_add_co_u32_e32 v38, vcc, s0, v12
	v_xor_b32_e32 v1, v38, v1
	v_xor_b32_e32 v1, v1, v8
	s_add_u32 s34, s4, 48
	v_mad_u64_u32 v[8:9], s[0:1], v1, s60, 0
	s_addc_u32 s35, s5, 0
	s_waitcnt lgkmcnt(0)
	s_add_i32 s0, s8, -1
	s_cmp_gt_u32 s0, 1
	s_cselect_b64 s[40:41], -1, 0
	s_cmp_lg_u32 s8, 0
	s_cselect_b64 s[42:43], -1, 0
	s_add_u32 s44, s4, 0xf4
	s_addc_u32 s45, s5, 0
	s_load_dwordx2 s[46:47], s[4:5], 0xf4
	s_load_dwordx4 s[28:31], s[4:5], 0x138
	s_min_u32 s1, s0, 15
	s_cmp_gt_u32 s8, 1
	s_cselect_b64 s[48:49], -1, 0
	s_add_i32 s1, s1, 1
	s_mov_b32 s8, s13
	s_lshl_b32 s13, s33, 1
	s_and_b32 s64, s1, 3
	s_cmp_lg_u32 s0, 2
	s_waitcnt lgkmcnt(0)
	v_cvt_f32_f64_e32 v39, s[30:31]
	s_cselect_b64 s[30:31], -1, 0
	s_and_b32 s65, s1, 28
	s_mov_b32 s59, 0
	v_add_u32_e32 v19, 0x8ff34781, v12
	v_add_u32_e32 v20, 0x96a522ad, v13
	v_xor_b32_e32 v0, v7, v0
	v_xor_b32_e32 v1, v9, v4
	s_cmp_lg_u32 s64, 0
	v_xor_b32_e32 v0, v19, v0
	v_xor_b32_e32 v2, v20, v1
	v_mov_b32_e32 v1, v6
	v_mov_b32_e32 v3, v8
	s_mov_b32 s15, s59
	s_mul_i32 s62, s33, 3
	s_mov_b32 s63, s59
	s_mov_b64 s[50:51], 0
	s_cselect_b64 s[52:53], -1, 0
	v_mov_b32_e32 v40, v14
	v_mov_b32_e32 v41, v15
	s_branch .LBB132_9
.LBB132_7:                              ;   in Loop: Header=BB132_9 Depth=1
	v_cvt_f32_u32_e32 v0, v3
	v_mov_b32_e32 v1, 0x2f800000
	v_fmac_f32_e32 v1, 0x2f800000, v0
	v_cmp_lt_f32_e32 vcc, v1, v39
	v_cndmask_b32_e64 v0, 0, 1, vcc
	global_store_dword v8, v0, s[28:29]
.LBB132_8:                              ;   in Loop: Header=BB132_9 Depth=1
	s_or_b64 exec, exec, s[36:37]
	v_add_co_u32_e32 v14, vcc, s58, v14
	v_addc_co_u32_e32 v15, vcc, 0, v15, vcc
	v_mov_b32_e32 v7, v16
	v_cmp_le_i64_e32 vcc, s[26:27], v[14:15]
	v_pk_mov_b32 v[0:1], v[4:5], v[4:5] op_sel:[0,1]
	s_or_b64 s[50:51], vcc, s[50:51]
	v_pk_mov_b32 v[2:3], v[6:7], v[6:7] op_sel:[0,1]
	s_barrier
	s_andn2_b64 exec, exec, s[50:51]
	s_cbranch_execz .LBB132_82
.LBB132_9:                              ; =>This Loop Header: Depth=1
                                        ;     Child Loop BB132_24 Depth 2
                                        ;     Child Loop BB132_30 Depth 2
	;; [unrolled: 1-line block ×8, first 2 shown]
	v_add_co_u32_e32 v29, vcc, 1, v29
	v_cndmask_b32_e64 v4, 0, 1, vcc
	v_addc_co_u32_e32 v30, vcc, 0, v30, vcc
	v_cmp_eq_u32_e32 vcc, 0, v30
	v_cndmask_b32_e32 v4, 0, v4, vcc
	v_add_u32_e32 v40, v4, v40
	v_cmp_eq_u32_e32 vcc, 0, v40
	v_cndmask_b32_e32 v4, 0, v4, vcc
	v_add_u32_e32 v41, v4, v41
	v_mad_u64_u32 v[4:5], s[0:1], v29, s60, 0
	v_mad_u64_u32 v[6:7], s[0:1], v40, s61, 0
	v_xor_b32_e32 v5, v5, v13
	v_xor_b32_e32 v7, v7, v12
	v_xor_b32_e32 v5, v41, v5
	v_xor_b32_e32 v7, v30, v7
	v_mad_u64_u32 v[10:11], s[0:1], v5, s61, 0
	v_mad_u64_u32 v[8:9], s[0:1], v7, s60, 0
	v_xor_b32_e32 v5, v28, v11
	v_xor_b32_e32 v5, v5, v6
	v_xor_b32_e32 v6, v31, v9
	v_xor_b32_e32 v6, v6, v4
	;; [unrolled: 6-line block ×10, first 2 shown]
	v_mov_b32_e32 v5, v10
	v_mov_b32_e32 v6, v11
	v_cmp_lt_i32_e32 vcc, 1, v18
	s_and_saveexec_b64 s[0:1], vcc
	s_xor_b64 s[0:1], exec, s[0:1]
	s_cbranch_execz .LBB132_15
; %bb.10:                               ;   in Loop: Header=BB132_9 Depth=1
	v_cmp_lt_i32_e32 vcc, 2, v18
	s_and_saveexec_b64 s[2:3], vcc
	s_xor_b64 s[2:3], exec, s[2:3]
; %bb.11:                               ;   in Loop: Header=BB132_9 Depth=1
	v_mov_b32_e32 v8, v3
	v_mov_b32_e32 v9, v4
	v_pk_mov_b32 v[0:1], v[8:9], v[8:9] op_sel:[0,1]
	v_pk_mov_b32 v[2:3], v[10:11], v[10:11] op_sel:[0,1]
                                        ; implicit-def: $vgpr10_vgpr11
; %bb.12:                               ;   in Loop: Header=BB132_9 Depth=1
	s_andn2_saveexec_b64 s[2:3], s[2:3]
; %bb.13:                               ;   in Loop: Header=BB132_9 Depth=1
	v_mov_b32_e32 v0, v2
	v_mov_b32_e32 v1, v3
	;; [unrolled: 1-line block ×4, first 2 shown]
; %bb.14:                               ;   in Loop: Header=BB132_9 Depth=1
	s_or_b64 exec, exec, s[2:3]
.LBB132_15:                             ;   in Loop: Header=BB132_9 Depth=1
	s_andn2_saveexec_b64 s[0:1], s[0:1]
	s_cbranch_execz .LBB132_19
; %bb.16:                               ;   in Loop: Header=BB132_9 Depth=1
	v_cmp_eq_u32_e32 vcc, 1, v18
	s_and_saveexec_b64 s[2:3], vcc
; %bb.17:                               ;   in Loop: Header=BB132_9 Depth=1
	v_mov_b32_e32 v0, v1
	v_mov_b32_e32 v1, v2
	;; [unrolled: 1-line block ×4, first 2 shown]
; %bb.18:                               ;   in Loop: Header=BB132_9 Depth=1
	s_or_b64 exec, exec, s[2:3]
.LBB132_19:                             ;   in Loop: Header=BB132_9 Depth=1
	s_or_b64 exec, exec, s[0:1]
	v_cndmask_b32_e64 v7, 0, 1, s[40:41]
	v_cmp_gt_i64_e32 vcc, s[24:25], v[14:15]
	v_cmp_ne_u32_e64 s[0:1], 1, v7
	s_and_saveexec_b64 s[2:3], vcc
	s_cbranch_execz .LBB132_35
; %bb.20:                               ;   in Loop: Header=BB132_9 Depth=1
	s_and_b64 vcc, exec, s[0:1]
	s_cbranch_vccnz .LBB132_26
; %bb.21:                               ;   in Loop: Header=BB132_9 Depth=1
	s_andn2_b64 vcc, exec, s[42:43]
	s_cbranch_vccnz .LBB132_27
; %bb.22:                               ;   in Loop: Header=BB132_9 Depth=1
	s_mov_b32 s6, 0
	s_andn2_b64 vcc, exec, s[30:31]
	v_mov_b32_e32 v8, 0
	s_cbranch_vccnz .LBB132_28
; %bb.23:                               ;   in Loop: Header=BB132_9 Depth=1
	s_mov_b32 s66, 0
	v_mov_b32_e32 v8, 0
	s_mov_b64 s[54:55], s[34:35]
	s_mov_b64 s[56:57], s[44:45]
	v_mov_b32_e32 v7, v14
.LBB132_24:                             ;   Parent Loop BB132_9 Depth=1
                                        ; =>  This Inner Loop Header: Depth=2
	s_load_dwordx8 s[16:23], s[54:55], 0x4
	s_load_dwordx4 s[4:7], s[54:55], 0x24
	s_load_dwordx4 s[36:39], s[56:57], 0x0
	s_add_u32 s54, s54, 48
	s_addc_u32 s55, s55, 0
	s_waitcnt lgkmcnt(0)
	v_mul_hi_u32 v9, s17, v7
	v_add_u32_e32 v9, v7, v9
	v_lshrrev_b32_e32 v9, s18, v9
	v_mul_lo_u32 v10, v9, s16
	v_mul_hi_u32 v11, s20, v9
	v_sub_u32_e32 v7, v7, v10
	v_add_u32_e32 v10, v9, v11
	v_lshrrev_b32_e32 v10, s21, v10
	v_mul_lo_u32 v11, v10, s19
	v_mul_hi_u32 v17, s23, v10
	v_sub_u32_e32 v9, v9, v11
	v_add_u32_e32 v11, v10, v17
	v_mul_lo_u32 v7, v7, s36
	v_mul_lo_u32 v9, v9, s37
	v_lshrrev_b32_e32 v11, s4, v11
	v_add3_u32 v8, v7, v8, v9
	v_mul_lo_u32 v7, v11, s22
	v_mul_hi_u32 v9, s6, v11
	v_sub_u32_e32 v7, v10, v7
	v_add_u32_e32 v9, v11, v9
	v_mul_lo_u32 v10, v7, s38
	v_lshrrev_b32_e32 v7, s7, v9
	s_add_i32 s66, s66, 4
	v_mul_lo_u32 v9, v7, s5
	s_add_u32 s56, s56, 16
	v_sub_u32_e32 v9, v11, v9
	s_addc_u32 s57, s57, 0
	v_mul_lo_u32 v9, v9, s39
	s_cmp_lg_u32 s65, s66
	v_add3_u32 v8, v10, v8, v9
	s_cbranch_scc1 .LBB132_24
; %bb.25:                               ;   in Loop: Header=BB132_9 Depth=1
	s_mov_b32 s6, s65
	s_andn2_b64 vcc, exec, s[52:53]
	s_cbranch_vccz .LBB132_29
	s_branch .LBB132_31
.LBB132_26:                             ;   in Loop: Header=BB132_9 Depth=1
                                        ; implicit-def: $vgpr8
	s_branch .LBB132_32
.LBB132_27:                             ;   in Loop: Header=BB132_9 Depth=1
	v_mov_b32_e32 v8, 0
	s_branch .LBB132_31
.LBB132_28:                             ;   in Loop: Header=BB132_9 Depth=1
	v_mov_b32_e32 v7, v14
	s_andn2_b64 vcc, exec, s[52:53]
	s_cbranch_vccnz .LBB132_31
.LBB132_29:                             ;   in Loop: Header=BB132_9 Depth=1
	s_lshl_b32 s4, s6, 2
	s_add_u32 s4, s44, s4
	s_addc_u32 s5, s45, 0
	s_mul_i32 s6, s6, 12
	s_add_u32 s6, s34, s6
	s_addc_u32 s7, s35, 0
	s_mov_b32 s16, s64
.LBB132_30:                             ;   Parent Loop BB132_9 Depth=1
                                        ; =>  This Inner Loop Header: Depth=2
	s_load_dwordx2 s[18:19], s[6:7], 0x4
	s_load_dword s17, s[6:7], 0xc
	s_load_dword s20, s[4:5], 0x0
	s_add_u32 s6, s6, 12
	s_addc_u32 s7, s7, 0
	s_waitcnt lgkmcnt(0)
	v_mul_hi_u32 v9, s19, v7
	v_add_u32_e32 v9, v7, v9
	v_lshrrev_b32_e32 v9, s17, v9
	s_add_u32 s4, s4, 4
	v_mul_lo_u32 v10, v9, s18
	s_addc_u32 s5, s5, 0
	s_add_i32 s16, s16, -1
	v_sub_u32_e32 v10, v7, v10
	s_cmp_lg_u32 s16, 0
	v_mov_b32_e32 v7, v9
	v_mad_u64_u32 v[8:9], s[18:19], v10, s20, v[8:9]
	s_cbranch_scc1 .LBB132_30
.LBB132_31:                             ;   in Loop: Header=BB132_9 Depth=1
	s_cbranch_execnz .LBB132_34
.LBB132_32:                             ;   in Loop: Header=BB132_9 Depth=1
	v_mul_hi_u32 v7, v14, s10
	v_add_u32_e32 v7, v7, v14
	v_lshrrev_b32_e32 v7, s11, v7
	v_mul_lo_u32 v8, v7, s9
	v_sub_u32_e32 v8, v14, v8
	s_andn2_b64 vcc, exec, s[48:49]
	v_mul_lo_u32 v8, v8, s46
	s_cbranch_vccnz .LBB132_34
; %bb.33:                               ;   in Loop: Header=BB132_9 Depth=1
	v_mul_hi_u32 v9, s8, v7
	v_add_u32_e32 v9, v7, v9
	v_lshrrev_b32_e32 v9, s14, v9
	v_mul_lo_u32 v9, v9, s12
	v_sub_u32_e32 v7, v7, v9
	v_mad_u64_u32 v[8:9], s[4:5], v7, s47, v[8:9]
.LBB132_34:                             ;   in Loop: Header=BB132_9 Depth=1
	v_cvt_f32_u32_e32 v0, v0
	v_mov_b32_e32 v7, 0x2f800000
	v_fmac_f32_e32 v7, 0x2f800000, v0
	v_cmp_lt_f32_e32 vcc, v7, v39
	v_cndmask_b32_e64 v0, 0, 1, vcc
	global_store_dword v8, v0, s[28:29]
.LBB132_35:                             ;   in Loop: Header=BB132_9 Depth=1
	s_or_b64 exec, exec, s[2:3]
	v_mov_b32_e32 v0, s59
	v_add_co_u32_e32 v8, vcc, s33, v14
	v_addc_co_u32_e32 v9, vcc, v15, v0, vcc
	v_cmp_gt_i64_e32 vcc, s[24:25], v[8:9]
	s_and_saveexec_b64 s[2:3], vcc
	s_cbranch_execz .LBB132_51
; %bb.36:                               ;   in Loop: Header=BB132_9 Depth=1
	s_and_b64 vcc, exec, s[0:1]
	s_cbranch_vccnz .LBB132_42
; %bb.37:                               ;   in Loop: Header=BB132_9 Depth=1
	s_andn2_b64 vcc, exec, s[42:43]
	s_cbranch_vccnz .LBB132_43
; %bb.38:                               ;   in Loop: Header=BB132_9 Depth=1
	s_mov_b32 s6, 0
	s_andn2_b64 vcc, exec, s[30:31]
	v_mov_b32_e32 v10, 0
	s_cbranch_vccnz .LBB132_44
; %bb.39:                               ;   in Loop: Header=BB132_9 Depth=1
	s_mov_b32 s66, 0
	v_mov_b32_e32 v10, 0
	s_mov_b64 s[54:55], s[34:35]
	s_mov_b64 s[56:57], s[44:45]
	v_mov_b32_e32 v0, v8
.LBB132_40:                             ;   Parent Loop BB132_9 Depth=1
                                        ; =>  This Inner Loop Header: Depth=2
	s_load_dwordx8 s[16:23], s[54:55], 0x4
	s_load_dwordx4 s[4:7], s[54:55], 0x24
	s_load_dwordx4 s[36:39], s[56:57], 0x0
	s_add_u32 s54, s54, 48
	s_addc_u32 s55, s55, 0
	s_waitcnt lgkmcnt(0)
	v_mul_hi_u32 v7, s17, v0
	v_add_u32_e32 v7, v0, v7
	v_lshrrev_b32_e32 v7, s18, v7
	v_mul_lo_u32 v9, v7, s16
	v_mul_hi_u32 v11, s20, v7
	v_sub_u32_e32 v0, v0, v9
	v_add_u32_e32 v9, v7, v11
	v_lshrrev_b32_e32 v9, s21, v9
	v_mul_lo_u32 v11, v9, s19
	v_mul_hi_u32 v17, s23, v9
	v_sub_u32_e32 v7, v7, v11
	v_add_u32_e32 v11, v9, v17
	v_mul_lo_u32 v0, v0, s36
	v_mul_lo_u32 v7, v7, s37
	v_lshrrev_b32_e32 v11, s4, v11
	v_add3_u32 v7, v0, v10, v7
	v_mul_lo_u32 v0, v11, s22
	v_mul_hi_u32 v10, s6, v11
	v_sub_u32_e32 v0, v9, v0
	v_add_u32_e32 v9, v11, v10
	v_mul_lo_u32 v10, v0, s38
	v_lshrrev_b32_e32 v0, s7, v9
	s_add_i32 s66, s66, 4
	v_mul_lo_u32 v9, v0, s5
	s_add_u32 s56, s56, 16
	v_sub_u32_e32 v9, v11, v9
	s_addc_u32 s57, s57, 0
	v_mul_lo_u32 v9, v9, s39
	s_cmp_eq_u32 s65, s66
	v_add3_u32 v10, v10, v7, v9
	s_cbranch_scc0 .LBB132_40
; %bb.41:                               ;   in Loop: Header=BB132_9 Depth=1
	s_mov_b32 s6, s65
	s_andn2_b64 vcc, exec, s[52:53]
	s_cbranch_vccz .LBB132_45
	s_branch .LBB132_47
.LBB132_42:                             ;   in Loop: Header=BB132_9 Depth=1
                                        ; implicit-def: $vgpr10
	s_branch .LBB132_48
.LBB132_43:                             ;   in Loop: Header=BB132_9 Depth=1
	v_mov_b32_e32 v10, 0
	s_branch .LBB132_47
.LBB132_44:                             ;   in Loop: Header=BB132_9 Depth=1
	v_mov_b32_e32 v0, v8
	s_andn2_b64 vcc, exec, s[52:53]
	s_cbranch_vccnz .LBB132_47
.LBB132_45:                             ;   in Loop: Header=BB132_9 Depth=1
	s_lshl_b32 s4, s6, 2
	s_add_u32 s4, s44, s4
	s_addc_u32 s5, s45, 0
	s_mul_i32 s6, s6, 12
	s_add_u32 s6, s34, s6
	s_addc_u32 s7, s35, 0
	s_mov_b32 s16, s64
.LBB132_46:                             ;   Parent Loop BB132_9 Depth=1
                                        ; =>  This Inner Loop Header: Depth=2
	s_load_dwordx2 s[18:19], s[6:7], 0x4
	s_load_dword s17, s[6:7], 0xc
	s_load_dword s20, s[4:5], 0x0
	s_add_u32 s6, s6, 12
	s_addc_u32 s7, s7, 0
	s_waitcnt lgkmcnt(0)
	v_mul_hi_u32 v7, s19, v0
	v_add_u32_e32 v7, v0, v7
	v_lshrrev_b32_e32 v7, s17, v7
	s_add_u32 s4, s4, 4
	v_mul_lo_u32 v9, v7, s18
	s_addc_u32 s5, s5, 0
	s_add_i32 s16, s16, -1
	v_sub_u32_e32 v9, v0, v9
	s_cmp_lg_u32 s16, 0
	v_mov_b32_e32 v0, v7
	v_mad_u64_u32 v[10:11], s[18:19], v9, s20, v[10:11]
	s_cbranch_scc1 .LBB132_46
.LBB132_47:                             ;   in Loop: Header=BB132_9 Depth=1
	s_cbranch_execnz .LBB132_50
.LBB132_48:                             ;   in Loop: Header=BB132_9 Depth=1
	v_mul_hi_u32 v0, v8, s10
	v_add_u32_e32 v0, v0, v8
	v_lshrrev_b32_e32 v0, s11, v0
	v_mul_lo_u32 v7, v0, s9
	v_sub_u32_e32 v7, v8, v7
	s_andn2_b64 vcc, exec, s[48:49]
	v_mul_lo_u32 v10, v7, s46
	s_cbranch_vccnz .LBB132_50
; %bb.49:                               ;   in Loop: Header=BB132_9 Depth=1
	v_mul_hi_u32 v7, s8, v0
	v_add_u32_e32 v7, v0, v7
	v_lshrrev_b32_e32 v7, s14, v7
	v_mul_lo_u32 v7, v7, s12
	v_sub_u32_e32 v0, v0, v7
	v_mad_u64_u32 v[10:11], s[4:5], v0, s47, v[10:11]
.LBB132_50:                             ;   in Loop: Header=BB132_9 Depth=1
	v_cvt_f32_u32_e32 v0, v1
	v_mov_b32_e32 v1, 0x2f800000
	v_fmac_f32_e32 v1, 0x2f800000, v0
	v_cmp_lt_f32_e32 vcc, v1, v39
	v_cndmask_b32_e64 v0, 0, 1, vcc
	global_store_dword v10, v0, s[28:29]
.LBB132_51:                             ;   in Loop: Header=BB132_9 Depth=1
	s_or_b64 exec, exec, s[2:3]
	v_mov_b32_e32 v1, s15
	v_add_co_u32_e32 v0, vcc, s13, v14
	v_addc_co_u32_e32 v1, vcc, v15, v1, vcc
	v_cmp_gt_i64_e32 vcc, s[24:25], v[0:1]
	s_and_saveexec_b64 s[2:3], vcc
	s_cbranch_execz .LBB132_67
; %bb.52:                               ;   in Loop: Header=BB132_9 Depth=1
	s_and_b64 vcc, exec, s[0:1]
	s_cbranch_vccnz .LBB132_58
; %bb.53:                               ;   in Loop: Header=BB132_9 Depth=1
	s_andn2_b64 vcc, exec, s[42:43]
	s_cbranch_vccnz .LBB132_59
; %bb.54:                               ;   in Loop: Header=BB132_9 Depth=1
	s_mov_b32 s6, 0
	s_andn2_b64 vcc, exec, s[30:31]
	v_mov_b32_e32 v8, 0
	s_cbranch_vccnz .LBB132_60
; %bb.55:                               ;   in Loop: Header=BB132_9 Depth=1
	s_mov_b32 s66, 0
	v_mov_b32_e32 v8, 0
	s_mov_b64 s[54:55], s[34:35]
	s_mov_b64 s[56:57], s[44:45]
	v_mov_b32_e32 v1, v0
.LBB132_56:                             ;   Parent Loop BB132_9 Depth=1
                                        ; =>  This Inner Loop Header: Depth=2
	s_load_dwordx8 s[16:23], s[54:55], 0x4
	s_load_dwordx4 s[4:7], s[54:55], 0x24
	s_load_dwordx4 s[36:39], s[56:57], 0x0
	s_add_u32 s54, s54, 48
	s_addc_u32 s55, s55, 0
	s_waitcnt lgkmcnt(0)
	v_mul_hi_u32 v7, s17, v1
	v_add_u32_e32 v7, v1, v7
	v_lshrrev_b32_e32 v7, s18, v7
	v_mul_lo_u32 v9, v7, s16
	v_mul_hi_u32 v10, s20, v7
	v_sub_u32_e32 v1, v1, v9
	v_add_u32_e32 v9, v7, v10
	v_lshrrev_b32_e32 v9, s21, v9
	v_mul_lo_u32 v10, v9, s19
	v_mul_hi_u32 v11, s23, v9
	v_sub_u32_e32 v7, v7, v10
	v_add_u32_e32 v10, v9, v11
	v_mul_lo_u32 v1, v1, s36
	v_mul_lo_u32 v7, v7, s37
	v_lshrrev_b32_e32 v10, s4, v10
	v_add3_u32 v7, v1, v8, v7
	v_mul_lo_u32 v1, v10, s22
	v_mul_hi_u32 v8, s6, v10
	v_sub_u32_e32 v1, v9, v1
	v_add_u32_e32 v8, v10, v8
	v_mul_lo_u32 v9, v1, s38
	v_lshrrev_b32_e32 v1, s7, v8
	s_add_i32 s66, s66, 4
	v_mul_lo_u32 v8, v1, s5
	s_add_u32 s56, s56, 16
	v_sub_u32_e32 v8, v10, v8
	s_addc_u32 s57, s57, 0
	v_mul_lo_u32 v8, v8, s39
	s_cmp_eq_u32 s65, s66
	v_add3_u32 v8, v9, v7, v8
	s_cbranch_scc0 .LBB132_56
; %bb.57:                               ;   in Loop: Header=BB132_9 Depth=1
	s_mov_b32 s6, s65
	s_andn2_b64 vcc, exec, s[52:53]
	s_cbranch_vccz .LBB132_61
	s_branch .LBB132_63
.LBB132_58:                             ;   in Loop: Header=BB132_9 Depth=1
                                        ; implicit-def: $vgpr8
	s_branch .LBB132_64
.LBB132_59:                             ;   in Loop: Header=BB132_9 Depth=1
	v_mov_b32_e32 v8, 0
	s_branch .LBB132_63
.LBB132_60:                             ;   in Loop: Header=BB132_9 Depth=1
	v_mov_b32_e32 v1, v0
	s_andn2_b64 vcc, exec, s[52:53]
	s_cbranch_vccnz .LBB132_63
.LBB132_61:                             ;   in Loop: Header=BB132_9 Depth=1
	s_lshl_b32 s4, s6, 2
	s_add_u32 s4, s44, s4
	s_addc_u32 s5, s45, 0
	s_mul_i32 s6, s6, 12
	s_add_u32 s6, s34, s6
	s_addc_u32 s7, s35, 0
	s_mov_b32 s16, s64
.LBB132_62:                             ;   Parent Loop BB132_9 Depth=1
                                        ; =>  This Inner Loop Header: Depth=2
	s_load_dwordx2 s[18:19], s[6:7], 0x4
	s_load_dword s17, s[6:7], 0xc
	s_load_dword s20, s[4:5], 0x0
	s_add_u32 s6, s6, 12
	s_addc_u32 s7, s7, 0
	s_waitcnt lgkmcnt(0)
	v_mul_hi_u32 v7, s19, v1
	v_add_u32_e32 v7, v1, v7
	v_lshrrev_b32_e32 v7, s17, v7
	s_add_u32 s4, s4, 4
	v_mul_lo_u32 v9, v7, s18
	s_addc_u32 s5, s5, 0
	s_add_i32 s16, s16, -1
	v_sub_u32_e32 v9, v1, v9
	s_cmp_lg_u32 s16, 0
	v_mov_b32_e32 v1, v7
	v_mad_u64_u32 v[8:9], s[18:19], v9, s20, v[8:9]
	s_cbranch_scc1 .LBB132_62
.LBB132_63:                             ;   in Loop: Header=BB132_9 Depth=1
	s_cbranch_execnz .LBB132_66
.LBB132_64:                             ;   in Loop: Header=BB132_9 Depth=1
	v_mul_hi_u32 v1, v0, s10
	v_add_u32_e32 v1, v1, v0
	v_lshrrev_b32_e32 v1, s11, v1
	v_mul_lo_u32 v7, v1, s9
	v_sub_u32_e32 v0, v0, v7
	s_andn2_b64 vcc, exec, s[48:49]
	v_mul_lo_u32 v8, v0, s46
	s_cbranch_vccnz .LBB132_66
; %bb.65:                               ;   in Loop: Header=BB132_9 Depth=1
	v_mul_hi_u32 v0, s8, v1
	v_add_u32_e32 v0, v1, v0
	v_lshrrev_b32_e32 v0, s14, v0
	v_mul_lo_u32 v0, v0, s12
	v_sub_u32_e32 v0, v1, v0
	v_mad_u64_u32 v[8:9], s[4:5], v0, s47, v[8:9]
.LBB132_66:                             ;   in Loop: Header=BB132_9 Depth=1
	v_cvt_f32_u32_e32 v0, v2
	v_mov_b32_e32 v1, 0x2f800000
	v_fmac_f32_e32 v1, 0x2f800000, v0
	v_cmp_lt_f32_e32 vcc, v1, v39
	v_cndmask_b32_e64 v0, 0, 1, vcc
	global_store_dword v8, v0, s[28:29]
.LBB132_67:                             ;   in Loop: Header=BB132_9 Depth=1
	s_or_b64 exec, exec, s[2:3]
	v_mov_b32_e32 v1, s63
	v_add_co_u32_e32 v0, vcc, s62, v14
	v_addc_co_u32_e32 v1, vcc, v15, v1, vcc
	v_cmp_gt_i64_e32 vcc, s[24:25], v[0:1]
	s_and_saveexec_b64 s[36:37], vcc
	s_cbranch_execz .LBB132_8
; %bb.68:                               ;   in Loop: Header=BB132_9 Depth=1
	s_and_b64 vcc, exec, s[0:1]
	s_cbranch_vccnz .LBB132_74
; %bb.69:                               ;   in Loop: Header=BB132_9 Depth=1
	s_andn2_b64 vcc, exec, s[42:43]
	s_cbranch_vccnz .LBB132_75
; %bb.70:                               ;   in Loop: Header=BB132_9 Depth=1
	s_mov_b32 s2, 0
	s_andn2_b64 vcc, exec, s[30:31]
	v_mov_b32_e32 v8, 0
	s_cbranch_vccnz .LBB132_76
; %bb.71:                               ;   in Loop: Header=BB132_9 Depth=1
	s_mov_b32 s56, 0
	v_mov_b32_e32 v8, 0
	s_mov_b64 s[38:39], s[34:35]
	s_mov_b64 s[54:55], s[44:45]
	v_mov_b32_e32 v1, v0
.LBB132_72:                             ;   Parent Loop BB132_9 Depth=1
                                        ; =>  This Inner Loop Header: Depth=2
	s_load_dwordx8 s[0:7], s[38:39], 0x4
	s_load_dwordx4 s[16:19], s[38:39], 0x24
	s_load_dwordx4 s[20:23], s[54:55], 0x0
	s_add_u32 s38, s38, 48
	s_addc_u32 s39, s39, 0
	s_waitcnt lgkmcnt(0)
	v_mul_hi_u32 v2, s1, v1
	v_add_u32_e32 v2, v1, v2
	v_lshrrev_b32_e32 v2, s2, v2
	v_mul_lo_u32 v7, v2, s0
	v_mul_hi_u32 v9, s4, v2
	v_sub_u32_e32 v1, v1, v7
	v_add_u32_e32 v7, v2, v9
	v_lshrrev_b32_e32 v7, s5, v7
	v_mul_lo_u32 v9, v7, s3
	v_mul_hi_u32 v10, s7, v7
	v_sub_u32_e32 v2, v2, v9
	v_add_u32_e32 v9, v7, v10
	v_mul_lo_u32 v1, v1, s20
	v_mul_lo_u32 v2, v2, s21
	v_lshrrev_b32_e32 v9, s16, v9
	v_add3_u32 v2, v1, v8, v2
	v_mul_lo_u32 v1, v9, s6
	v_mul_hi_u32 v8, s18, v9
	v_sub_u32_e32 v1, v7, v1
	v_add_u32_e32 v7, v9, v8
	v_mul_lo_u32 v8, v1, s22
	v_lshrrev_b32_e32 v1, s19, v7
	s_add_i32 s56, s56, 4
	v_mul_lo_u32 v7, v1, s17
	s_add_u32 s54, s54, 16
	v_sub_u32_e32 v7, v9, v7
	s_addc_u32 s55, s55, 0
	v_mul_lo_u32 v7, v7, s23
	s_cmp_eq_u32 s65, s56
	v_add3_u32 v8, v8, v2, v7
	s_cbranch_scc0 .LBB132_72
; %bb.73:                               ;   in Loop: Header=BB132_9 Depth=1
	s_mov_b32 s2, s65
	s_andn2_b64 vcc, exec, s[52:53]
	s_cbranch_vccz .LBB132_77
	s_branch .LBB132_79
.LBB132_74:                             ;   in Loop: Header=BB132_9 Depth=1
                                        ; implicit-def: $vgpr8
	s_branch .LBB132_80
.LBB132_75:                             ;   in Loop: Header=BB132_9 Depth=1
	v_mov_b32_e32 v8, 0
	s_branch .LBB132_79
.LBB132_76:                             ;   in Loop: Header=BB132_9 Depth=1
	v_mov_b32_e32 v1, v0
	s_andn2_b64 vcc, exec, s[52:53]
	s_cbranch_vccnz .LBB132_79
.LBB132_77:                             ;   in Loop: Header=BB132_9 Depth=1
	s_lshl_b32 s0, s2, 2
	s_add_u32 s0, s44, s0
	s_addc_u32 s1, s45, 0
	s_mul_i32 s2, s2, 12
	s_add_u32 s2, s34, s2
	s_addc_u32 s3, s35, 0
	s_mov_b32 s4, s64
.LBB132_78:                             ;   Parent Loop BB132_9 Depth=1
                                        ; =>  This Inner Loop Header: Depth=2
	s_load_dwordx2 s[6:7], s[2:3], 0x4
	s_load_dword s5, s[2:3], 0xc
	s_load_dword s16, s[0:1], 0x0
	s_add_u32 s2, s2, 12
	s_addc_u32 s3, s3, 0
	s_waitcnt lgkmcnt(0)
	v_mul_hi_u32 v2, s7, v1
	v_add_u32_e32 v2, v1, v2
	v_lshrrev_b32_e32 v2, s5, v2
	s_add_u32 s0, s0, 4
	v_mul_lo_u32 v7, v2, s6
	s_addc_u32 s1, s1, 0
	s_add_i32 s4, s4, -1
	v_sub_u32_e32 v7, v1, v7
	s_cmp_lg_u32 s4, 0
	v_mov_b32_e32 v1, v2
	v_mad_u64_u32 v[8:9], s[6:7], v7, s16, v[8:9]
	s_cbranch_scc1 .LBB132_78
.LBB132_79:                             ;   in Loop: Header=BB132_9 Depth=1
	s_cbranch_execnz .LBB132_7
.LBB132_80:                             ;   in Loop: Header=BB132_9 Depth=1
	v_mul_hi_u32 v1, v0, s10
	v_add_u32_e32 v1, v1, v0
	v_lshrrev_b32_e32 v1, s11, v1
	v_mul_lo_u32 v2, v1, s9
	v_sub_u32_e32 v0, v0, v2
	s_andn2_b64 vcc, exec, s[48:49]
	v_mul_lo_u32 v8, v0, s46
	s_cbranch_vccnz .LBB132_7
; %bb.81:                               ;   in Loop: Header=BB132_9 Depth=1
	v_mul_hi_u32 v0, s8, v1
	v_add_u32_e32 v0, v1, v0
	v_lshrrev_b32_e32 v0, s14, v0
	v_mul_lo_u32 v0, v0, s12
	v_sub_u32_e32 v0, v1, v0
	v_mad_u64_u32 v[8:9], s[0:1], v0, s47, v[8:9]
	s_branch .LBB132_7
.LBB132_82:
	s_endpgm
.LBB132_83:
                                        ; implicit-def: $sgpr2_sgpr3
	s_andn2_b64 vcc, exec, s[0:1]
	s_cbranch_vccz .LBB132_4
	s_branch .LBB132_5
	.section	.rodata,"a",@progbits
	.p2align	6, 0x0
	.amdhsa_kernel _ZN2at6native12_GLOBAL__N_143distribution_elementwise_grid_stride_kernelIfLi4EZNS0_9templates4cuda21uniform_and_transformIifPNS_17CUDAGeneratorImplEZZZNS4_16bernoulli_kernelIS7_EEvRNS_18TensorIteratorBaseEdT_ENKUlvE_clEvENKUlvE1_clEvEUlfE_EEvSA_T1_T2_EUlP25hiprandStatePhilox4_32_10E0_ZNS1_27distribution_nullary_kernelIif15HIP_vector_typeIfLj4EES7_SJ_SE_EEvSA_SG_RKT3_T4_EUlifE0_EEvlNS_15PhiloxCudaStateESF_SG_
		.amdhsa_group_segment_fixed_size 0
		.amdhsa_private_segment_fixed_size 0
		.amdhsa_kernarg_size 584
		.amdhsa_user_sgpr_count 6
		.amdhsa_user_sgpr_private_segment_buffer 1
		.amdhsa_user_sgpr_dispatch_ptr 0
		.amdhsa_user_sgpr_queue_ptr 0
		.amdhsa_user_sgpr_kernarg_segment_ptr 1
		.amdhsa_user_sgpr_dispatch_id 0
		.amdhsa_user_sgpr_flat_scratch_init 0
		.amdhsa_user_sgpr_kernarg_preload_length 0
		.amdhsa_user_sgpr_kernarg_preload_offset 0
		.amdhsa_user_sgpr_private_segment_size 0
		.amdhsa_uses_dynamic_stack 0
		.amdhsa_system_sgpr_private_segment_wavefront_offset 0
		.amdhsa_system_sgpr_workgroup_id_x 1
		.amdhsa_system_sgpr_workgroup_id_y 0
		.amdhsa_system_sgpr_workgroup_id_z 0
		.amdhsa_system_sgpr_workgroup_info 0
		.amdhsa_system_vgpr_workitem_id 0
		.amdhsa_next_free_vgpr 42
		.amdhsa_next_free_sgpr 67
		.amdhsa_accum_offset 44
		.amdhsa_reserve_vcc 1
		.amdhsa_reserve_flat_scratch 0
		.amdhsa_float_round_mode_32 0
		.amdhsa_float_round_mode_16_64 0
		.amdhsa_float_denorm_mode_32 3
		.amdhsa_float_denorm_mode_16_64 3
		.amdhsa_dx10_clamp 1
		.amdhsa_ieee_mode 1
		.amdhsa_fp16_overflow 0
		.amdhsa_tg_split 0
		.amdhsa_exception_fp_ieee_invalid_op 0
		.amdhsa_exception_fp_denorm_src 0
		.amdhsa_exception_fp_ieee_div_zero 0
		.amdhsa_exception_fp_ieee_overflow 0
		.amdhsa_exception_fp_ieee_underflow 0
		.amdhsa_exception_fp_ieee_inexact 0
		.amdhsa_exception_int_div_zero 0
	.end_amdhsa_kernel
	.section	.text._ZN2at6native12_GLOBAL__N_143distribution_elementwise_grid_stride_kernelIfLi4EZNS0_9templates4cuda21uniform_and_transformIifPNS_17CUDAGeneratorImplEZZZNS4_16bernoulli_kernelIS7_EEvRNS_18TensorIteratorBaseEdT_ENKUlvE_clEvENKUlvE1_clEvEUlfE_EEvSA_T1_T2_EUlP25hiprandStatePhilox4_32_10E0_ZNS1_27distribution_nullary_kernelIif15HIP_vector_typeIfLj4EES7_SJ_SE_EEvSA_SG_RKT3_T4_EUlifE0_EEvlNS_15PhiloxCudaStateESF_SG_,"axG",@progbits,_ZN2at6native12_GLOBAL__N_143distribution_elementwise_grid_stride_kernelIfLi4EZNS0_9templates4cuda21uniform_and_transformIifPNS_17CUDAGeneratorImplEZZZNS4_16bernoulli_kernelIS7_EEvRNS_18TensorIteratorBaseEdT_ENKUlvE_clEvENKUlvE1_clEvEUlfE_EEvSA_T1_T2_EUlP25hiprandStatePhilox4_32_10E0_ZNS1_27distribution_nullary_kernelIif15HIP_vector_typeIfLj4EES7_SJ_SE_EEvSA_SG_RKT3_T4_EUlifE0_EEvlNS_15PhiloxCudaStateESF_SG_,comdat
.Lfunc_end132:
	.size	_ZN2at6native12_GLOBAL__N_143distribution_elementwise_grid_stride_kernelIfLi4EZNS0_9templates4cuda21uniform_and_transformIifPNS_17CUDAGeneratorImplEZZZNS4_16bernoulli_kernelIS7_EEvRNS_18TensorIteratorBaseEdT_ENKUlvE_clEvENKUlvE1_clEvEUlfE_EEvSA_T1_T2_EUlP25hiprandStatePhilox4_32_10E0_ZNS1_27distribution_nullary_kernelIif15HIP_vector_typeIfLj4EES7_SJ_SE_EEvSA_SG_RKT3_T4_EUlifE0_EEvlNS_15PhiloxCudaStateESF_SG_, .Lfunc_end132-_ZN2at6native12_GLOBAL__N_143distribution_elementwise_grid_stride_kernelIfLi4EZNS0_9templates4cuda21uniform_and_transformIifPNS_17CUDAGeneratorImplEZZZNS4_16bernoulli_kernelIS7_EEvRNS_18TensorIteratorBaseEdT_ENKUlvE_clEvENKUlvE1_clEvEUlfE_EEvSA_T1_T2_EUlP25hiprandStatePhilox4_32_10E0_ZNS1_27distribution_nullary_kernelIif15HIP_vector_typeIfLj4EES7_SJ_SE_EEvSA_SG_RKT3_T4_EUlifE0_EEvlNS_15PhiloxCudaStateESF_SG_
                                        ; -- End function
	.section	.AMDGPU.csdata,"",@progbits
; Kernel info:
; codeLenInByte = 4432
; NumSgprs: 71
; NumVgprs: 42
; NumAgprs: 0
; TotalNumVgprs: 42
; ScratchSize: 0
; MemoryBound: 0
; FloatMode: 240
; IeeeMode: 1
; LDSByteSize: 0 bytes/workgroup (compile time only)
; SGPRBlocks: 8
; VGPRBlocks: 5
; NumSGPRsForWavesPerEU: 71
; NumVGPRsForWavesPerEU: 42
; AccumOffset: 44
; Occupancy: 8
; WaveLimiterHint : 1
; COMPUTE_PGM_RSRC2:SCRATCH_EN: 0
; COMPUTE_PGM_RSRC2:USER_SGPR: 6
; COMPUTE_PGM_RSRC2:TRAP_HANDLER: 0
; COMPUTE_PGM_RSRC2:TGID_X_EN: 1
; COMPUTE_PGM_RSRC2:TGID_Y_EN: 0
; COMPUTE_PGM_RSRC2:TGID_Z_EN: 0
; COMPUTE_PGM_RSRC2:TIDIG_COMP_CNT: 0
; COMPUTE_PGM_RSRC3_GFX90A:ACCUM_OFFSET: 10
; COMPUTE_PGM_RSRC3_GFX90A:TG_SPLIT: 0
	.section	.text._ZN2at6native12_GLOBAL__N_143distribution_elementwise_grid_stride_kernelIfLi4EZNS0_9templates4cuda21uniform_and_transformIlfPNS_17CUDAGeneratorImplEZZZNS4_16bernoulli_kernelIS7_EEvRNS_18TensorIteratorBaseEdT_ENKUlvE_clEvENKUlvE2_clEvEUlfE_EEvSA_T1_T2_EUlP25hiprandStatePhilox4_32_10E_ZNS1_27distribution_nullary_kernelIlf15HIP_vector_typeIdLj2EES7_SJ_SE_EEvSA_SG_RKT3_T4_EUlifE_EEvlNS_15PhiloxCudaStateESF_SG_,"axG",@progbits,_ZN2at6native12_GLOBAL__N_143distribution_elementwise_grid_stride_kernelIfLi4EZNS0_9templates4cuda21uniform_and_transformIlfPNS_17CUDAGeneratorImplEZZZNS4_16bernoulli_kernelIS7_EEvRNS_18TensorIteratorBaseEdT_ENKUlvE_clEvENKUlvE2_clEvEUlfE_EEvSA_T1_T2_EUlP25hiprandStatePhilox4_32_10E_ZNS1_27distribution_nullary_kernelIlf15HIP_vector_typeIdLj2EES7_SJ_SE_EEvSA_SG_RKT3_T4_EUlifE_EEvlNS_15PhiloxCudaStateESF_SG_,comdat
	.globl	_ZN2at6native12_GLOBAL__N_143distribution_elementwise_grid_stride_kernelIfLi4EZNS0_9templates4cuda21uniform_and_transformIlfPNS_17CUDAGeneratorImplEZZZNS4_16bernoulli_kernelIS7_EEvRNS_18TensorIteratorBaseEdT_ENKUlvE_clEvENKUlvE2_clEvEUlfE_EEvSA_T1_T2_EUlP25hiprandStatePhilox4_32_10E_ZNS1_27distribution_nullary_kernelIlf15HIP_vector_typeIdLj2EES7_SJ_SE_EEvSA_SG_RKT3_T4_EUlifE_EEvlNS_15PhiloxCudaStateESF_SG_ ; -- Begin function _ZN2at6native12_GLOBAL__N_143distribution_elementwise_grid_stride_kernelIfLi4EZNS0_9templates4cuda21uniform_and_transformIlfPNS_17CUDAGeneratorImplEZZZNS4_16bernoulli_kernelIS7_EEvRNS_18TensorIteratorBaseEdT_ENKUlvE_clEvENKUlvE2_clEvEUlfE_EEvSA_T1_T2_EUlP25hiprandStatePhilox4_32_10E_ZNS1_27distribution_nullary_kernelIlf15HIP_vector_typeIdLj2EES7_SJ_SE_EEvSA_SG_RKT3_T4_EUlifE_EEvlNS_15PhiloxCudaStateESF_SG_
	.p2align	8
	.type	_ZN2at6native12_GLOBAL__N_143distribution_elementwise_grid_stride_kernelIfLi4EZNS0_9templates4cuda21uniform_and_transformIlfPNS_17CUDAGeneratorImplEZZZNS4_16bernoulli_kernelIS7_EEvRNS_18TensorIteratorBaseEdT_ENKUlvE_clEvENKUlvE2_clEvEUlfE_EEvSA_T1_T2_EUlP25hiprandStatePhilox4_32_10E_ZNS1_27distribution_nullary_kernelIlf15HIP_vector_typeIdLj2EES7_SJ_SE_EEvSA_SG_RKT3_T4_EUlifE_EEvlNS_15PhiloxCudaStateESF_SG_,@function
_ZN2at6native12_GLOBAL__N_143distribution_elementwise_grid_stride_kernelIfLi4EZNS0_9templates4cuda21uniform_and_transformIlfPNS_17CUDAGeneratorImplEZZZNS4_16bernoulli_kernelIS7_EEvRNS_18TensorIteratorBaseEdT_ENKUlvE_clEvENKUlvE2_clEvEUlfE_EEvSA_T1_T2_EUlP25hiprandStatePhilox4_32_10E_ZNS1_27distribution_nullary_kernelIlf15HIP_vector_typeIdLj2EES7_SJ_SE_EEvSA_SG_RKT3_T4_EUlifE_EEvlNS_15PhiloxCudaStateESF_SG_: ; @_ZN2at6native12_GLOBAL__N_143distribution_elementwise_grid_stride_kernelIfLi4EZNS0_9templates4cuda21uniform_and_transformIlfPNS_17CUDAGeneratorImplEZZZNS4_16bernoulli_kernelIS7_EEvRNS_18TensorIteratorBaseEdT_ENKUlvE_clEvENKUlvE2_clEvEUlfE_EEvSA_T1_T2_EUlP25hiprandStatePhilox4_32_10E_ZNS1_27distribution_nullary_kernelIlf15HIP_vector_typeIdLj2EES7_SJ_SE_EEvSA_SG_RKT3_T4_EUlifE_EEvlNS_15PhiloxCudaStateESF_SG_
; %bb.0:
	s_load_dword s7, s[4:5], 0x20
	s_load_dwordx2 s[10:11], s[4:5], 0x10
	s_load_dwordx4 s[0:3], s[4:5], 0x0
	s_mov_b32 s8, 0
	s_waitcnt lgkmcnt(0)
	s_bitcmp0_b32 s7, 0
	v_pk_mov_b32 v[2:3], s[10:11], s[10:11] op_sel:[0,1]
	v_pk_mov_b32 v[14:15], s[2:3], s[2:3] op_sel:[0,1]
	s_cbranch_scc1 .LBB133_2
; %bb.1:
	v_pk_mov_b32 v[2:3], s[10:11], s[10:11] op_sel:[0,1]
	flat_load_dwordx2 v[2:3], v[2:3]
	v_pk_mov_b32 v[4:5], s[2:3], s[2:3] op_sel:[0,1]
	flat_load_dwordx2 v[14:15], v[4:5]
	s_load_dwordx2 s[2:3], s[4:5], 0x18
	s_waitcnt lgkmcnt(0)
	v_mov_b32_e32 v1, s3
	s_waitcnt vmcnt(0)
	v_add_co_u32_e32 v2, vcc, s2, v2
	v_addc_co_u32_e32 v3, vcc, v3, v1, vcc
.LBB133_2:
	s_load_dword s2, s[4:5], 0x54
	s_load_dword s17, s[4:5], 0x48
	s_waitcnt lgkmcnt(0)
	s_and_b32 s7, s2, 0xffff
	s_add_u32 s10, s0, -1
	s_mul_i32 s12, s17, s7
	s_addc_u32 s9, s1, -1
	s_lshl_b32 s13, s12, 2
	s_cmp_lg_u64 s[8:9], 0
	s_mov_b64 s[2:3], -1
	s_cbranch_scc0 .LBB133_23
; %bb.3:
	v_cvt_f32_u32_e32 v1, s13
	v_cvt_f32_ubyte0_e32 v4, 0
	s_sub_u32 s8, 0, s13
	s_subb_u32 s11, 0, 0
	v_madmk_f32 v1, v4, 0x4f800000, v1
	v_rcp_f32_e32 v1, v1
	v_mul_f32_e32 v1, 0x5f7ffffc, v1
	v_mul_f32_e32 v4, 0x2f800000, v1
	v_trunc_f32_e32 v4, v4
	v_madmk_f32 v1, v4, 0xcf800000, v1
	v_cvt_u32_f32_e32 v4, v4
	v_cvt_u32_f32_e32 v1, v1
	v_readfirstlane_b32 s14, v4
	v_readfirstlane_b32 s15, v1
	s_mul_i32 s16, s8, s14
	s_mul_hi_u32 s19, s8, s15
	s_mul_i32 s18, s11, s15
	s_add_i32 s16, s19, s16
	s_add_i32 s16, s16, s18
	s_mul_i32 s20, s8, s15
	s_mul_hi_u32 s18, s15, s16
	s_mul_i32 s19, s15, s16
	s_mul_hi_u32 s15, s15, s20
	s_add_u32 s15, s15, s19
	s_addc_u32 s18, 0, s18
	s_mul_hi_u32 s21, s14, s20
	s_mul_i32 s20, s14, s20
	s_add_u32 s15, s15, s20
	s_mul_hi_u32 s19, s14, s16
	s_addc_u32 s15, s18, s21
	s_addc_u32 s18, s19, 0
	s_mul_i32 s16, s14, s16
	s_add_u32 s15, s15, s16
	s_addc_u32 s16, 0, s18
	v_add_co_u32_e32 v1, vcc, s15, v1
	s_cmp_lg_u64 vcc, 0
	s_addc_u32 s14, s14, s16
	v_readfirstlane_b32 s16, v1
	s_mul_i32 s15, s8, s14
	s_mul_hi_u32 s18, s8, s16
	s_add_i32 s15, s18, s15
	s_mul_i32 s11, s11, s16
	s_add_i32 s15, s15, s11
	s_mul_i32 s8, s8, s16
	s_mul_hi_u32 s18, s14, s8
	s_mul_i32 s19, s14, s8
	s_mul_i32 s21, s16, s15
	s_mul_hi_u32 s8, s16, s8
	s_mul_hi_u32 s20, s16, s15
	s_add_u32 s8, s8, s21
	s_addc_u32 s16, 0, s20
	s_add_u32 s8, s8, s19
	s_mul_hi_u32 s11, s14, s15
	s_addc_u32 s8, s16, s18
	s_addc_u32 s11, s11, 0
	s_mul_i32 s15, s14, s15
	s_add_u32 s8, s8, s15
	s_addc_u32 s11, 0, s11
	v_add_co_u32_e32 v1, vcc, s8, v1
	s_cmp_lg_u64 vcc, 0
	s_addc_u32 s11, s14, s11
	s_ashr_i32 s14, s9, 31
	s_add_u32 s8, s10, s14
	s_mov_b32 s15, s14
	s_addc_u32 s9, s9, s14
	s_xor_b64 s[8:9], s[8:9], s[14:15]
	v_readfirstlane_b32 s19, v1
	s_mul_i32 s18, s8, s11
	s_mul_hi_u32 s20, s8, s19
	s_mul_hi_u32 s16, s8, s11
	s_add_u32 s18, s20, s18
	s_addc_u32 s16, 0, s16
	s_mul_hi_u32 s21, s9, s19
	s_mul_i32 s19, s9, s19
	s_add_u32 s18, s18, s19
	s_mul_hi_u32 s20, s9, s11
	s_addc_u32 s16, s16, s21
	s_addc_u32 s18, s20, 0
	s_mul_i32 s11, s9, s11
	s_add_u32 s11, s16, s11
	s_addc_u32 s16, 0, s18
	s_add_u32 s18, s11, 1
	s_addc_u32 s19, s16, 0
	s_add_u32 s20, s11, 2
	s_mul_i32 s22, s13, s16
	s_mul_hi_u32 s23, s13, s11
	s_addc_u32 s21, s16, 0
	s_add_i32 s23, s23, s22
	s_mul_i32 s22, s13, s11
	v_mov_b32_e32 v1, s22
	v_sub_co_u32_e32 v1, vcc, s8, v1
	s_cmp_lg_u64 vcc, 0
	s_subb_u32 s8, s9, s23
	v_subrev_co_u32_e32 v4, vcc, s13, v1
	s_cmp_lg_u64 vcc, 0
	s_subb_u32 s9, s8, 0
	v_readfirstlane_b32 s22, v4
	s_cmp_ge_u32 s22, s13
	s_cselect_b32 s22, -1, 0
	s_cmp_eq_u32 s9, 0
	s_cselect_b32 s9, s22, -1
	s_cmp_lg_u32 s9, 0
	s_cselect_b32 s9, s21, s19
	v_readfirstlane_b32 s19, v1
	s_cselect_b32 s18, s20, s18
	s_cmp_ge_u32 s19, s13
	s_cselect_b32 s19, -1, 0
	s_cmp_eq_u32 s8, 0
	s_cselect_b32 s8, s19, -1
	s_cmp_lg_u32 s8, 0
	s_cselect_b32 s9, s9, s16
	s_cselect_b32 s8, s18, s11
	s_xor_b64 s[8:9], s[8:9], s[14:15]
	s_sub_u32 s8, s8, s14
	s_subb_u32 s9, s9, s14
	s_cbranch_execnz .LBB133_5
.LBB133_4:
	v_cvt_f32_u32_e32 v1, s13
	s_sub_i32 s2, 0, s13
	s_mov_b32 s9, 0
	v_rcp_iflag_f32_e32 v1, v1
	v_mul_f32_e32 v1, 0x4f7ffffe, v1
	v_cvt_u32_f32_e32 v1, v1
	v_readfirstlane_b32 s3, v1
	s_mul_i32 s2, s2, s3
	s_mul_hi_u32 s2, s3, s2
	s_add_i32 s3, s3, s2
	s_mul_hi_u32 s2, s10, s3
	s_mul_i32 s8, s2, s13
	s_sub_i32 s8, s10, s8
	s_add_i32 s3, s2, 1
	s_sub_i32 s10, s8, s13
	s_cmp_ge_u32 s8, s13
	s_cselect_b32 s2, s3, s2
	s_cselect_b32 s8, s10, s8
	s_add_i32 s3, s2, 1
	s_cmp_ge_u32 s8, s13
	s_cselect_b32 s8, s3, s2
.LBB133_5:
	v_mov_b32_e32 v1, 0
	v_mov_b32_e32 v4, s6
	v_mad_u64_u32 v[16:17], s[2:3], s7, v4, v[0:1]
	s_add_u32 s2, s8, 1
	s_addc_u32 s3, s9, 0
	s_mul_hi_u32 s8, s17, s7
	s_mul_i32 s3, s12, s3
	s_mul_hi_u32 s9, s12, s2
	s_add_i32 s3, s9, s3
	s_mul_i32 s8, s8, s2
	s_add_i32 s3, s3, s8
	s_mul_i32 s2, s12, s2
	s_lshl_b64 s[2:3], s[2:3], 2
	v_cmp_gt_i64_e32 vcc, s[2:3], v[16:17]
	s_and_saveexec_b64 s[8:9], vcc
	s_cbranch_execz .LBB133_22
; %bb.6:
	s_load_dwordx2 s[8:9], s[4:5], 0x30
	s_load_dword s19, s[4:5], 0x38
	s_load_dwordx2 s[10:11], s[4:5], 0x40
	s_mov_b32 s4, 0x5384540f
	v_mov_b32_e32 v4, v15
	v_add_co_u32_e32 v22, vcc, s4, v14
	s_mov_b32 s4, 0x646e171e
	v_add_co_u32_e32 v23, vcc, s4, v4
	s_mov_b32 s4, 0x1715609d
	;; [unrolled: 2-line block ×6, first 2 shown]
	v_alignbit_b32 v29, v3, v2, 2
	s_mov_b32 s15, 0xd2511f53
	v_add_co_u32_e32 v28, vcc, s4, v14
	v_mad_u64_u32 v[6:7], s[4:5], v29, s15, 0
	v_xor_b32_e32 v1, v7, v15
	v_xor_b32_e32 v1, v1, v17
	s_mov_b32 s16, 0xcd9e8d57
	v_mad_u64_u32 v[8:9], s[4:5], v1, s16, 0
	v_xor_b32_e32 v1, v28, v9
	v_mad_u64_u32 v[10:11], s[4:5], v16, s16, 0
	v_and_b32_e32 v18, 3, v2
	v_xor_b32_e32 v1, v1, v10
	v_xor_b32_e32 v2, v14, v11
	v_lshrrev_b32_e32 v30, 2, v3
	v_mad_u64_u32 v[12:13], s[4:5], v1, s15, 0
	v_xor_b32_e32 v2, v2, v30
	v_xor_b32_e32 v1, v27, v13
	v_mad_u64_u32 v[2:3], s[4:5], v2, s15, 0
	v_xor_b32_e32 v1, v1, v2
	v_mad_u64_u32 v[10:11], s[4:5], v1, s16, 0
	s_mov_b32 s4, 0xbb67ae85
	v_add_co_u32_e32 v31, vcc, s4, v4
	v_xor_b32_e32 v2, v31, v3
	v_xor_b32_e32 v2, v2, v6
	v_xor_b32_e32 v1, v26, v11
	v_mad_u64_u32 v[2:3], s[4:5], v2, s16, 0
	v_xor_b32_e32 v1, v1, v2
	v_mad_u64_u32 v[6:7], s[4:5], v1, s15, 0
	s_mov_b32 s4, 0x3c6ef372
	v_add_co_u32_e32 v32, vcc, s4, v14
	v_xor_b32_e32 v2, v32, v3
	;; [unrolled: 8-line block ×6, first 2 shown]
	v_add_co_u32_e32 v21, vcc, 0xdb3d7428, v4
	v_xor_b32_e32 v2, v2, v8
	v_xor_b32_e32 v1, v21, v7
	v_mad_u64_u32 v[2:3], s[4:5], v2, s15, 0
	v_xor_b32_e32 v1, v1, v2
	v_mad_u64_u32 v[8:9], s[4:5], v1, s16, 0
	s_mov_b32 s4, 0x1fd5c5a3
	v_add_co_u32_e32 v37, vcc, s4, v4
	v_xor_b32_e32 v1, v37, v3
	v_xor_b32_e32 v1, v1, v12
	v_mad_u64_u32 v[2:3], s[4:5], v1, s16, 0
	s_mov_b32 s4, 0xf1bbcdc8
	v_add_u32_e32 v19, 0x8ff34781, v14
	v_xor_b32_e32 v1, v9, v2
	v_add_co_u32_e32 v38, vcc, s4, v14
	v_xor_b32_e32 v2, v19, v1
	v_xor_b32_e32 v1, v38, v3
	;; [unrolled: 1-line block ×3, first 2 shown]
	v_mad_u64_u32 v[10:11], s[4:5], v1, s15, 0
	v_add_u32_e32 v20, 0x96a522ad, v15
	v_xor_b32_e32 v1, v11, v6
	s_mul_i32 s4, s6, s7
	v_xor_b32_e32 v4, v20, v1
	v_add_u32_e32 v1, s4, v0
	s_waitcnt lgkmcnt(0)
	s_mul_i32 s4, s17, s19
	s_mul_i32 s4, s4, s7
	s_lshl_b32 s18, s4, 2
	s_add_i32 s4, s6, s17
	s_mul_i32 s4, s4, s7
	s_mov_b32 s14, 0
	v_add_u32_e32 v0, s4, v0
	v_mov_b32_e32 v3, v8
	v_mov_b32_e32 v5, v10
	v_cvt_f32_f64_e32 v39, s[10:11]
	v_mul_lo_u32 v40, s19, v1
	v_mul_lo_u32 v41, s19, v0
	s_mov_b64 s[4:5], 0
	s_mov_b32 s17, s14
	v_mov_b32_e32 v42, v16
	v_mov_b32_e32 v43, v17
	s_branch .LBB133_8
.LBB133_7:                              ;   in Loop: Header=BB133_8 Depth=1
	s_or_b64 exec, exec, s[6:7]
	v_add_co_u32_e32 v16, vcc, s13, v16
	v_addc_co_u32_e32 v17, vcc, 0, v17, vcc
	v_mov_b32_e32 v9, v0
	s_add_i32 s17, s17, s18
	v_cmp_le_i64_e32 vcc, s[2:3], v[16:17]
	v_pk_mov_b32 v[2:3], v[6:7], v[6:7] op_sel:[0,1]
	s_or_b64 s[4:5], vcc, s[4:5]
	v_pk_mov_b32 v[4:5], v[8:9], v[8:9] op_sel:[0,1]
	s_barrier
	s_andn2_b64 exec, exec, s[4:5]
	s_cbranch_execz .LBB133_22
.LBB133_8:                              ; =>This Inner Loop Header: Depth=1
	v_add_co_u32_e32 v29, vcc, 1, v29
	v_cndmask_b32_e64 v0, 0, 1, vcc
	v_addc_co_u32_e32 v30, vcc, 0, v30, vcc
	v_cmp_eq_u32_e32 vcc, 0, v30
	v_cndmask_b32_e32 v0, 0, v0, vcc
	v_add_u32_e32 v42, v0, v42
	v_cmp_eq_u32_e32 vcc, 0, v42
	v_cndmask_b32_e32 v0, 0, v0, vcc
	v_add_u32_e32 v43, v0, v43
	v_mad_u64_u32 v[0:1], s[6:7], v29, s15, 0
	v_mad_u64_u32 v[6:7], s[6:7], v42, s16, 0
	v_xor_b32_e32 v1, v1, v15
	v_xor_b32_e32 v7, v7, v14
	v_xor_b32_e32 v1, v43, v1
	v_xor_b32_e32 v7, v30, v7
	v_mad_u64_u32 v[10:11], s[6:7], v1, s16, 0
	v_mad_u64_u32 v[8:9], s[6:7], v7, s15, 0
	v_xor_b32_e32 v1, v28, v11
	v_xor_b32_e32 v1, v1, v6
	v_xor_b32_e32 v6, v31, v9
	v_xor_b32_e32 v6, v6, v0
	;; [unrolled: 6-line block ×10, first 2 shown]
	v_mov_b32_e32 v7, v12
	v_mov_b32_e32 v8, v13
	v_cmp_lt_i32_e32 vcc, 1, v18
	s_and_saveexec_b64 s[6:7], vcc
	s_xor_b64 s[6:7], exec, s[6:7]
	s_cbranch_execnz .LBB133_14
; %bb.9:                                ;   in Loop: Header=BB133_8 Depth=1
	s_andn2_saveexec_b64 s[6:7], s[6:7]
	s_cbranch_execnz .LBB133_19
.LBB133_10:                             ;   in Loop: Header=BB133_8 Depth=1
	s_or_b64 exec, exec, s[6:7]
	v_cmp_gt_i64_e32 vcc, s[0:1], v[16:17]
	s_and_saveexec_b64 s[6:7], vcc
	s_cbranch_execz .LBB133_12
.LBB133_11:                             ;   in Loop: Header=BB133_8 Depth=1
	v_lshrrev_b32_e32 v1, 11, v3
	v_cvt_f64_u32_e32 v[10:11], v1
	v_ldexp_f64 v[10:11], v[10:11], 32
	v_cvt_f64_u32_e32 v[2:3], v2
	v_add_f64 v[2:3], v[10:11], v[2:3]
	v_mov_b32_e32 v10, 0
	v_mov_b32_e32 v11, 0x3ca00000
	v_fmac_f64_e32 v[10:11], 0x3ca00000, v[2:3]
	v_add_u32_e32 v2, s17, v40
	v_ashrrev_i32_e32 v3, 31, v2
	v_mov_b32_e32 v9, s9
	v_add_co_u32_e32 v2, vcc, s8, v2
	v_cvt_f32_f64_e32 v1, v[10:11]
	v_addc_co_u32_e32 v3, vcc, v9, v3, vcc
	v_cmp_gt_f32_e32 vcc, v39, v1
	v_cndmask_b32_e64 v10, 0, 1, vcc
	v_mov_b32_e32 v11, s14
	global_store_dwordx2 v[2:3], v[10:11], off
.LBB133_12:                             ;   in Loop: Header=BB133_8 Depth=1
	s_or_b64 exec, exec, s[6:7]
	v_mov_b32_e32 v1, s14
	v_add_co_u32_e32 v2, vcc, s12, v16
	v_addc_co_u32_e32 v3, vcc, v1, v17, vcc
	v_cmp_gt_i64_e32 vcc, s[0:1], v[2:3]
	s_and_saveexec_b64 s[6:7], vcc
	s_cbranch_execz .LBB133_7
; %bb.13:                               ;   in Loop: Header=BB133_8 Depth=1
	v_lshrrev_b32_e32 v1, 11, v5
	v_cvt_f64_u32_e32 v[2:3], v1
	v_ldexp_f64 v[2:3], v[2:3], 32
	v_cvt_f64_u32_e32 v[4:5], v4
	v_add_f64 v[2:3], v[2:3], v[4:5]
	v_mov_b32_e32 v4, 0
	v_mov_b32_e32 v5, 0x3ca00000
	v_fmac_f64_e32 v[4:5], 0x3ca00000, v[2:3]
	v_add_u32_e32 v2, s17, v41
	v_cvt_f32_f64_e32 v1, v[4:5]
	v_ashrrev_i32_e32 v3, 31, v2
	v_mov_b32_e32 v4, s9
	v_add_co_u32_e32 v2, vcc, s8, v2
	v_addc_co_u32_e32 v3, vcc, v4, v3, vcc
	v_cmp_gt_f32_e32 vcc, v39, v1
	v_cndmask_b32_e64 v4, 0, 1, vcc
	v_mov_b32_e32 v5, s14
	global_store_dwordx2 v[2:3], v[4:5], off
	s_branch .LBB133_7
.LBB133_14:                             ;   in Loop: Header=BB133_8 Depth=1
	v_cmp_lt_i32_e32 vcc, 2, v18
	s_and_saveexec_b64 s[10:11], vcc
	s_xor_b64 s[10:11], exec, s[10:11]
; %bb.15:                               ;   in Loop: Header=BB133_8 Depth=1
	v_mov_b32_e32 v10, v5
	v_mov_b32_e32 v11, v6
	v_pk_mov_b32 v[2:3], v[10:11], v[10:11] op_sel:[0,1]
	v_pk_mov_b32 v[4:5], v[12:13], v[12:13] op_sel:[0,1]
                                        ; implicit-def: $vgpr12_vgpr13
; %bb.16:                               ;   in Loop: Header=BB133_8 Depth=1
	s_andn2_saveexec_b64 s[10:11], s[10:11]
; %bb.17:                               ;   in Loop: Header=BB133_8 Depth=1
	v_mov_b32_e32 v2, v4
	v_mov_b32_e32 v3, v5
	;; [unrolled: 1-line block ×4, first 2 shown]
; %bb.18:                               ;   in Loop: Header=BB133_8 Depth=1
	s_or_b64 exec, exec, s[10:11]
	s_andn2_saveexec_b64 s[6:7], s[6:7]
	s_cbranch_execz .LBB133_10
.LBB133_19:                             ;   in Loop: Header=BB133_8 Depth=1
	v_cmp_eq_u32_e32 vcc, 1, v18
	s_and_saveexec_b64 s[10:11], vcc
; %bb.20:                               ;   in Loop: Header=BB133_8 Depth=1
	v_mov_b32_e32 v2, v3
	v_mov_b32_e32 v3, v4
	;; [unrolled: 1-line block ×4, first 2 shown]
; %bb.21:                               ;   in Loop: Header=BB133_8 Depth=1
	s_or_b64 exec, exec, s[10:11]
	s_or_b64 exec, exec, s[6:7]
	v_cmp_gt_i64_e32 vcc, s[0:1], v[16:17]
	s_and_saveexec_b64 s[6:7], vcc
	s_cbranch_execnz .LBB133_11
	s_branch .LBB133_12
.LBB133_22:
	s_endpgm
.LBB133_23:
                                        ; implicit-def: $sgpr8_sgpr9
	s_andn2_b64 vcc, exec, s[2:3]
	s_cbranch_vccz .LBB133_4
	s_branch .LBB133_5
	.section	.rodata,"a",@progbits
	.p2align	6, 0x0
	.amdhsa_kernel _ZN2at6native12_GLOBAL__N_143distribution_elementwise_grid_stride_kernelIfLi4EZNS0_9templates4cuda21uniform_and_transformIlfPNS_17CUDAGeneratorImplEZZZNS4_16bernoulli_kernelIS7_EEvRNS_18TensorIteratorBaseEdT_ENKUlvE_clEvENKUlvE2_clEvEUlfE_EEvSA_T1_T2_EUlP25hiprandStatePhilox4_32_10E_ZNS1_27distribution_nullary_kernelIlf15HIP_vector_typeIdLj2EES7_SJ_SE_EEvSA_SG_RKT3_T4_EUlifE_EEvlNS_15PhiloxCudaStateESF_SG_
		.amdhsa_group_segment_fixed_size 0
		.amdhsa_private_segment_fixed_size 0
		.amdhsa_kernarg_size 328
		.amdhsa_user_sgpr_count 6
		.amdhsa_user_sgpr_private_segment_buffer 1
		.amdhsa_user_sgpr_dispatch_ptr 0
		.amdhsa_user_sgpr_queue_ptr 0
		.amdhsa_user_sgpr_kernarg_segment_ptr 1
		.amdhsa_user_sgpr_dispatch_id 0
		.amdhsa_user_sgpr_flat_scratch_init 0
		.amdhsa_user_sgpr_kernarg_preload_length 0
		.amdhsa_user_sgpr_kernarg_preload_offset 0
		.amdhsa_user_sgpr_private_segment_size 0
		.amdhsa_uses_dynamic_stack 0
		.amdhsa_system_sgpr_private_segment_wavefront_offset 0
		.amdhsa_system_sgpr_workgroup_id_x 1
		.amdhsa_system_sgpr_workgroup_id_y 0
		.amdhsa_system_sgpr_workgroup_id_z 0
		.amdhsa_system_sgpr_workgroup_info 0
		.amdhsa_system_vgpr_workitem_id 0
		.amdhsa_next_free_vgpr 46
		.amdhsa_next_free_sgpr 24
		.amdhsa_accum_offset 48
		.amdhsa_reserve_vcc 1
		.amdhsa_reserve_flat_scratch 0
		.amdhsa_float_round_mode_32 0
		.amdhsa_float_round_mode_16_64 0
		.amdhsa_float_denorm_mode_32 3
		.amdhsa_float_denorm_mode_16_64 3
		.amdhsa_dx10_clamp 1
		.amdhsa_ieee_mode 1
		.amdhsa_fp16_overflow 0
		.amdhsa_tg_split 0
		.amdhsa_exception_fp_ieee_invalid_op 0
		.amdhsa_exception_fp_denorm_src 0
		.amdhsa_exception_fp_ieee_div_zero 0
		.amdhsa_exception_fp_ieee_overflow 0
		.amdhsa_exception_fp_ieee_underflow 0
		.amdhsa_exception_fp_ieee_inexact 0
		.amdhsa_exception_int_div_zero 0
	.end_amdhsa_kernel
	.section	.text._ZN2at6native12_GLOBAL__N_143distribution_elementwise_grid_stride_kernelIfLi4EZNS0_9templates4cuda21uniform_and_transformIlfPNS_17CUDAGeneratorImplEZZZNS4_16bernoulli_kernelIS7_EEvRNS_18TensorIteratorBaseEdT_ENKUlvE_clEvENKUlvE2_clEvEUlfE_EEvSA_T1_T2_EUlP25hiprandStatePhilox4_32_10E_ZNS1_27distribution_nullary_kernelIlf15HIP_vector_typeIdLj2EES7_SJ_SE_EEvSA_SG_RKT3_T4_EUlifE_EEvlNS_15PhiloxCudaStateESF_SG_,"axG",@progbits,_ZN2at6native12_GLOBAL__N_143distribution_elementwise_grid_stride_kernelIfLi4EZNS0_9templates4cuda21uniform_and_transformIlfPNS_17CUDAGeneratorImplEZZZNS4_16bernoulli_kernelIS7_EEvRNS_18TensorIteratorBaseEdT_ENKUlvE_clEvENKUlvE2_clEvEUlfE_EEvSA_T1_T2_EUlP25hiprandStatePhilox4_32_10E_ZNS1_27distribution_nullary_kernelIlf15HIP_vector_typeIdLj2EES7_SJ_SE_EEvSA_SG_RKT3_T4_EUlifE_EEvlNS_15PhiloxCudaStateESF_SG_,comdat
.Lfunc_end133:
	.size	_ZN2at6native12_GLOBAL__N_143distribution_elementwise_grid_stride_kernelIfLi4EZNS0_9templates4cuda21uniform_and_transformIlfPNS_17CUDAGeneratorImplEZZZNS4_16bernoulli_kernelIS7_EEvRNS_18TensorIteratorBaseEdT_ENKUlvE_clEvENKUlvE2_clEvEUlfE_EEvSA_T1_T2_EUlP25hiprandStatePhilox4_32_10E_ZNS1_27distribution_nullary_kernelIlf15HIP_vector_typeIdLj2EES7_SJ_SE_EEvSA_SG_RKT3_T4_EUlifE_EEvlNS_15PhiloxCudaStateESF_SG_, .Lfunc_end133-_ZN2at6native12_GLOBAL__N_143distribution_elementwise_grid_stride_kernelIfLi4EZNS0_9templates4cuda21uniform_and_transformIlfPNS_17CUDAGeneratorImplEZZZNS4_16bernoulli_kernelIS7_EEvRNS_18TensorIteratorBaseEdT_ENKUlvE_clEvENKUlvE2_clEvEUlfE_EEvSA_T1_T2_EUlP25hiprandStatePhilox4_32_10E_ZNS1_27distribution_nullary_kernelIlf15HIP_vector_typeIdLj2EES7_SJ_SE_EEvSA_SG_RKT3_T4_EUlifE_EEvlNS_15PhiloxCudaStateESF_SG_
                                        ; -- End function
	.section	.AMDGPU.csdata,"",@progbits
; Kernel info:
; codeLenInByte = 2308
; NumSgprs: 28
; NumVgprs: 46
; NumAgprs: 0
; TotalNumVgprs: 46
; ScratchSize: 0
; MemoryBound: 0
; FloatMode: 240
; IeeeMode: 1
; LDSByteSize: 0 bytes/workgroup (compile time only)
; SGPRBlocks: 3
; VGPRBlocks: 5
; NumSGPRsForWavesPerEU: 28
; NumVGPRsForWavesPerEU: 46
; AccumOffset: 48
; Occupancy: 8
; WaveLimiterHint : 0
; COMPUTE_PGM_RSRC2:SCRATCH_EN: 0
; COMPUTE_PGM_RSRC2:USER_SGPR: 6
; COMPUTE_PGM_RSRC2:TRAP_HANDLER: 0
; COMPUTE_PGM_RSRC2:TGID_X_EN: 1
; COMPUTE_PGM_RSRC2:TGID_Y_EN: 0
; COMPUTE_PGM_RSRC2:TGID_Z_EN: 0
; COMPUTE_PGM_RSRC2:TIDIG_COMP_CNT: 0
; COMPUTE_PGM_RSRC3_GFX90A:ACCUM_OFFSET: 11
; COMPUTE_PGM_RSRC3_GFX90A:TG_SPLIT: 0
	.section	.text._ZN2at6native12_GLOBAL__N_143distribution_elementwise_grid_stride_kernelIfLi4EZNS0_9templates4cuda21uniform_and_transformIlfPNS_17CUDAGeneratorImplEZZZNS4_16bernoulli_kernelIS7_EEvRNS_18TensorIteratorBaseEdT_ENKUlvE_clEvENKUlvE2_clEvEUlfE_EEvSA_T1_T2_EUlP25hiprandStatePhilox4_32_10E_ZNS1_27distribution_nullary_kernelIlf15HIP_vector_typeIdLj2EES7_SJ_SE_EEvSA_SG_RKT3_T4_EUlifE0_EEvlNS_15PhiloxCudaStateESF_SG_,"axG",@progbits,_ZN2at6native12_GLOBAL__N_143distribution_elementwise_grid_stride_kernelIfLi4EZNS0_9templates4cuda21uniform_and_transformIlfPNS_17CUDAGeneratorImplEZZZNS4_16bernoulli_kernelIS7_EEvRNS_18TensorIteratorBaseEdT_ENKUlvE_clEvENKUlvE2_clEvEUlfE_EEvSA_T1_T2_EUlP25hiprandStatePhilox4_32_10E_ZNS1_27distribution_nullary_kernelIlf15HIP_vector_typeIdLj2EES7_SJ_SE_EEvSA_SG_RKT3_T4_EUlifE0_EEvlNS_15PhiloxCudaStateESF_SG_,comdat
	.globl	_ZN2at6native12_GLOBAL__N_143distribution_elementwise_grid_stride_kernelIfLi4EZNS0_9templates4cuda21uniform_and_transformIlfPNS_17CUDAGeneratorImplEZZZNS4_16bernoulli_kernelIS7_EEvRNS_18TensorIteratorBaseEdT_ENKUlvE_clEvENKUlvE2_clEvEUlfE_EEvSA_T1_T2_EUlP25hiprandStatePhilox4_32_10E_ZNS1_27distribution_nullary_kernelIlf15HIP_vector_typeIdLj2EES7_SJ_SE_EEvSA_SG_RKT3_T4_EUlifE0_EEvlNS_15PhiloxCudaStateESF_SG_ ; -- Begin function _ZN2at6native12_GLOBAL__N_143distribution_elementwise_grid_stride_kernelIfLi4EZNS0_9templates4cuda21uniform_and_transformIlfPNS_17CUDAGeneratorImplEZZZNS4_16bernoulli_kernelIS7_EEvRNS_18TensorIteratorBaseEdT_ENKUlvE_clEvENKUlvE2_clEvEUlfE_EEvSA_T1_T2_EUlP25hiprandStatePhilox4_32_10E_ZNS1_27distribution_nullary_kernelIlf15HIP_vector_typeIdLj2EES7_SJ_SE_EEvSA_SG_RKT3_T4_EUlifE0_EEvlNS_15PhiloxCudaStateESF_SG_
	.p2align	8
	.type	_ZN2at6native12_GLOBAL__N_143distribution_elementwise_grid_stride_kernelIfLi4EZNS0_9templates4cuda21uniform_and_transformIlfPNS_17CUDAGeneratorImplEZZZNS4_16bernoulli_kernelIS7_EEvRNS_18TensorIteratorBaseEdT_ENKUlvE_clEvENKUlvE2_clEvEUlfE_EEvSA_T1_T2_EUlP25hiprandStatePhilox4_32_10E_ZNS1_27distribution_nullary_kernelIlf15HIP_vector_typeIdLj2EES7_SJ_SE_EEvSA_SG_RKT3_T4_EUlifE0_EEvlNS_15PhiloxCudaStateESF_SG_,@function
_ZN2at6native12_GLOBAL__N_143distribution_elementwise_grid_stride_kernelIfLi4EZNS0_9templates4cuda21uniform_and_transformIlfPNS_17CUDAGeneratorImplEZZZNS4_16bernoulli_kernelIS7_EEvRNS_18TensorIteratorBaseEdT_ENKUlvE_clEvENKUlvE2_clEvEUlfE_EEvSA_T1_T2_EUlP25hiprandStatePhilox4_32_10E_ZNS1_27distribution_nullary_kernelIlf15HIP_vector_typeIdLj2EES7_SJ_SE_EEvSA_SG_RKT3_T4_EUlifE0_EEvlNS_15PhiloxCudaStateESF_SG_: ; @_ZN2at6native12_GLOBAL__N_143distribution_elementwise_grid_stride_kernelIfLi4EZNS0_9templates4cuda21uniform_and_transformIlfPNS_17CUDAGeneratorImplEZZZNS4_16bernoulli_kernelIS7_EEvRNS_18TensorIteratorBaseEdT_ENKUlvE_clEvENKUlvE2_clEvEUlfE_EEvSA_T1_T2_EUlP25hiprandStatePhilox4_32_10E_ZNS1_27distribution_nullary_kernelIlf15HIP_vector_typeIdLj2EES7_SJ_SE_EEvSA_SG_RKT3_T4_EUlifE0_EEvlNS_15PhiloxCudaStateESF_SG_
; %bb.0:
	s_load_dword s2, s[4:5], 0x20
	s_load_dwordx2 s[0:1], s[4:5], 0x10
	s_load_dwordx4 s[24:27], s[4:5], 0x0
	s_waitcnt lgkmcnt(0)
	s_bitcmp0_b32 s2, 0
	s_mov_b32 s2, 0
	v_pk_mov_b32 v[2:3], s[0:1], s[0:1] op_sel:[0,1]
	v_pk_mov_b32 v[12:13], s[26:27], s[26:27] op_sel:[0,1]
	s_cbranch_scc1 .LBB134_2
; %bb.1:
	v_pk_mov_b32 v[2:3], s[0:1], s[0:1] op_sel:[0,1]
	flat_load_dwordx2 v[2:3], v[2:3]
	v_pk_mov_b32 v[4:5], s[26:27], s[26:27] op_sel:[0,1]
	flat_load_dwordx2 v[12:13], v[4:5]
	s_load_dwordx2 s[0:1], s[4:5], 0x18
	s_waitcnt lgkmcnt(0)
	v_mov_b32_e32 v1, s1
	s_waitcnt vmcnt(0)
	v_add_co_u32_e32 v2, vcc, s0, v2
	v_addc_co_u32_e32 v3, vcc, v3, v1, vcc
.LBB134_2:
	s_load_dword s0, s[4:5], 0x154
	s_load_dword s7, s[4:5], 0x148
	s_waitcnt lgkmcnt(0)
	s_and_b32 s8, s0, 0xffff
	s_add_u32 s9, s24, -1
	s_mul_i32 s33, s7, s8
	s_addc_u32 s3, s25, -1
	s_lshl_b32 s58, s33, 2
	s_cmp_lg_u64 s[2:3], 0
	s_mov_b64 s[0:1], -1
	s_cbranch_scc0 .LBB134_51
; %bb.3:
	v_cvt_f32_u32_e32 v1, s58
	v_cvt_f32_ubyte0_e32 v4, 0
	s_sub_u32 s2, 0, s58
	s_subb_u32 s10, 0, 0
	v_madmk_f32 v1, v4, 0x4f800000, v1
	v_rcp_f32_e32 v1, v1
	v_mul_f32_e32 v1, 0x5f7ffffc, v1
	v_mul_f32_e32 v4, 0x2f800000, v1
	v_trunc_f32_e32 v4, v4
	v_madmk_f32 v1, v4, 0xcf800000, v1
	v_cvt_u32_f32_e32 v4, v4
	v_cvt_u32_f32_e32 v1, v1
	v_readfirstlane_b32 s11, v4
	v_readfirstlane_b32 s12, v1
	s_mul_i32 s13, s2, s11
	s_mul_hi_u32 s15, s2, s12
	s_mul_i32 s14, s10, s12
	s_add_i32 s13, s15, s13
	s_add_i32 s13, s13, s14
	s_mul_i32 s16, s2, s12
	s_mul_hi_u32 s14, s12, s13
	s_mul_i32 s15, s12, s13
	s_mul_hi_u32 s12, s12, s16
	s_add_u32 s12, s12, s15
	s_addc_u32 s14, 0, s14
	s_mul_hi_u32 s17, s11, s16
	s_mul_i32 s16, s11, s16
	s_add_u32 s12, s12, s16
	s_mul_hi_u32 s15, s11, s13
	s_addc_u32 s12, s14, s17
	s_addc_u32 s14, s15, 0
	s_mul_i32 s13, s11, s13
	s_add_u32 s12, s12, s13
	s_addc_u32 s13, 0, s14
	v_add_co_u32_e32 v1, vcc, s12, v1
	s_cmp_lg_u64 vcc, 0
	s_addc_u32 s11, s11, s13
	v_readfirstlane_b32 s13, v1
	s_mul_i32 s12, s2, s11
	s_mul_hi_u32 s14, s2, s13
	s_add_i32 s12, s14, s12
	s_mul_i32 s10, s10, s13
	s_add_i32 s12, s12, s10
	s_mul_i32 s2, s2, s13
	s_mul_hi_u32 s14, s11, s2
	s_mul_i32 s15, s11, s2
	s_mul_i32 s17, s13, s12
	s_mul_hi_u32 s2, s13, s2
	s_mul_hi_u32 s16, s13, s12
	s_add_u32 s2, s2, s17
	s_addc_u32 s13, 0, s16
	s_add_u32 s2, s2, s15
	s_mul_hi_u32 s10, s11, s12
	s_addc_u32 s2, s13, s14
	s_addc_u32 s10, s10, 0
	s_mul_i32 s12, s11, s12
	s_add_u32 s2, s2, s12
	s_addc_u32 s10, 0, s10
	v_add_co_u32_e32 v1, vcc, s2, v1
	s_cmp_lg_u64 vcc, 0
	s_addc_u32 s12, s11, s10
	s_ashr_i32 s10, s3, 31
	s_add_u32 s2, s9, s10
	s_mov_b32 s11, s10
	s_addc_u32 s3, s3, s10
	s_xor_b64 s[2:3], s[2:3], s[10:11]
	v_readfirstlane_b32 s15, v1
	s_mul_i32 s14, s2, s12
	s_mul_hi_u32 s16, s2, s15
	s_mul_hi_u32 s13, s2, s12
	s_add_u32 s14, s16, s14
	s_addc_u32 s13, 0, s13
	s_mul_hi_u32 s17, s3, s15
	s_mul_i32 s15, s3, s15
	s_add_u32 s14, s14, s15
	s_mul_hi_u32 s16, s3, s12
	s_addc_u32 s13, s13, s17
	s_addc_u32 s14, s16, 0
	s_mul_i32 s12, s3, s12
	s_add_u32 s12, s13, s12
	s_addc_u32 s13, 0, s14
	s_add_u32 s14, s12, 1
	s_addc_u32 s15, s13, 0
	s_add_u32 s16, s12, 2
	s_mul_i32 s18, s58, s13
	s_mul_hi_u32 s19, s58, s12
	s_addc_u32 s17, s13, 0
	s_add_i32 s19, s19, s18
	s_mul_i32 s18, s58, s12
	v_mov_b32_e32 v1, s18
	v_sub_co_u32_e32 v1, vcc, s2, v1
	s_cmp_lg_u64 vcc, 0
	s_subb_u32 s2, s3, s19
	v_subrev_co_u32_e32 v4, vcc, s58, v1
	s_cmp_lg_u64 vcc, 0
	s_subb_u32 s3, s2, 0
	v_readfirstlane_b32 s18, v4
	s_cmp_ge_u32 s18, s58
	s_cselect_b32 s18, -1, 0
	s_cmp_eq_u32 s3, 0
	s_cselect_b32 s3, s18, -1
	s_cmp_lg_u32 s3, 0
	s_cselect_b32 s3, s17, s15
	v_readfirstlane_b32 s15, v1
	s_cselect_b32 s14, s16, s14
	s_cmp_ge_u32 s15, s58
	s_cselect_b32 s15, -1, 0
	s_cmp_eq_u32 s2, 0
	s_cselect_b32 s2, s15, -1
	s_cmp_lg_u32 s2, 0
	s_cselect_b32 s3, s3, s13
	s_cselect_b32 s2, s14, s12
	s_xor_b64 s[2:3], s[2:3], s[10:11]
	s_sub_u32 s2, s2, s10
	s_subb_u32 s3, s3, s10
	s_cbranch_execnz .LBB134_5
.LBB134_4:
	v_cvt_f32_u32_e32 v1, s58
	s_sub_i32 s0, 0, s58
	s_mov_b32 s3, 0
	v_rcp_iflag_f32_e32 v1, v1
	v_mul_f32_e32 v1, 0x4f7ffffe, v1
	v_cvt_u32_f32_e32 v1, v1
	v_readfirstlane_b32 s1, v1
	s_mul_i32 s0, s0, s1
	s_mul_hi_u32 s0, s1, s0
	s_add_i32 s1, s1, s0
	s_mul_hi_u32 s0, s9, s1
	s_mul_i32 s2, s0, s58
	s_sub_i32 s2, s9, s2
	s_add_i32 s1, s0, 1
	s_sub_i32 s9, s2, s58
	s_cmp_ge_u32 s2, s58
	s_cselect_b32 s0, s1, s0
	s_cselect_b32 s2, s9, s2
	s_add_i32 s1, s0, 1
	s_cmp_ge_u32 s2, s58
	s_cselect_b32 s2, s1, s0
.LBB134_5:
	v_mov_b32_e32 v1, 0
	v_mov_b32_e32 v4, s6
	v_mad_u64_u32 v[14:15], s[0:1], s8, v4, v[0:1]
	s_add_u32 s0, s2, 1
	s_addc_u32 s1, s3, 0
	s_mul_hi_u32 s2, s7, s8
	s_mul_i32 s1, s33, s1
	s_mul_hi_u32 s3, s33, s0
	s_add_i32 s1, s3, s1
	s_mul_i32 s2, s2, s0
	s_add_i32 s1, s1, s2
	s_mul_i32 s0, s33, s0
	s_lshl_b64 s[26:27], s[0:1], 2
	v_cmp_gt_i64_e32 vcc, s[26:27], v[14:15]
	s_and_saveexec_b64 s[0:1], vcc
	s_cbranch_execz .LBB134_50
; %bb.6:
	s_mov_b32 s0, 0x5384540f
	v_mov_b32_e32 v0, v13
	v_add_co_u32_e32 v22, vcc, s0, v12
	s_mov_b32 s0, 0x646e171e
	v_add_co_u32_e32 v23, vcc, s0, v0
	s_mov_b32 s0, 0x1715609d
	;; [unrolled: 2-line block ×6, first 2 shown]
	v_alignbit_b32 v29, v3, v2, 2
	s_mov_b32 s60, 0xd2511f53
	v_add_co_u32_e32 v28, vcc, s0, v12
	v_mad_u64_u32 v[4:5], s[0:1], v29, s60, 0
	v_xor_b32_e32 v1, v5, v13
	v_xor_b32_e32 v1, v1, v15
	s_mov_b32 s61, 0xcd9e8d57
	v_mad_u64_u32 v[6:7], s[0:1], v1, s61, 0
	v_xor_b32_e32 v1, v28, v7
	v_mad_u64_u32 v[8:9], s[0:1], v14, s61, 0
	v_and_b32_e32 v18, 3, v2
	v_xor_b32_e32 v1, v1, v8
	v_xor_b32_e32 v2, v12, v9
	v_lshrrev_b32_e32 v30, 2, v3
	v_mad_u64_u32 v[10:11], s[0:1], v1, s60, 0
	v_xor_b32_e32 v2, v2, v30
	v_xor_b32_e32 v1, v27, v11
	v_mad_u64_u32 v[2:3], s[0:1], v2, s60, 0
	v_xor_b32_e32 v1, v1, v2
	v_mad_u64_u32 v[8:9], s[0:1], v1, s61, 0
	s_mov_b32 s0, 0xbb67ae85
	v_add_co_u32_e32 v31, vcc, s0, v0
	v_xor_b32_e32 v2, v31, v3
	v_xor_b32_e32 v2, v2, v4
	v_xor_b32_e32 v1, v26, v9
	v_mad_u64_u32 v[2:3], s[0:1], v2, s61, 0
	v_xor_b32_e32 v1, v1, v2
	v_mad_u64_u32 v[4:5], s[0:1], v1, s60, 0
	s_mov_b32 s0, 0x3c6ef372
	v_add_co_u32_e32 v32, vcc, s0, v12
	v_xor_b32_e32 v2, v32, v3
	;; [unrolled: 8-line block ×6, first 2 shown]
	v_add_co_u32_e32 v21, vcc, 0xdb3d7428, v0
	v_xor_b32_e32 v2, v2, v6
	v_xor_b32_e32 v1, v21, v5
	v_mad_u64_u32 v[2:3], s[0:1], v2, s60, 0
	v_xor_b32_e32 v1, v1, v2
	v_mad_u64_u32 v[6:7], s[0:1], v1, s61, 0
	s_mov_b32 s0, 0x1fd5c5a3
	v_add_co_u32_e32 v37, vcc, s0, v0
	v_xor_b32_e32 v0, v37, v3
	v_xor_b32_e32 v0, v0, v10
	v_mad_u64_u32 v[0:1], s[0:1], v0, s61, 0
	s_mov_b32 s0, 0xf1bbcdc8
	s_load_dwordx8 s[8:15], s[4:5], 0x30
	v_add_co_u32_e32 v38, vcc, s0, v12
	v_xor_b32_e32 v1, v38, v1
	v_xor_b32_e32 v1, v1, v8
	s_add_u32 s34, s4, 48
	v_mad_u64_u32 v[8:9], s[0:1], v1, s60, 0
	s_addc_u32 s35, s5, 0
	s_waitcnt lgkmcnt(0)
	s_add_i32 s0, s8, -1
	s_cmp_gt_u32 s0, 1
	s_cselect_b64 s[40:41], -1, 0
	s_cmp_lg_u32 s8, 0
	s_cselect_b64 s[42:43], -1, 0
	s_add_u32 s44, s4, 0xf4
	s_addc_u32 s45, s5, 0
	s_load_dwordx2 s[46:47], s[4:5], 0xf4
	s_load_dwordx4 s[28:31], s[4:5], 0x138
	s_min_u32 s1, s0, 15
	s_cmp_gt_u32 s8, 1
	s_cselect_b64 s[48:49], -1, 0
	s_add_i32 s1, s1, 1
	s_mov_b32 s8, s13
	s_and_b32 s13, s1, 3
	s_cmp_lg_u32 s0, 2
	s_waitcnt lgkmcnt(0)
	v_cvt_f32_f64_e32 v39, s[30:31]
	s_cselect_b64 s[30:31], -1, 0
	s_and_b32 s15, s1, 28
	v_add_u32_e32 v19, 0x8ff34781, v12
	v_add_u32_e32 v20, 0x96a522ad, v13
	v_xor_b32_e32 v0, v7, v0
	v_xor_b32_e32 v1, v9, v4
	s_cmp_lg_u32 s13, 0
	s_mov_b32 s59, 0
	v_xor_b32_e32 v0, v19, v0
	v_xor_b32_e32 v2, v20, v1
	v_mov_b32_e32 v1, v6
	v_mov_b32_e32 v3, v8
	s_mov_b64 s[50:51], 0
	s_cselect_b64 s[52:53], -1, 0
	v_mov_b32_e32 v40, v14
	v_mov_b32_e32 v41, v15
	s_branch .LBB134_9
.LBB134_7:                              ;   in Loop: Header=BB134_9 Depth=1
	v_lshrrev_b32_e32 v0, 11, v3
	v_cvt_f64_u32_e32 v[0:1], v0
	v_ldexp_f64 v[0:1], v[0:1], 32
	v_cvt_f64_u32_e32 v[2:3], v2
	v_add_f64 v[0:1], v[0:1], v[2:3]
	v_mov_b32_e32 v2, 0
	v_mov_b32_e32 v3, 0x3ca00000
	v_fmac_f64_e32 v[2:3], 0x3ca00000, v[0:1]
	v_cvt_f32_f64_e32 v0, v[2:3]
	v_cmp_gt_f32_e32 vcc, v39, v0
	v_cndmask_b32_e64 v0, 0, 1, vcc
	v_mov_b32_e32 v1, s59
	global_store_dwordx2 v8, v[0:1], s[28:29]
.LBB134_8:                              ;   in Loop: Header=BB134_9 Depth=1
	s_or_b64 exec, exec, s[36:37]
	v_add_co_u32_e32 v14, vcc, s58, v14
	v_addc_co_u32_e32 v15, vcc, 0, v15, vcc
	v_mov_b32_e32 v7, v16
	v_cmp_le_i64_e32 vcc, s[26:27], v[14:15]
	v_pk_mov_b32 v[0:1], v[4:5], v[4:5] op_sel:[0,1]
	s_or_b64 s[50:51], vcc, s[50:51]
	v_pk_mov_b32 v[2:3], v[6:7], v[6:7] op_sel:[0,1]
	s_barrier
	s_andn2_b64 exec, exec, s[50:51]
	s_cbranch_execz .LBB134_50
.LBB134_9:                              ; =>This Loop Header: Depth=1
                                        ;     Child Loop BB134_24 Depth 2
                                        ;     Child Loop BB134_30 Depth 2
	;; [unrolled: 1-line block ×4, first 2 shown]
	v_add_co_u32_e32 v29, vcc, 1, v29
	v_cndmask_b32_e64 v4, 0, 1, vcc
	v_addc_co_u32_e32 v30, vcc, 0, v30, vcc
	v_cmp_eq_u32_e32 vcc, 0, v30
	v_cndmask_b32_e32 v4, 0, v4, vcc
	v_add_u32_e32 v40, v4, v40
	v_cmp_eq_u32_e32 vcc, 0, v40
	v_cndmask_b32_e32 v4, 0, v4, vcc
	v_add_u32_e32 v41, v4, v41
	v_mad_u64_u32 v[4:5], s[0:1], v29, s60, 0
	v_mad_u64_u32 v[6:7], s[0:1], v40, s61, 0
	v_xor_b32_e32 v5, v5, v13
	v_xor_b32_e32 v7, v7, v12
	v_xor_b32_e32 v5, v41, v5
	v_xor_b32_e32 v7, v30, v7
	v_mad_u64_u32 v[10:11], s[0:1], v5, s61, 0
	v_mad_u64_u32 v[8:9], s[0:1], v7, s60, 0
	v_xor_b32_e32 v5, v28, v11
	v_xor_b32_e32 v5, v5, v6
	v_xor_b32_e32 v6, v31, v9
	v_xor_b32_e32 v6, v6, v4
	;; [unrolled: 6-line block ×10, first 2 shown]
	v_mov_b32_e32 v5, v10
	v_mov_b32_e32 v6, v11
	v_cmp_lt_i32_e32 vcc, 1, v18
	s_and_saveexec_b64 s[0:1], vcc
	s_xor_b64 s[0:1], exec, s[0:1]
	s_cbranch_execz .LBB134_15
; %bb.10:                               ;   in Loop: Header=BB134_9 Depth=1
	v_cmp_lt_i32_e32 vcc, 2, v18
	s_and_saveexec_b64 s[2:3], vcc
	s_xor_b64 s[2:3], exec, s[2:3]
; %bb.11:                               ;   in Loop: Header=BB134_9 Depth=1
	v_mov_b32_e32 v8, v3
	v_mov_b32_e32 v9, v4
	v_pk_mov_b32 v[0:1], v[8:9], v[8:9] op_sel:[0,1]
	v_pk_mov_b32 v[2:3], v[10:11], v[10:11] op_sel:[0,1]
                                        ; implicit-def: $vgpr10_vgpr11
; %bb.12:                               ;   in Loop: Header=BB134_9 Depth=1
	s_andn2_saveexec_b64 s[2:3], s[2:3]
; %bb.13:                               ;   in Loop: Header=BB134_9 Depth=1
	v_mov_b32_e32 v0, v2
	v_mov_b32_e32 v1, v3
	v_mov_b32_e32 v2, v4
	v_mov_b32_e32 v3, v10
; %bb.14:                               ;   in Loop: Header=BB134_9 Depth=1
	s_or_b64 exec, exec, s[2:3]
.LBB134_15:                             ;   in Loop: Header=BB134_9 Depth=1
	s_andn2_saveexec_b64 s[0:1], s[0:1]
	s_cbranch_execz .LBB134_19
; %bb.16:                               ;   in Loop: Header=BB134_9 Depth=1
	v_cmp_eq_u32_e32 vcc, 1, v18
	s_and_saveexec_b64 s[2:3], vcc
; %bb.17:                               ;   in Loop: Header=BB134_9 Depth=1
	v_mov_b32_e32 v0, v1
	v_mov_b32_e32 v1, v2
	v_mov_b32_e32 v2, v3
	v_mov_b32_e32 v3, v4
; %bb.18:                               ;   in Loop: Header=BB134_9 Depth=1
	s_or_b64 exec, exec, s[2:3]
.LBB134_19:                             ;   in Loop: Header=BB134_9 Depth=1
	s_or_b64 exec, exec, s[0:1]
	v_cndmask_b32_e64 v7, 0, 1, s[40:41]
	v_cmp_gt_i64_e32 vcc, s[24:25], v[14:15]
	v_cmp_ne_u32_e64 s[0:1], 1, v7
	s_and_saveexec_b64 s[2:3], vcc
	s_cbranch_execz .LBB134_35
; %bb.20:                               ;   in Loop: Header=BB134_9 Depth=1
	s_and_b64 vcc, exec, s[0:1]
	s_cbranch_vccnz .LBB134_26
; %bb.21:                               ;   in Loop: Header=BB134_9 Depth=1
	s_andn2_b64 vcc, exec, s[42:43]
	s_cbranch_vccnz .LBB134_27
; %bb.22:                               ;   in Loop: Header=BB134_9 Depth=1
	s_mov_b32 s6, 0
	s_andn2_b64 vcc, exec, s[30:31]
	v_mov_b32_e32 v8, 0
	s_cbranch_vccnz .LBB134_28
; %bb.23:                               ;   in Loop: Header=BB134_9 Depth=1
	s_mov_b32 s62, 0
	v_mov_b32_e32 v8, 0
	s_mov_b64 s[54:55], s[34:35]
	s_mov_b64 s[56:57], s[44:45]
	v_mov_b32_e32 v7, v14
.LBB134_24:                             ;   Parent Loop BB134_9 Depth=1
                                        ; =>  This Inner Loop Header: Depth=2
	s_load_dwordx8 s[16:23], s[54:55], 0x4
	s_load_dwordx4 s[4:7], s[54:55], 0x24
	s_load_dwordx4 s[36:39], s[56:57], 0x0
	s_add_u32 s54, s54, 48
	s_addc_u32 s55, s55, 0
	s_waitcnt lgkmcnt(0)
	v_mul_hi_u32 v9, s17, v7
	v_add_u32_e32 v9, v7, v9
	v_lshrrev_b32_e32 v9, s18, v9
	v_mul_lo_u32 v10, v9, s16
	v_mul_hi_u32 v11, s20, v9
	v_sub_u32_e32 v7, v7, v10
	v_add_u32_e32 v10, v9, v11
	v_lshrrev_b32_e32 v10, s21, v10
	v_mul_lo_u32 v11, v10, s19
	v_mul_hi_u32 v17, s23, v10
	v_sub_u32_e32 v9, v9, v11
	v_add_u32_e32 v11, v10, v17
	v_mul_lo_u32 v7, v7, s36
	v_mul_lo_u32 v9, v9, s37
	v_lshrrev_b32_e32 v11, s4, v11
	v_add3_u32 v8, v7, v8, v9
	v_mul_lo_u32 v7, v11, s22
	v_mul_hi_u32 v9, s6, v11
	v_sub_u32_e32 v7, v10, v7
	v_add_u32_e32 v9, v11, v9
	v_mul_lo_u32 v10, v7, s38
	v_lshrrev_b32_e32 v7, s7, v9
	s_add_i32 s62, s62, 4
	v_mul_lo_u32 v9, v7, s5
	s_add_u32 s56, s56, 16
	v_sub_u32_e32 v9, v11, v9
	s_addc_u32 s57, s57, 0
	v_mul_lo_u32 v9, v9, s39
	s_cmp_lg_u32 s15, s62
	v_add3_u32 v8, v10, v8, v9
	s_cbranch_scc1 .LBB134_24
; %bb.25:                               ;   in Loop: Header=BB134_9 Depth=1
	s_mov_b32 s6, s15
	s_andn2_b64 vcc, exec, s[52:53]
	s_cbranch_vccz .LBB134_29
	s_branch .LBB134_31
.LBB134_26:                             ;   in Loop: Header=BB134_9 Depth=1
                                        ; implicit-def: $vgpr8
	s_branch .LBB134_32
.LBB134_27:                             ;   in Loop: Header=BB134_9 Depth=1
	v_mov_b32_e32 v8, 0
	s_branch .LBB134_31
.LBB134_28:                             ;   in Loop: Header=BB134_9 Depth=1
	v_mov_b32_e32 v7, v14
	s_andn2_b64 vcc, exec, s[52:53]
	s_cbranch_vccnz .LBB134_31
.LBB134_29:                             ;   in Loop: Header=BB134_9 Depth=1
	s_lshl_b32 s4, s6, 2
	s_add_u32 s4, s44, s4
	s_addc_u32 s5, s45, 0
	s_mul_i32 s6, s6, 12
	s_add_u32 s6, s34, s6
	s_addc_u32 s7, s35, 0
	s_mov_b32 s16, s13
.LBB134_30:                             ;   Parent Loop BB134_9 Depth=1
                                        ; =>  This Inner Loop Header: Depth=2
	s_load_dwordx2 s[18:19], s[6:7], 0x4
	s_load_dword s17, s[6:7], 0xc
	s_load_dword s20, s[4:5], 0x0
	s_add_u32 s6, s6, 12
	s_addc_u32 s7, s7, 0
	s_waitcnt lgkmcnt(0)
	v_mul_hi_u32 v9, s19, v7
	v_add_u32_e32 v9, v7, v9
	v_lshrrev_b32_e32 v9, s17, v9
	s_add_u32 s4, s4, 4
	v_mul_lo_u32 v10, v9, s18
	s_addc_u32 s5, s5, 0
	s_add_i32 s16, s16, -1
	v_sub_u32_e32 v10, v7, v10
	s_cmp_lg_u32 s16, 0
	v_mov_b32_e32 v7, v9
	v_mad_u64_u32 v[8:9], s[18:19], v10, s20, v[8:9]
	s_cbranch_scc1 .LBB134_30
.LBB134_31:                             ;   in Loop: Header=BB134_9 Depth=1
	s_cbranch_execnz .LBB134_34
.LBB134_32:                             ;   in Loop: Header=BB134_9 Depth=1
	v_mul_hi_u32 v7, v14, s10
	v_add_u32_e32 v7, v7, v14
	v_lshrrev_b32_e32 v7, s11, v7
	v_mul_lo_u32 v8, v7, s9
	v_sub_u32_e32 v8, v14, v8
	s_andn2_b64 vcc, exec, s[48:49]
	v_mul_lo_u32 v8, v8, s46
	s_cbranch_vccnz .LBB134_34
; %bb.33:                               ;   in Loop: Header=BB134_9 Depth=1
	v_mul_hi_u32 v9, s8, v7
	v_add_u32_e32 v9, v7, v9
	v_lshrrev_b32_e32 v9, s14, v9
	v_mul_lo_u32 v9, v9, s12
	v_sub_u32_e32 v7, v7, v9
	v_mad_u64_u32 v[8:9], s[4:5], v7, s47, v[8:9]
.LBB134_34:                             ;   in Loop: Header=BB134_9 Depth=1
	v_lshrrev_b32_e32 v1, 11, v1
	v_cvt_f64_u32_e32 v[10:11], v1
	v_ldexp_f64 v[10:11], v[10:11], 32
	v_cvt_f64_u32_e32 v[0:1], v0
	v_add_f64 v[0:1], v[10:11], v[0:1]
	v_mov_b32_e32 v10, 0
	v_mov_b32_e32 v11, 0x3ca00000
	v_fmac_f64_e32 v[10:11], 0x3ca00000, v[0:1]
	v_cvt_f32_f64_e32 v0, v[10:11]
	v_cmp_gt_f32_e32 vcc, v39, v0
	v_cndmask_b32_e64 v0, 0, 1, vcc
	v_mov_b32_e32 v1, s59
	global_store_dwordx2 v8, v[0:1], s[28:29]
.LBB134_35:                             ;   in Loop: Header=BB134_9 Depth=1
	s_or_b64 exec, exec, s[2:3]
	v_mov_b32_e32 v1, s59
	v_add_co_u32_e32 v0, vcc, s33, v14
	v_addc_co_u32_e32 v1, vcc, v15, v1, vcc
	v_cmp_gt_i64_e32 vcc, s[24:25], v[0:1]
	s_and_saveexec_b64 s[36:37], vcc
	s_cbranch_execz .LBB134_8
; %bb.36:                               ;   in Loop: Header=BB134_9 Depth=1
	s_and_b64 vcc, exec, s[0:1]
	s_cbranch_vccnz .LBB134_42
; %bb.37:                               ;   in Loop: Header=BB134_9 Depth=1
	s_andn2_b64 vcc, exec, s[42:43]
	s_cbranch_vccnz .LBB134_43
; %bb.38:                               ;   in Loop: Header=BB134_9 Depth=1
	s_mov_b32 s2, 0
	s_andn2_b64 vcc, exec, s[30:31]
	v_mov_b32_e32 v8, 0
	s_cbranch_vccnz .LBB134_44
; %bb.39:                               ;   in Loop: Header=BB134_9 Depth=1
	s_mov_b32 s56, 0
	v_mov_b32_e32 v8, 0
	s_mov_b64 s[38:39], s[34:35]
	s_mov_b64 s[54:55], s[44:45]
	v_mov_b32_e32 v1, v0
.LBB134_40:                             ;   Parent Loop BB134_9 Depth=1
                                        ; =>  This Inner Loop Header: Depth=2
	s_load_dwordx8 s[0:7], s[38:39], 0x4
	s_load_dwordx4 s[16:19], s[38:39], 0x24
	s_load_dwordx4 s[20:23], s[54:55], 0x0
	s_add_u32 s38, s38, 48
	s_addc_u32 s39, s39, 0
	s_waitcnt lgkmcnt(0)
	v_mul_hi_u32 v7, s1, v1
	v_add_u32_e32 v7, v1, v7
	v_lshrrev_b32_e32 v7, s2, v7
	v_mul_lo_u32 v9, v7, s0
	v_mul_hi_u32 v10, s4, v7
	v_sub_u32_e32 v1, v1, v9
	v_add_u32_e32 v9, v7, v10
	v_lshrrev_b32_e32 v9, s5, v9
	v_mul_lo_u32 v10, v9, s3
	v_mul_hi_u32 v11, s7, v9
	v_sub_u32_e32 v7, v7, v10
	v_add_u32_e32 v10, v9, v11
	v_mul_lo_u32 v1, v1, s20
	v_mul_lo_u32 v7, v7, s21
	v_lshrrev_b32_e32 v10, s16, v10
	v_add3_u32 v7, v1, v8, v7
	v_mul_lo_u32 v1, v10, s6
	v_mul_hi_u32 v8, s18, v10
	v_sub_u32_e32 v1, v9, v1
	v_add_u32_e32 v8, v10, v8
	v_mul_lo_u32 v9, v1, s22
	v_lshrrev_b32_e32 v1, s19, v8
	s_add_i32 s56, s56, 4
	v_mul_lo_u32 v8, v1, s17
	s_add_u32 s54, s54, 16
	v_sub_u32_e32 v8, v10, v8
	s_addc_u32 s55, s55, 0
	v_mul_lo_u32 v8, v8, s23
	s_cmp_eq_u32 s15, s56
	v_add3_u32 v8, v9, v7, v8
	s_cbranch_scc0 .LBB134_40
; %bb.41:                               ;   in Loop: Header=BB134_9 Depth=1
	s_mov_b32 s2, s15
	s_andn2_b64 vcc, exec, s[52:53]
	s_cbranch_vccz .LBB134_45
	s_branch .LBB134_47
.LBB134_42:                             ;   in Loop: Header=BB134_9 Depth=1
                                        ; implicit-def: $vgpr8
	s_branch .LBB134_48
.LBB134_43:                             ;   in Loop: Header=BB134_9 Depth=1
	v_mov_b32_e32 v8, 0
	s_branch .LBB134_47
.LBB134_44:                             ;   in Loop: Header=BB134_9 Depth=1
	v_mov_b32_e32 v1, v0
	s_andn2_b64 vcc, exec, s[52:53]
	s_cbranch_vccnz .LBB134_47
.LBB134_45:                             ;   in Loop: Header=BB134_9 Depth=1
	s_lshl_b32 s0, s2, 2
	s_add_u32 s0, s44, s0
	s_addc_u32 s1, s45, 0
	s_mul_i32 s2, s2, 12
	s_add_u32 s2, s34, s2
	s_addc_u32 s3, s35, 0
	s_mov_b32 s4, s13
.LBB134_46:                             ;   Parent Loop BB134_9 Depth=1
                                        ; =>  This Inner Loop Header: Depth=2
	s_load_dwordx2 s[6:7], s[2:3], 0x4
	s_load_dword s5, s[2:3], 0xc
	s_load_dword s16, s[0:1], 0x0
	s_add_u32 s2, s2, 12
	s_addc_u32 s3, s3, 0
	s_waitcnt lgkmcnt(0)
	v_mul_hi_u32 v7, s7, v1
	v_add_u32_e32 v7, v1, v7
	v_lshrrev_b32_e32 v7, s5, v7
	s_add_u32 s0, s0, 4
	v_mul_lo_u32 v9, v7, s6
	s_addc_u32 s1, s1, 0
	s_add_i32 s4, s4, -1
	v_sub_u32_e32 v9, v1, v9
	s_cmp_lg_u32 s4, 0
	v_mov_b32_e32 v1, v7
	v_mad_u64_u32 v[8:9], s[6:7], v9, s16, v[8:9]
	s_cbranch_scc1 .LBB134_46
.LBB134_47:                             ;   in Loop: Header=BB134_9 Depth=1
	s_cbranch_execnz .LBB134_7
.LBB134_48:                             ;   in Loop: Header=BB134_9 Depth=1
	v_mul_hi_u32 v1, v0, s10
	v_add_u32_e32 v1, v1, v0
	v_lshrrev_b32_e32 v1, s11, v1
	v_mul_lo_u32 v7, v1, s9
	v_sub_u32_e32 v0, v0, v7
	s_andn2_b64 vcc, exec, s[48:49]
	v_mul_lo_u32 v8, v0, s46
	s_cbranch_vccnz .LBB134_7
; %bb.49:                               ;   in Loop: Header=BB134_9 Depth=1
	v_mul_hi_u32 v0, s8, v1
	v_add_u32_e32 v0, v1, v0
	v_lshrrev_b32_e32 v0, s14, v0
	v_mul_lo_u32 v0, v0, s12
	v_sub_u32_e32 v0, v1, v0
	v_mad_u64_u32 v[8:9], s[0:1], v0, s47, v[8:9]
	s_branch .LBB134_7
.LBB134_50:
	s_endpgm
.LBB134_51:
                                        ; implicit-def: $sgpr2_sgpr3
	s_andn2_b64 vcc, exec, s[0:1]
	s_cbranch_vccz .LBB134_4
	s_branch .LBB134_5
	.section	.rodata,"a",@progbits
	.p2align	6, 0x0
	.amdhsa_kernel _ZN2at6native12_GLOBAL__N_143distribution_elementwise_grid_stride_kernelIfLi4EZNS0_9templates4cuda21uniform_and_transformIlfPNS_17CUDAGeneratorImplEZZZNS4_16bernoulli_kernelIS7_EEvRNS_18TensorIteratorBaseEdT_ENKUlvE_clEvENKUlvE2_clEvEUlfE_EEvSA_T1_T2_EUlP25hiprandStatePhilox4_32_10E_ZNS1_27distribution_nullary_kernelIlf15HIP_vector_typeIdLj2EES7_SJ_SE_EEvSA_SG_RKT3_T4_EUlifE0_EEvlNS_15PhiloxCudaStateESF_SG_
		.amdhsa_group_segment_fixed_size 0
		.amdhsa_private_segment_fixed_size 0
		.amdhsa_kernarg_size 584
		.amdhsa_user_sgpr_count 6
		.amdhsa_user_sgpr_private_segment_buffer 1
		.amdhsa_user_sgpr_dispatch_ptr 0
		.amdhsa_user_sgpr_queue_ptr 0
		.amdhsa_user_sgpr_kernarg_segment_ptr 1
		.amdhsa_user_sgpr_dispatch_id 0
		.amdhsa_user_sgpr_flat_scratch_init 0
		.amdhsa_user_sgpr_kernarg_preload_length 0
		.amdhsa_user_sgpr_kernarg_preload_offset 0
		.amdhsa_user_sgpr_private_segment_size 0
		.amdhsa_uses_dynamic_stack 0
		.amdhsa_system_sgpr_private_segment_wavefront_offset 0
		.amdhsa_system_sgpr_workgroup_id_x 1
		.amdhsa_system_sgpr_workgroup_id_y 0
		.amdhsa_system_sgpr_workgroup_id_z 0
		.amdhsa_system_sgpr_workgroup_info 0
		.amdhsa_system_vgpr_workitem_id 0
		.amdhsa_next_free_vgpr 42
		.amdhsa_next_free_sgpr 63
		.amdhsa_accum_offset 44
		.amdhsa_reserve_vcc 1
		.amdhsa_reserve_flat_scratch 0
		.amdhsa_float_round_mode_32 0
		.amdhsa_float_round_mode_16_64 0
		.amdhsa_float_denorm_mode_32 3
		.amdhsa_float_denorm_mode_16_64 3
		.amdhsa_dx10_clamp 1
		.amdhsa_ieee_mode 1
		.amdhsa_fp16_overflow 0
		.amdhsa_tg_split 0
		.amdhsa_exception_fp_ieee_invalid_op 0
		.amdhsa_exception_fp_denorm_src 0
		.amdhsa_exception_fp_ieee_div_zero 0
		.amdhsa_exception_fp_ieee_overflow 0
		.amdhsa_exception_fp_ieee_underflow 0
		.amdhsa_exception_fp_ieee_inexact 0
		.amdhsa_exception_int_div_zero 0
	.end_amdhsa_kernel
	.section	.text._ZN2at6native12_GLOBAL__N_143distribution_elementwise_grid_stride_kernelIfLi4EZNS0_9templates4cuda21uniform_and_transformIlfPNS_17CUDAGeneratorImplEZZZNS4_16bernoulli_kernelIS7_EEvRNS_18TensorIteratorBaseEdT_ENKUlvE_clEvENKUlvE2_clEvEUlfE_EEvSA_T1_T2_EUlP25hiprandStatePhilox4_32_10E_ZNS1_27distribution_nullary_kernelIlf15HIP_vector_typeIdLj2EES7_SJ_SE_EEvSA_SG_RKT3_T4_EUlifE0_EEvlNS_15PhiloxCudaStateESF_SG_,"axG",@progbits,_ZN2at6native12_GLOBAL__N_143distribution_elementwise_grid_stride_kernelIfLi4EZNS0_9templates4cuda21uniform_and_transformIlfPNS_17CUDAGeneratorImplEZZZNS4_16bernoulli_kernelIS7_EEvRNS_18TensorIteratorBaseEdT_ENKUlvE_clEvENKUlvE2_clEvEUlfE_EEvSA_T1_T2_EUlP25hiprandStatePhilox4_32_10E_ZNS1_27distribution_nullary_kernelIlf15HIP_vector_typeIdLj2EES7_SJ_SE_EEvSA_SG_RKT3_T4_EUlifE0_EEvlNS_15PhiloxCudaStateESF_SG_,comdat
.Lfunc_end134:
	.size	_ZN2at6native12_GLOBAL__N_143distribution_elementwise_grid_stride_kernelIfLi4EZNS0_9templates4cuda21uniform_and_transformIlfPNS_17CUDAGeneratorImplEZZZNS4_16bernoulli_kernelIS7_EEvRNS_18TensorIteratorBaseEdT_ENKUlvE_clEvENKUlvE2_clEvEUlfE_EEvSA_T1_T2_EUlP25hiprandStatePhilox4_32_10E_ZNS1_27distribution_nullary_kernelIlf15HIP_vector_typeIdLj2EES7_SJ_SE_EEvSA_SG_RKT3_T4_EUlifE0_EEvlNS_15PhiloxCudaStateESF_SG_, .Lfunc_end134-_ZN2at6native12_GLOBAL__N_143distribution_elementwise_grid_stride_kernelIfLi4EZNS0_9templates4cuda21uniform_and_transformIlfPNS_17CUDAGeneratorImplEZZZNS4_16bernoulli_kernelIS7_EEvRNS_18TensorIteratorBaseEdT_ENKUlvE_clEvENKUlvE2_clEvEUlfE_EEvSA_T1_T2_EUlP25hiprandStatePhilox4_32_10E_ZNS1_27distribution_nullary_kernelIlf15HIP_vector_typeIdLj2EES7_SJ_SE_EEvSA_SG_RKT3_T4_EUlifE0_EEvlNS_15PhiloxCudaStateESF_SG_
                                        ; -- End function
	.section	.AMDGPU.csdata,"",@progbits
; Kernel info:
; codeLenInByte = 3320
; NumSgprs: 67
; NumVgprs: 42
; NumAgprs: 0
; TotalNumVgprs: 42
; ScratchSize: 0
; MemoryBound: 0
; FloatMode: 240
; IeeeMode: 1
; LDSByteSize: 0 bytes/workgroup (compile time only)
; SGPRBlocks: 8
; VGPRBlocks: 5
; NumSGPRsForWavesPerEU: 67
; NumVGPRsForWavesPerEU: 42
; AccumOffset: 44
; Occupancy: 8
; WaveLimiterHint : 1
; COMPUTE_PGM_RSRC2:SCRATCH_EN: 0
; COMPUTE_PGM_RSRC2:USER_SGPR: 6
; COMPUTE_PGM_RSRC2:TRAP_HANDLER: 0
; COMPUTE_PGM_RSRC2:TGID_X_EN: 1
; COMPUTE_PGM_RSRC2:TGID_Y_EN: 0
; COMPUTE_PGM_RSRC2:TGID_Z_EN: 0
; COMPUTE_PGM_RSRC2:TIDIG_COMP_CNT: 0
; COMPUTE_PGM_RSRC3_GFX90A:ACCUM_OFFSET: 10
; COMPUTE_PGM_RSRC3_GFX90A:TG_SPLIT: 0
	.section	.text._ZN2at6native12_GLOBAL__N_143distribution_elementwise_grid_stride_kernelIfLi4EZNS0_9templates4cuda21uniform_and_transformIlfPNS_17CUDAGeneratorImplEZZZNS4_16bernoulli_kernelIS7_EEvRNS_18TensorIteratorBaseEdT_ENKUlvE_clEvENKUlvE2_clEvEUlfE_EEvSA_T1_T2_EUlP25hiprandStatePhilox4_32_10E0_ZNS1_27distribution_nullary_kernelIlf15HIP_vector_typeIfLj4EES7_SJ_SE_EEvSA_SG_RKT3_T4_EUlifE_EEvlNS_15PhiloxCudaStateESF_SG_,"axG",@progbits,_ZN2at6native12_GLOBAL__N_143distribution_elementwise_grid_stride_kernelIfLi4EZNS0_9templates4cuda21uniform_and_transformIlfPNS_17CUDAGeneratorImplEZZZNS4_16bernoulli_kernelIS7_EEvRNS_18TensorIteratorBaseEdT_ENKUlvE_clEvENKUlvE2_clEvEUlfE_EEvSA_T1_T2_EUlP25hiprandStatePhilox4_32_10E0_ZNS1_27distribution_nullary_kernelIlf15HIP_vector_typeIfLj4EES7_SJ_SE_EEvSA_SG_RKT3_T4_EUlifE_EEvlNS_15PhiloxCudaStateESF_SG_,comdat
	.globl	_ZN2at6native12_GLOBAL__N_143distribution_elementwise_grid_stride_kernelIfLi4EZNS0_9templates4cuda21uniform_and_transformIlfPNS_17CUDAGeneratorImplEZZZNS4_16bernoulli_kernelIS7_EEvRNS_18TensorIteratorBaseEdT_ENKUlvE_clEvENKUlvE2_clEvEUlfE_EEvSA_T1_T2_EUlP25hiprandStatePhilox4_32_10E0_ZNS1_27distribution_nullary_kernelIlf15HIP_vector_typeIfLj4EES7_SJ_SE_EEvSA_SG_RKT3_T4_EUlifE_EEvlNS_15PhiloxCudaStateESF_SG_ ; -- Begin function _ZN2at6native12_GLOBAL__N_143distribution_elementwise_grid_stride_kernelIfLi4EZNS0_9templates4cuda21uniform_and_transformIlfPNS_17CUDAGeneratorImplEZZZNS4_16bernoulli_kernelIS7_EEvRNS_18TensorIteratorBaseEdT_ENKUlvE_clEvENKUlvE2_clEvEUlfE_EEvSA_T1_T2_EUlP25hiprandStatePhilox4_32_10E0_ZNS1_27distribution_nullary_kernelIlf15HIP_vector_typeIfLj4EES7_SJ_SE_EEvSA_SG_RKT3_T4_EUlifE_EEvlNS_15PhiloxCudaStateESF_SG_
	.p2align	8
	.type	_ZN2at6native12_GLOBAL__N_143distribution_elementwise_grid_stride_kernelIfLi4EZNS0_9templates4cuda21uniform_and_transformIlfPNS_17CUDAGeneratorImplEZZZNS4_16bernoulli_kernelIS7_EEvRNS_18TensorIteratorBaseEdT_ENKUlvE_clEvENKUlvE2_clEvEUlfE_EEvSA_T1_T2_EUlP25hiprandStatePhilox4_32_10E0_ZNS1_27distribution_nullary_kernelIlf15HIP_vector_typeIfLj4EES7_SJ_SE_EEvSA_SG_RKT3_T4_EUlifE_EEvlNS_15PhiloxCudaStateESF_SG_,@function
_ZN2at6native12_GLOBAL__N_143distribution_elementwise_grid_stride_kernelIfLi4EZNS0_9templates4cuda21uniform_and_transformIlfPNS_17CUDAGeneratorImplEZZZNS4_16bernoulli_kernelIS7_EEvRNS_18TensorIteratorBaseEdT_ENKUlvE_clEvENKUlvE2_clEvEUlfE_EEvSA_T1_T2_EUlP25hiprandStatePhilox4_32_10E0_ZNS1_27distribution_nullary_kernelIlf15HIP_vector_typeIfLj4EES7_SJ_SE_EEvSA_SG_RKT3_T4_EUlifE_EEvlNS_15PhiloxCudaStateESF_SG_: ; @_ZN2at6native12_GLOBAL__N_143distribution_elementwise_grid_stride_kernelIfLi4EZNS0_9templates4cuda21uniform_and_transformIlfPNS_17CUDAGeneratorImplEZZZNS4_16bernoulli_kernelIS7_EEvRNS_18TensorIteratorBaseEdT_ENKUlvE_clEvENKUlvE2_clEvEUlfE_EEvSA_T1_T2_EUlP25hiprandStatePhilox4_32_10E0_ZNS1_27distribution_nullary_kernelIlf15HIP_vector_typeIfLj4EES7_SJ_SE_EEvSA_SG_RKT3_T4_EUlifE_EEvlNS_15PhiloxCudaStateESF_SG_
; %bb.0:
	s_load_dword s7, s[4:5], 0x20
	s_load_dwordx2 s[10:11], s[4:5], 0x10
	s_load_dwordx4 s[0:3], s[4:5], 0x0
	s_mov_b32 s8, 0
	s_waitcnt lgkmcnt(0)
	s_bitcmp0_b32 s7, 0
	v_pk_mov_b32 v[2:3], s[10:11], s[10:11] op_sel:[0,1]
	v_pk_mov_b32 v[14:15], s[2:3], s[2:3] op_sel:[0,1]
	s_cbranch_scc1 .LBB135_2
; %bb.1:
	v_pk_mov_b32 v[2:3], s[10:11], s[10:11] op_sel:[0,1]
	flat_load_dwordx2 v[2:3], v[2:3]
	v_pk_mov_b32 v[4:5], s[2:3], s[2:3] op_sel:[0,1]
	flat_load_dwordx2 v[14:15], v[4:5]
	s_load_dwordx2 s[2:3], s[4:5], 0x18
	s_waitcnt lgkmcnt(0)
	v_mov_b32_e32 v1, s3
	s_waitcnt vmcnt(0)
	v_add_co_u32_e32 v2, vcc, s2, v2
	v_addc_co_u32_e32 v3, vcc, v3, v1, vcc
.LBB135_2:
	s_load_dword s2, s[4:5], 0x54
	s_load_dword s20, s[4:5], 0x48
	s_waitcnt lgkmcnt(0)
	s_and_b32 s7, s2, 0xffff
	s_add_u32 s10, s0, -1
	s_mul_i32 s12, s20, s7
	s_addc_u32 s9, s1, -1
	s_lshl_b32 s13, s12, 2
	s_cmp_lg_u64 s[8:9], 0
	s_mov_b64 s[2:3], -1
	s_cbranch_scc0 .LBB135_27
; %bb.3:
	v_cvt_f32_u32_e32 v1, s13
	v_cvt_f32_ubyte0_e32 v4, 0
	s_sub_u32 s8, 0, s13
	s_subb_u32 s11, 0, 0
	v_madmk_f32 v1, v4, 0x4f800000, v1
	v_rcp_f32_e32 v1, v1
	v_mul_f32_e32 v1, 0x5f7ffffc, v1
	v_mul_f32_e32 v4, 0x2f800000, v1
	v_trunc_f32_e32 v4, v4
	v_madmk_f32 v1, v4, 0xcf800000, v1
	v_cvt_u32_f32_e32 v4, v4
	v_cvt_u32_f32_e32 v1, v1
	v_readfirstlane_b32 s14, v4
	v_readfirstlane_b32 s15, v1
	s_mul_i32 s16, s8, s14
	s_mul_hi_u32 s18, s8, s15
	s_mul_i32 s17, s11, s15
	s_add_i32 s16, s18, s16
	s_add_i32 s16, s16, s17
	s_mul_i32 s19, s8, s15
	s_mul_hi_u32 s17, s15, s16
	s_mul_i32 s18, s15, s16
	s_mul_hi_u32 s15, s15, s19
	s_add_u32 s15, s15, s18
	s_addc_u32 s17, 0, s17
	s_mul_hi_u32 s21, s14, s19
	s_mul_i32 s19, s14, s19
	s_add_u32 s15, s15, s19
	s_mul_hi_u32 s18, s14, s16
	s_addc_u32 s15, s17, s21
	s_addc_u32 s17, s18, 0
	s_mul_i32 s16, s14, s16
	s_add_u32 s15, s15, s16
	s_addc_u32 s16, 0, s17
	v_add_co_u32_e32 v1, vcc, s15, v1
	s_cmp_lg_u64 vcc, 0
	s_addc_u32 s14, s14, s16
	v_readfirstlane_b32 s16, v1
	s_mul_i32 s15, s8, s14
	s_mul_hi_u32 s17, s8, s16
	s_add_i32 s15, s17, s15
	s_mul_i32 s11, s11, s16
	s_add_i32 s15, s15, s11
	s_mul_i32 s8, s8, s16
	s_mul_hi_u32 s17, s14, s8
	s_mul_i32 s18, s14, s8
	s_mul_i32 s21, s16, s15
	s_mul_hi_u32 s8, s16, s8
	s_mul_hi_u32 s19, s16, s15
	s_add_u32 s8, s8, s21
	s_addc_u32 s16, 0, s19
	s_add_u32 s8, s8, s18
	s_mul_hi_u32 s11, s14, s15
	s_addc_u32 s8, s16, s17
	s_addc_u32 s11, s11, 0
	s_mul_i32 s15, s14, s15
	s_add_u32 s8, s8, s15
	s_addc_u32 s11, 0, s11
	v_add_co_u32_e32 v1, vcc, s8, v1
	s_cmp_lg_u64 vcc, 0
	s_addc_u32 s11, s14, s11
	s_ashr_i32 s14, s9, 31
	s_add_u32 s8, s10, s14
	s_mov_b32 s15, s14
	s_addc_u32 s9, s9, s14
	s_xor_b64 s[8:9], s[8:9], s[14:15]
	v_readfirstlane_b32 s18, v1
	s_mul_i32 s17, s8, s11
	s_mul_hi_u32 s19, s8, s18
	s_mul_hi_u32 s16, s8, s11
	s_add_u32 s17, s19, s17
	s_addc_u32 s16, 0, s16
	s_mul_hi_u32 s21, s9, s18
	s_mul_i32 s18, s9, s18
	s_add_u32 s17, s17, s18
	s_mul_hi_u32 s19, s9, s11
	s_addc_u32 s16, s16, s21
	s_addc_u32 s17, s19, 0
	s_mul_i32 s11, s9, s11
	s_add_u32 s11, s16, s11
	s_addc_u32 s16, 0, s17
	s_add_u32 s17, s11, 1
	s_addc_u32 s18, s16, 0
	s_add_u32 s19, s11, 2
	s_mul_i32 s22, s13, s16
	s_mul_hi_u32 s23, s13, s11
	s_addc_u32 s21, s16, 0
	s_add_i32 s23, s23, s22
	s_mul_i32 s22, s13, s11
	v_mov_b32_e32 v1, s22
	v_sub_co_u32_e32 v1, vcc, s8, v1
	s_cmp_lg_u64 vcc, 0
	s_subb_u32 s8, s9, s23
	v_subrev_co_u32_e32 v4, vcc, s13, v1
	s_cmp_lg_u64 vcc, 0
	s_subb_u32 s9, s8, 0
	v_readfirstlane_b32 s22, v4
	s_cmp_ge_u32 s22, s13
	s_cselect_b32 s22, -1, 0
	s_cmp_eq_u32 s9, 0
	s_cselect_b32 s9, s22, -1
	s_cmp_lg_u32 s9, 0
	s_cselect_b32 s9, s21, s18
	v_readfirstlane_b32 s18, v1
	s_cselect_b32 s17, s19, s17
	s_cmp_ge_u32 s18, s13
	s_cselect_b32 s18, -1, 0
	s_cmp_eq_u32 s8, 0
	s_cselect_b32 s8, s18, -1
	s_cmp_lg_u32 s8, 0
	s_cselect_b32 s9, s9, s16
	s_cselect_b32 s8, s17, s11
	s_xor_b64 s[8:9], s[8:9], s[14:15]
	s_sub_u32 s8, s8, s14
	s_subb_u32 s9, s9, s14
	s_cbranch_execnz .LBB135_5
.LBB135_4:
	v_cvt_f32_u32_e32 v1, s13
	s_sub_i32 s2, 0, s13
	s_mov_b32 s9, 0
	v_rcp_iflag_f32_e32 v1, v1
	v_mul_f32_e32 v1, 0x4f7ffffe, v1
	v_cvt_u32_f32_e32 v1, v1
	v_readfirstlane_b32 s3, v1
	s_mul_i32 s2, s2, s3
	s_mul_hi_u32 s2, s3, s2
	s_add_i32 s3, s3, s2
	s_mul_hi_u32 s2, s10, s3
	s_mul_i32 s8, s2, s13
	s_sub_i32 s8, s10, s8
	s_add_i32 s3, s2, 1
	s_sub_i32 s10, s8, s13
	s_cmp_ge_u32 s8, s13
	s_cselect_b32 s2, s3, s2
	s_cselect_b32 s8, s10, s8
	s_add_i32 s3, s2, 1
	s_cmp_ge_u32 s8, s13
	s_cselect_b32 s8, s3, s2
.LBB135_5:
	v_mov_b32_e32 v1, 0
	v_mov_b32_e32 v4, s6
	v_mad_u64_u32 v[16:17], s[2:3], s7, v4, v[0:1]
	s_add_u32 s2, s8, 1
	s_addc_u32 s3, s9, 0
	s_mul_hi_u32 s8, s20, s7
	s_mul_i32 s3, s12, s3
	s_mul_hi_u32 s9, s12, s2
	s_add_i32 s3, s9, s3
	s_mul_i32 s8, s8, s2
	s_add_i32 s3, s3, s8
	s_mul_i32 s2, s12, s2
	s_lshl_b64 s[2:3], s[2:3], 2
	v_cmp_gt_i64_e32 vcc, s[2:3], v[16:17]
	s_and_saveexec_b64 s[8:9], vcc
	s_cbranch_execz .LBB135_26
; %bb.6:
	s_load_dwordx2 s[8:9], s[4:5], 0x30
	s_load_dword s23, s[4:5], 0x38
	s_load_dwordx2 s[10:11], s[4:5], 0x40
	s_mov_b32 s4, 0x5384540f
	v_mov_b32_e32 v4, v15
	v_add_co_u32_e32 v22, vcc, s4, v14
	s_mov_b32 s4, 0x646e171e
	v_add_co_u32_e32 v23, vcc, s4, v4
	s_mov_b32 s4, 0x1715609d
	;; [unrolled: 2-line block ×6, first 2 shown]
	v_alignbit_b32 v29, v3, v2, 2
	s_mov_b32 s15, 0xd2511f53
	v_add_co_u32_e32 v28, vcc, s4, v14
	v_mad_u64_u32 v[6:7], s[4:5], v29, s15, 0
	v_xor_b32_e32 v1, v7, v15
	v_xor_b32_e32 v1, v1, v17
	s_mov_b32 s16, 0xcd9e8d57
	v_mad_u64_u32 v[8:9], s[4:5], v1, s16, 0
	v_xor_b32_e32 v1, v28, v9
	v_mad_u64_u32 v[10:11], s[4:5], v16, s16, 0
	v_and_b32_e32 v18, 3, v2
	v_xor_b32_e32 v1, v1, v10
	v_xor_b32_e32 v2, v14, v11
	v_lshrrev_b32_e32 v30, 2, v3
	v_mad_u64_u32 v[12:13], s[4:5], v1, s15, 0
	v_xor_b32_e32 v2, v2, v30
	v_xor_b32_e32 v1, v27, v13
	v_mad_u64_u32 v[2:3], s[4:5], v2, s15, 0
	v_xor_b32_e32 v1, v1, v2
	v_mad_u64_u32 v[10:11], s[4:5], v1, s16, 0
	s_mov_b32 s4, 0xbb67ae85
	v_add_co_u32_e32 v31, vcc, s4, v4
	v_xor_b32_e32 v2, v31, v3
	v_xor_b32_e32 v2, v2, v6
	v_xor_b32_e32 v1, v26, v11
	v_mad_u64_u32 v[2:3], s[4:5], v2, s16, 0
	v_xor_b32_e32 v1, v1, v2
	v_mad_u64_u32 v[6:7], s[4:5], v1, s15, 0
	s_mov_b32 s4, 0x3c6ef372
	v_add_co_u32_e32 v32, vcc, s4, v14
	v_xor_b32_e32 v2, v32, v3
	;; [unrolled: 8-line block ×6, first 2 shown]
	v_add_co_u32_e32 v21, vcc, 0xdb3d7428, v4
	v_xor_b32_e32 v2, v2, v8
	v_xor_b32_e32 v1, v21, v7
	v_mad_u64_u32 v[2:3], s[4:5], v2, s15, 0
	v_xor_b32_e32 v1, v1, v2
	v_mad_u64_u32 v[8:9], s[4:5], v1, s16, 0
	s_mov_b32 s4, 0x1fd5c5a3
	v_add_co_u32_e32 v37, vcc, s4, v4
	v_xor_b32_e32 v1, v37, v3
	v_xor_b32_e32 v1, v1, v12
	v_mad_u64_u32 v[2:3], s[4:5], v1, s16, 0
	s_mov_b32 s4, 0xf1bbcdc8
	v_add_u32_e32 v19, 0x8ff34781, v14
	v_xor_b32_e32 v1, v9, v2
	v_add_co_u32_e32 v38, vcc, s4, v14
	v_xor_b32_e32 v2, v19, v1
	v_xor_b32_e32 v1, v38, v3
	;; [unrolled: 1-line block ×3, first 2 shown]
	v_mad_u64_u32 v[10:11], s[4:5], v1, s15, 0
	v_add_u32_e32 v20, 0x96a522ad, v15
	v_xor_b32_e32 v1, v11, v6
	s_mul_i32 s4, s6, s7
	v_xor_b32_e32 v4, v20, v1
	v_add_u32_e32 v1, s4, v0
	s_waitcnt lgkmcnt(0)
	s_mul_i32 s4, s20, s23
	s_mul_i32 s4, s4, s7
	s_lshl_b32 s22, s4, 2
	s_mul_i32 s4, s20, 3
	s_add_i32 s4, s6, s4
	s_mul_i32 s4, s4, s7
	v_mul_lo_u32 v40, s23, v1
	v_add_u32_e32 v1, s4, v0
	s_lshl_b32 s4, s20, 1
	s_add_i32 s4, s6, s4
	s_mul_i32 s4, s4, s7
	v_mul_lo_u32 v41, s23, v1
	v_add_u32_e32 v1, s4, v0
	s_add_i32 s4, s6, s20
	s_mul_i32 s4, s4, s7
	s_mov_b32 s14, 0
	v_add_u32_e32 v0, s4, v0
	v_mov_b32_e32 v3, v8
	v_mov_b32_e32 v5, v10
	v_cvt_f32_f64_e32 v39, s[10:11]
	s_lshl_b32 s17, s12, 1
	s_mov_b32 s18, s14
	s_mul_i32 s19, s12, 3
	s_mov_b32 s21, s14
	v_mul_lo_u32 v42, s23, v1
	v_mul_lo_u32 v43, s23, v0
	s_mov_b64 s[4:5], 0
	s_mov_b32 s20, s14
	v_mov_b32_e32 v44, v16
	v_mov_b32_e32 v45, v17
	s_branch .LBB135_8
.LBB135_7:                              ;   in Loop: Header=BB135_8 Depth=1
	s_or_b64 exec, exec, s[6:7]
	v_add_co_u32_e32 v16, vcc, s13, v16
	v_addc_co_u32_e32 v17, vcc, 0, v17, vcc
	v_mov_b32_e32 v9, v0
	s_add_i32 s20, s20, s22
	v_cmp_le_i64_e32 vcc, s[2:3], v[16:17]
	v_pk_mov_b32 v[2:3], v[6:7], v[6:7] op_sel:[0,1]
	s_or_b64 s[4:5], vcc, s[4:5]
	v_pk_mov_b32 v[4:5], v[8:9], v[8:9] op_sel:[0,1]
	s_barrier
	s_andn2_b64 exec, exec, s[4:5]
	s_cbranch_execz .LBB135_26
.LBB135_8:                              ; =>This Inner Loop Header: Depth=1
	v_add_co_u32_e32 v29, vcc, 1, v29
	v_cndmask_b32_e64 v0, 0, 1, vcc
	v_addc_co_u32_e32 v30, vcc, 0, v30, vcc
	v_cmp_eq_u32_e32 vcc, 0, v30
	v_cndmask_b32_e32 v0, 0, v0, vcc
	v_add_u32_e32 v44, v0, v44
	v_cmp_eq_u32_e32 vcc, 0, v44
	v_cndmask_b32_e32 v0, 0, v0, vcc
	v_add_u32_e32 v45, v0, v45
	v_mad_u64_u32 v[0:1], s[6:7], v29, s15, 0
	v_mad_u64_u32 v[6:7], s[6:7], v44, s16, 0
	v_xor_b32_e32 v1, v1, v15
	v_xor_b32_e32 v7, v7, v14
	v_xor_b32_e32 v1, v45, v1
	v_xor_b32_e32 v7, v30, v7
	v_mad_u64_u32 v[10:11], s[6:7], v1, s16, 0
	v_mad_u64_u32 v[8:9], s[6:7], v7, s15, 0
	v_xor_b32_e32 v1, v28, v11
	v_xor_b32_e32 v1, v1, v6
	v_xor_b32_e32 v6, v31, v9
	v_xor_b32_e32 v6, v6, v0
	;; [unrolled: 6-line block ×10, first 2 shown]
	v_mov_b32_e32 v7, v12
	v_mov_b32_e32 v8, v13
	v_cmp_lt_i32_e32 vcc, 1, v18
	s_and_saveexec_b64 s[6:7], vcc
	s_xor_b64 s[6:7], exec, s[6:7]
	s_cbranch_execnz .LBB135_18
; %bb.9:                                ;   in Loop: Header=BB135_8 Depth=1
	s_andn2_saveexec_b64 s[6:7], s[6:7]
	s_cbranch_execnz .LBB135_23
.LBB135_10:                             ;   in Loop: Header=BB135_8 Depth=1
	s_or_b64 exec, exec, s[6:7]
	v_cmp_gt_i64_e32 vcc, s[0:1], v[16:17]
	s_and_saveexec_b64 s[6:7], vcc
	s_cbranch_execz .LBB135_12
.LBB135_11:                             ;   in Loop: Header=BB135_8 Depth=1
	v_cvt_f32_u32_e32 v1, v2
	v_mov_b32_e32 v2, 0x2f800000
	v_add_u32_e32 v9, s20, v40
	v_ashrrev_i32_e32 v11, 31, v9
	v_fmac_f32_e32 v2, 0x2f800000, v1
	v_mov_b32_e32 v1, s9
	v_add_co_u32_e32 v10, vcc, s8, v9
	v_addc_co_u32_e32 v11, vcc, v1, v11, vcc
	v_cmp_lt_f32_e32 vcc, v2, v39
	v_cndmask_b32_e64 v12, 0, 1, vcc
	v_mov_b32_e32 v13, s14
	global_store_dwordx2 v[10:11], v[12:13], off
.LBB135_12:                             ;   in Loop: Header=BB135_8 Depth=1
	s_or_b64 exec, exec, s[6:7]
	v_mov_b32_e32 v1, s14
	v_add_co_u32_e32 v10, vcc, s12, v16
	v_addc_co_u32_e32 v11, vcc, v1, v17, vcc
	v_cmp_gt_i64_e32 vcc, s[0:1], v[10:11]
	s_and_saveexec_b64 s[6:7], vcc
	s_cbranch_execz .LBB135_14
; %bb.13:                               ;   in Loop: Header=BB135_8 Depth=1
	v_cvt_f32_u32_e32 v1, v3
	v_mov_b32_e32 v9, 0x2f800000
	v_add_u32_e32 v2, s20, v43
	v_ashrrev_i32_e32 v3, 31, v2
	v_fmac_f32_e32 v9, 0x2f800000, v1
	v_mov_b32_e32 v1, s9
	v_add_co_u32_e32 v2, vcc, s8, v2
	v_addc_co_u32_e32 v3, vcc, v1, v3, vcc
	v_cmp_lt_f32_e32 vcc, v9, v39
	v_cndmask_b32_e64 v10, 0, 1, vcc
	v_mov_b32_e32 v11, s14
	global_store_dwordx2 v[2:3], v[10:11], off
.LBB135_14:                             ;   in Loop: Header=BB135_8 Depth=1
	s_or_b64 exec, exec, s[6:7]
	v_mov_b32_e32 v1, s18
	v_add_co_u32_e32 v2, vcc, s17, v16
	v_addc_co_u32_e32 v3, vcc, v1, v17, vcc
	v_cmp_gt_i64_e32 vcc, s[0:1], v[2:3]
	s_and_saveexec_b64 s[6:7], vcc
	s_cbranch_execz .LBB135_16
; %bb.15:                               ;   in Loop: Header=BB135_8 Depth=1
	v_cvt_f32_u32_e32 v1, v4
	v_mov_b32_e32 v4, 0x2f800000
	v_add_u32_e32 v2, s20, v42
	v_ashrrev_i32_e32 v3, 31, v2
	v_fmac_f32_e32 v4, 0x2f800000, v1
	v_mov_b32_e32 v1, s9
	v_add_co_u32_e32 v2, vcc, s8, v2
	v_addc_co_u32_e32 v3, vcc, v1, v3, vcc
	v_cmp_lt_f32_e32 vcc, v4, v39
	v_cndmask_b32_e64 v10, 0, 1, vcc
	v_mov_b32_e32 v11, s14
	global_store_dwordx2 v[2:3], v[10:11], off
.LBB135_16:                             ;   in Loop: Header=BB135_8 Depth=1
	s_or_b64 exec, exec, s[6:7]
	v_mov_b32_e32 v1, s21
	v_add_co_u32_e32 v2, vcc, s19, v16
	v_addc_co_u32_e32 v3, vcc, v1, v17, vcc
	v_cmp_gt_i64_e32 vcc, s[0:1], v[2:3]
	s_and_saveexec_b64 s[6:7], vcc
	s_cbranch_execz .LBB135_7
; %bb.17:                               ;   in Loop: Header=BB135_8 Depth=1
	v_cvt_f32_u32_e32 v1, v5
	v_mov_b32_e32 v4, 0x2f800000
	v_add_u32_e32 v2, s20, v41
	v_ashrrev_i32_e32 v3, 31, v2
	v_fmac_f32_e32 v4, 0x2f800000, v1
	v_mov_b32_e32 v1, s9
	v_add_co_u32_e32 v2, vcc, s8, v2
	v_addc_co_u32_e32 v3, vcc, v1, v3, vcc
	v_cmp_lt_f32_e32 vcc, v4, v39
	v_cndmask_b32_e64 v4, 0, 1, vcc
	v_mov_b32_e32 v5, s14
	global_store_dwordx2 v[2:3], v[4:5], off
	s_branch .LBB135_7
.LBB135_18:                             ;   in Loop: Header=BB135_8 Depth=1
	v_cmp_lt_i32_e32 vcc, 2, v18
	s_and_saveexec_b64 s[10:11], vcc
	s_xor_b64 s[10:11], exec, s[10:11]
; %bb.19:                               ;   in Loop: Header=BB135_8 Depth=1
	v_mov_b32_e32 v10, v5
	v_mov_b32_e32 v11, v6
	v_pk_mov_b32 v[2:3], v[10:11], v[10:11] op_sel:[0,1]
	v_pk_mov_b32 v[4:5], v[12:13], v[12:13] op_sel:[0,1]
                                        ; implicit-def: $vgpr12_vgpr13
; %bb.20:                               ;   in Loop: Header=BB135_8 Depth=1
	s_andn2_saveexec_b64 s[10:11], s[10:11]
; %bb.21:                               ;   in Loop: Header=BB135_8 Depth=1
	v_mov_b32_e32 v2, v4
	v_mov_b32_e32 v3, v5
	;; [unrolled: 1-line block ×4, first 2 shown]
; %bb.22:                               ;   in Loop: Header=BB135_8 Depth=1
	s_or_b64 exec, exec, s[10:11]
	s_andn2_saveexec_b64 s[6:7], s[6:7]
	s_cbranch_execz .LBB135_10
.LBB135_23:                             ;   in Loop: Header=BB135_8 Depth=1
	v_cmp_eq_u32_e32 vcc, 1, v18
	s_and_saveexec_b64 s[10:11], vcc
; %bb.24:                               ;   in Loop: Header=BB135_8 Depth=1
	v_mov_b32_e32 v2, v3
	v_mov_b32_e32 v3, v4
	;; [unrolled: 1-line block ×4, first 2 shown]
; %bb.25:                               ;   in Loop: Header=BB135_8 Depth=1
	s_or_b64 exec, exec, s[10:11]
	s_or_b64 exec, exec, s[6:7]
	v_cmp_gt_i64_e32 vcc, s[0:1], v[16:17]
	s_and_saveexec_b64 s[6:7], vcc
	s_cbranch_execnz .LBB135_11
	s_branch .LBB135_12
.LBB135_26:
	s_endpgm
.LBB135_27:
                                        ; implicit-def: $sgpr8_sgpr9
	s_andn2_b64 vcc, exec, s[2:3]
	s_cbranch_vccz .LBB135_4
	s_branch .LBB135_5
	.section	.rodata,"a",@progbits
	.p2align	6, 0x0
	.amdhsa_kernel _ZN2at6native12_GLOBAL__N_143distribution_elementwise_grid_stride_kernelIfLi4EZNS0_9templates4cuda21uniform_and_transformIlfPNS_17CUDAGeneratorImplEZZZNS4_16bernoulli_kernelIS7_EEvRNS_18TensorIteratorBaseEdT_ENKUlvE_clEvENKUlvE2_clEvEUlfE_EEvSA_T1_T2_EUlP25hiprandStatePhilox4_32_10E0_ZNS1_27distribution_nullary_kernelIlf15HIP_vector_typeIfLj4EES7_SJ_SE_EEvSA_SG_RKT3_T4_EUlifE_EEvlNS_15PhiloxCudaStateESF_SG_
		.amdhsa_group_segment_fixed_size 0
		.amdhsa_private_segment_fixed_size 0
		.amdhsa_kernarg_size 328
		.amdhsa_user_sgpr_count 6
		.amdhsa_user_sgpr_private_segment_buffer 1
		.amdhsa_user_sgpr_dispatch_ptr 0
		.amdhsa_user_sgpr_queue_ptr 0
		.amdhsa_user_sgpr_kernarg_segment_ptr 1
		.amdhsa_user_sgpr_dispatch_id 0
		.amdhsa_user_sgpr_flat_scratch_init 0
		.amdhsa_user_sgpr_kernarg_preload_length 0
		.amdhsa_user_sgpr_kernarg_preload_offset 0
		.amdhsa_user_sgpr_private_segment_size 0
		.amdhsa_uses_dynamic_stack 0
		.amdhsa_system_sgpr_private_segment_wavefront_offset 0
		.amdhsa_system_sgpr_workgroup_id_x 1
		.amdhsa_system_sgpr_workgroup_id_y 0
		.amdhsa_system_sgpr_workgroup_id_z 0
		.amdhsa_system_sgpr_workgroup_info 0
		.amdhsa_system_vgpr_workitem_id 0
		.amdhsa_next_free_vgpr 48
		.amdhsa_next_free_sgpr 24
		.amdhsa_accum_offset 48
		.amdhsa_reserve_vcc 1
		.amdhsa_reserve_flat_scratch 0
		.amdhsa_float_round_mode_32 0
		.amdhsa_float_round_mode_16_64 0
		.amdhsa_float_denorm_mode_32 3
		.amdhsa_float_denorm_mode_16_64 3
		.amdhsa_dx10_clamp 1
		.amdhsa_ieee_mode 1
		.amdhsa_fp16_overflow 0
		.amdhsa_tg_split 0
		.amdhsa_exception_fp_ieee_invalid_op 0
		.amdhsa_exception_fp_denorm_src 0
		.amdhsa_exception_fp_ieee_div_zero 0
		.amdhsa_exception_fp_ieee_overflow 0
		.amdhsa_exception_fp_ieee_underflow 0
		.amdhsa_exception_fp_ieee_inexact 0
		.amdhsa_exception_int_div_zero 0
	.end_amdhsa_kernel
	.section	.text._ZN2at6native12_GLOBAL__N_143distribution_elementwise_grid_stride_kernelIfLi4EZNS0_9templates4cuda21uniform_and_transformIlfPNS_17CUDAGeneratorImplEZZZNS4_16bernoulli_kernelIS7_EEvRNS_18TensorIteratorBaseEdT_ENKUlvE_clEvENKUlvE2_clEvEUlfE_EEvSA_T1_T2_EUlP25hiprandStatePhilox4_32_10E0_ZNS1_27distribution_nullary_kernelIlf15HIP_vector_typeIfLj4EES7_SJ_SE_EEvSA_SG_RKT3_T4_EUlifE_EEvlNS_15PhiloxCudaStateESF_SG_,"axG",@progbits,_ZN2at6native12_GLOBAL__N_143distribution_elementwise_grid_stride_kernelIfLi4EZNS0_9templates4cuda21uniform_and_transformIlfPNS_17CUDAGeneratorImplEZZZNS4_16bernoulli_kernelIS7_EEvRNS_18TensorIteratorBaseEdT_ENKUlvE_clEvENKUlvE2_clEvEUlfE_EEvSA_T1_T2_EUlP25hiprandStatePhilox4_32_10E0_ZNS1_27distribution_nullary_kernelIlf15HIP_vector_typeIfLj4EES7_SJ_SE_EEvSA_SG_RKT3_T4_EUlifE_EEvlNS_15PhiloxCudaStateESF_SG_,comdat
.Lfunc_end135:
	.size	_ZN2at6native12_GLOBAL__N_143distribution_elementwise_grid_stride_kernelIfLi4EZNS0_9templates4cuda21uniform_and_transformIlfPNS_17CUDAGeneratorImplEZZZNS4_16bernoulli_kernelIS7_EEvRNS_18TensorIteratorBaseEdT_ENKUlvE_clEvENKUlvE2_clEvEUlfE_EEvSA_T1_T2_EUlP25hiprandStatePhilox4_32_10E0_ZNS1_27distribution_nullary_kernelIlf15HIP_vector_typeIfLj4EES7_SJ_SE_EEvSA_SG_RKT3_T4_EUlifE_EEvlNS_15PhiloxCudaStateESF_SG_, .Lfunc_end135-_ZN2at6native12_GLOBAL__N_143distribution_elementwise_grid_stride_kernelIfLi4EZNS0_9templates4cuda21uniform_and_transformIlfPNS_17CUDAGeneratorImplEZZZNS4_16bernoulli_kernelIS7_EEvRNS_18TensorIteratorBaseEdT_ENKUlvE_clEvENKUlvE2_clEvEUlfE_EEvSA_T1_T2_EUlP25hiprandStatePhilox4_32_10E0_ZNS1_27distribution_nullary_kernelIlf15HIP_vector_typeIfLj4EES7_SJ_SE_EEvSA_SG_RKT3_T4_EUlifE_EEvlNS_15PhiloxCudaStateESF_SG_
                                        ; -- End function
	.section	.AMDGPU.csdata,"",@progbits
; Kernel info:
; codeLenInByte = 2492
; NumSgprs: 28
; NumVgprs: 48
; NumAgprs: 0
; TotalNumVgprs: 48
; ScratchSize: 0
; MemoryBound: 0
; FloatMode: 240
; IeeeMode: 1
; LDSByteSize: 0 bytes/workgroup (compile time only)
; SGPRBlocks: 3
; VGPRBlocks: 5
; NumSGPRsForWavesPerEU: 28
; NumVGPRsForWavesPerEU: 48
; AccumOffset: 48
; Occupancy: 8
; WaveLimiterHint : 0
; COMPUTE_PGM_RSRC2:SCRATCH_EN: 0
; COMPUTE_PGM_RSRC2:USER_SGPR: 6
; COMPUTE_PGM_RSRC2:TRAP_HANDLER: 0
; COMPUTE_PGM_RSRC2:TGID_X_EN: 1
; COMPUTE_PGM_RSRC2:TGID_Y_EN: 0
; COMPUTE_PGM_RSRC2:TGID_Z_EN: 0
; COMPUTE_PGM_RSRC2:TIDIG_COMP_CNT: 0
; COMPUTE_PGM_RSRC3_GFX90A:ACCUM_OFFSET: 11
; COMPUTE_PGM_RSRC3_GFX90A:TG_SPLIT: 0
	.section	.text._ZN2at6native12_GLOBAL__N_143distribution_elementwise_grid_stride_kernelIfLi4EZNS0_9templates4cuda21uniform_and_transformIlfPNS_17CUDAGeneratorImplEZZZNS4_16bernoulli_kernelIS7_EEvRNS_18TensorIteratorBaseEdT_ENKUlvE_clEvENKUlvE2_clEvEUlfE_EEvSA_T1_T2_EUlP25hiprandStatePhilox4_32_10E0_ZNS1_27distribution_nullary_kernelIlf15HIP_vector_typeIfLj4EES7_SJ_SE_EEvSA_SG_RKT3_T4_EUlifE0_EEvlNS_15PhiloxCudaStateESF_SG_,"axG",@progbits,_ZN2at6native12_GLOBAL__N_143distribution_elementwise_grid_stride_kernelIfLi4EZNS0_9templates4cuda21uniform_and_transformIlfPNS_17CUDAGeneratorImplEZZZNS4_16bernoulli_kernelIS7_EEvRNS_18TensorIteratorBaseEdT_ENKUlvE_clEvENKUlvE2_clEvEUlfE_EEvSA_T1_T2_EUlP25hiprandStatePhilox4_32_10E0_ZNS1_27distribution_nullary_kernelIlf15HIP_vector_typeIfLj4EES7_SJ_SE_EEvSA_SG_RKT3_T4_EUlifE0_EEvlNS_15PhiloxCudaStateESF_SG_,comdat
	.globl	_ZN2at6native12_GLOBAL__N_143distribution_elementwise_grid_stride_kernelIfLi4EZNS0_9templates4cuda21uniform_and_transformIlfPNS_17CUDAGeneratorImplEZZZNS4_16bernoulli_kernelIS7_EEvRNS_18TensorIteratorBaseEdT_ENKUlvE_clEvENKUlvE2_clEvEUlfE_EEvSA_T1_T2_EUlP25hiprandStatePhilox4_32_10E0_ZNS1_27distribution_nullary_kernelIlf15HIP_vector_typeIfLj4EES7_SJ_SE_EEvSA_SG_RKT3_T4_EUlifE0_EEvlNS_15PhiloxCudaStateESF_SG_ ; -- Begin function _ZN2at6native12_GLOBAL__N_143distribution_elementwise_grid_stride_kernelIfLi4EZNS0_9templates4cuda21uniform_and_transformIlfPNS_17CUDAGeneratorImplEZZZNS4_16bernoulli_kernelIS7_EEvRNS_18TensorIteratorBaseEdT_ENKUlvE_clEvENKUlvE2_clEvEUlfE_EEvSA_T1_T2_EUlP25hiprandStatePhilox4_32_10E0_ZNS1_27distribution_nullary_kernelIlf15HIP_vector_typeIfLj4EES7_SJ_SE_EEvSA_SG_RKT3_T4_EUlifE0_EEvlNS_15PhiloxCudaStateESF_SG_
	.p2align	8
	.type	_ZN2at6native12_GLOBAL__N_143distribution_elementwise_grid_stride_kernelIfLi4EZNS0_9templates4cuda21uniform_and_transformIlfPNS_17CUDAGeneratorImplEZZZNS4_16bernoulli_kernelIS7_EEvRNS_18TensorIteratorBaseEdT_ENKUlvE_clEvENKUlvE2_clEvEUlfE_EEvSA_T1_T2_EUlP25hiprandStatePhilox4_32_10E0_ZNS1_27distribution_nullary_kernelIlf15HIP_vector_typeIfLj4EES7_SJ_SE_EEvSA_SG_RKT3_T4_EUlifE0_EEvlNS_15PhiloxCudaStateESF_SG_,@function
_ZN2at6native12_GLOBAL__N_143distribution_elementwise_grid_stride_kernelIfLi4EZNS0_9templates4cuda21uniform_and_transformIlfPNS_17CUDAGeneratorImplEZZZNS4_16bernoulli_kernelIS7_EEvRNS_18TensorIteratorBaseEdT_ENKUlvE_clEvENKUlvE2_clEvEUlfE_EEvSA_T1_T2_EUlP25hiprandStatePhilox4_32_10E0_ZNS1_27distribution_nullary_kernelIlf15HIP_vector_typeIfLj4EES7_SJ_SE_EEvSA_SG_RKT3_T4_EUlifE0_EEvlNS_15PhiloxCudaStateESF_SG_: ; @_ZN2at6native12_GLOBAL__N_143distribution_elementwise_grid_stride_kernelIfLi4EZNS0_9templates4cuda21uniform_and_transformIlfPNS_17CUDAGeneratorImplEZZZNS4_16bernoulli_kernelIS7_EEvRNS_18TensorIteratorBaseEdT_ENKUlvE_clEvENKUlvE2_clEvEUlfE_EEvSA_T1_T2_EUlP25hiprandStatePhilox4_32_10E0_ZNS1_27distribution_nullary_kernelIlf15HIP_vector_typeIfLj4EES7_SJ_SE_EEvSA_SG_RKT3_T4_EUlifE0_EEvlNS_15PhiloxCudaStateESF_SG_
; %bb.0:
	s_load_dword s2, s[4:5], 0x20
	s_load_dwordx2 s[0:1], s[4:5], 0x10
	s_load_dwordx4 s[24:27], s[4:5], 0x0
	s_waitcnt lgkmcnt(0)
	s_bitcmp0_b32 s2, 0
	s_mov_b32 s2, 0
	v_pk_mov_b32 v[2:3], s[0:1], s[0:1] op_sel:[0,1]
	v_pk_mov_b32 v[12:13], s[26:27], s[26:27] op_sel:[0,1]
	s_cbranch_scc1 .LBB136_2
; %bb.1:
	v_pk_mov_b32 v[2:3], s[0:1], s[0:1] op_sel:[0,1]
	flat_load_dwordx2 v[2:3], v[2:3]
	v_pk_mov_b32 v[4:5], s[26:27], s[26:27] op_sel:[0,1]
	flat_load_dwordx2 v[12:13], v[4:5]
	s_load_dwordx2 s[0:1], s[4:5], 0x18
	s_waitcnt lgkmcnt(0)
	v_mov_b32_e32 v1, s1
	s_waitcnt vmcnt(0)
	v_add_co_u32_e32 v2, vcc, s0, v2
	v_addc_co_u32_e32 v3, vcc, v3, v1, vcc
.LBB136_2:
	s_load_dword s0, s[4:5], 0x154
	s_load_dword s7, s[4:5], 0x148
	s_waitcnt lgkmcnt(0)
	s_and_b32 s8, s0, 0xffff
	s_add_u32 s9, s24, -1
	s_mul_i32 s33, s7, s8
	s_addc_u32 s3, s25, -1
	s_lshl_b32 s58, s33, 2
	s_cmp_lg_u64 s[2:3], 0
	s_mov_b64 s[0:1], -1
	s_cbranch_scc0 .LBB136_83
; %bb.3:
	v_cvt_f32_u32_e32 v1, s58
	v_cvt_f32_ubyte0_e32 v4, 0
	s_sub_u32 s2, 0, s58
	s_subb_u32 s10, 0, 0
	v_madmk_f32 v1, v4, 0x4f800000, v1
	v_rcp_f32_e32 v1, v1
	v_mul_f32_e32 v1, 0x5f7ffffc, v1
	v_mul_f32_e32 v4, 0x2f800000, v1
	v_trunc_f32_e32 v4, v4
	v_madmk_f32 v1, v4, 0xcf800000, v1
	v_cvt_u32_f32_e32 v4, v4
	v_cvt_u32_f32_e32 v1, v1
	v_readfirstlane_b32 s11, v4
	v_readfirstlane_b32 s12, v1
	s_mul_i32 s13, s2, s11
	s_mul_hi_u32 s15, s2, s12
	s_mul_i32 s14, s10, s12
	s_add_i32 s13, s15, s13
	s_add_i32 s13, s13, s14
	s_mul_i32 s16, s2, s12
	s_mul_hi_u32 s14, s12, s13
	s_mul_i32 s15, s12, s13
	s_mul_hi_u32 s12, s12, s16
	s_add_u32 s12, s12, s15
	s_addc_u32 s14, 0, s14
	s_mul_hi_u32 s17, s11, s16
	s_mul_i32 s16, s11, s16
	s_add_u32 s12, s12, s16
	s_mul_hi_u32 s15, s11, s13
	s_addc_u32 s12, s14, s17
	s_addc_u32 s14, s15, 0
	s_mul_i32 s13, s11, s13
	s_add_u32 s12, s12, s13
	s_addc_u32 s13, 0, s14
	v_add_co_u32_e32 v1, vcc, s12, v1
	s_cmp_lg_u64 vcc, 0
	s_addc_u32 s11, s11, s13
	v_readfirstlane_b32 s13, v1
	s_mul_i32 s12, s2, s11
	s_mul_hi_u32 s14, s2, s13
	s_add_i32 s12, s14, s12
	s_mul_i32 s10, s10, s13
	s_add_i32 s12, s12, s10
	s_mul_i32 s2, s2, s13
	s_mul_hi_u32 s14, s11, s2
	s_mul_i32 s15, s11, s2
	s_mul_i32 s17, s13, s12
	s_mul_hi_u32 s2, s13, s2
	s_mul_hi_u32 s16, s13, s12
	s_add_u32 s2, s2, s17
	s_addc_u32 s13, 0, s16
	s_add_u32 s2, s2, s15
	s_mul_hi_u32 s10, s11, s12
	s_addc_u32 s2, s13, s14
	s_addc_u32 s10, s10, 0
	s_mul_i32 s12, s11, s12
	s_add_u32 s2, s2, s12
	s_addc_u32 s10, 0, s10
	v_add_co_u32_e32 v1, vcc, s2, v1
	s_cmp_lg_u64 vcc, 0
	s_addc_u32 s12, s11, s10
	s_ashr_i32 s10, s3, 31
	s_add_u32 s2, s9, s10
	s_mov_b32 s11, s10
	s_addc_u32 s3, s3, s10
	s_xor_b64 s[2:3], s[2:3], s[10:11]
	v_readfirstlane_b32 s15, v1
	s_mul_i32 s14, s2, s12
	s_mul_hi_u32 s16, s2, s15
	s_mul_hi_u32 s13, s2, s12
	s_add_u32 s14, s16, s14
	s_addc_u32 s13, 0, s13
	s_mul_hi_u32 s17, s3, s15
	s_mul_i32 s15, s3, s15
	s_add_u32 s14, s14, s15
	s_mul_hi_u32 s16, s3, s12
	s_addc_u32 s13, s13, s17
	s_addc_u32 s14, s16, 0
	s_mul_i32 s12, s3, s12
	s_add_u32 s12, s13, s12
	s_addc_u32 s13, 0, s14
	s_add_u32 s14, s12, 1
	s_addc_u32 s15, s13, 0
	s_add_u32 s16, s12, 2
	s_mul_i32 s18, s58, s13
	s_mul_hi_u32 s19, s58, s12
	s_addc_u32 s17, s13, 0
	s_add_i32 s19, s19, s18
	s_mul_i32 s18, s58, s12
	v_mov_b32_e32 v1, s18
	v_sub_co_u32_e32 v1, vcc, s2, v1
	s_cmp_lg_u64 vcc, 0
	s_subb_u32 s2, s3, s19
	v_subrev_co_u32_e32 v4, vcc, s58, v1
	s_cmp_lg_u64 vcc, 0
	s_subb_u32 s3, s2, 0
	v_readfirstlane_b32 s18, v4
	s_cmp_ge_u32 s18, s58
	s_cselect_b32 s18, -1, 0
	s_cmp_eq_u32 s3, 0
	s_cselect_b32 s3, s18, -1
	s_cmp_lg_u32 s3, 0
	s_cselect_b32 s3, s17, s15
	v_readfirstlane_b32 s15, v1
	s_cselect_b32 s14, s16, s14
	s_cmp_ge_u32 s15, s58
	s_cselect_b32 s15, -1, 0
	s_cmp_eq_u32 s2, 0
	s_cselect_b32 s2, s15, -1
	s_cmp_lg_u32 s2, 0
	s_cselect_b32 s3, s3, s13
	s_cselect_b32 s2, s14, s12
	s_xor_b64 s[2:3], s[2:3], s[10:11]
	s_sub_u32 s2, s2, s10
	s_subb_u32 s3, s3, s10
	s_cbranch_execnz .LBB136_5
.LBB136_4:
	v_cvt_f32_u32_e32 v1, s58
	s_sub_i32 s0, 0, s58
	s_mov_b32 s3, 0
	v_rcp_iflag_f32_e32 v1, v1
	v_mul_f32_e32 v1, 0x4f7ffffe, v1
	v_cvt_u32_f32_e32 v1, v1
	v_readfirstlane_b32 s1, v1
	s_mul_i32 s0, s0, s1
	s_mul_hi_u32 s0, s1, s0
	s_add_i32 s1, s1, s0
	s_mul_hi_u32 s0, s9, s1
	s_mul_i32 s2, s0, s58
	s_sub_i32 s2, s9, s2
	s_add_i32 s1, s0, 1
	s_sub_i32 s9, s2, s58
	s_cmp_ge_u32 s2, s58
	s_cselect_b32 s0, s1, s0
	s_cselect_b32 s2, s9, s2
	s_add_i32 s1, s0, 1
	s_cmp_ge_u32 s2, s58
	s_cselect_b32 s2, s1, s0
.LBB136_5:
	v_mov_b32_e32 v1, 0
	v_mov_b32_e32 v4, s6
	v_mad_u64_u32 v[14:15], s[0:1], s8, v4, v[0:1]
	s_add_u32 s0, s2, 1
	s_addc_u32 s1, s3, 0
	s_mul_hi_u32 s2, s7, s8
	s_mul_i32 s1, s33, s1
	s_mul_hi_u32 s3, s33, s0
	s_add_i32 s1, s3, s1
	s_mul_i32 s2, s2, s0
	s_add_i32 s1, s1, s2
	s_mul_i32 s0, s33, s0
	s_lshl_b64 s[26:27], s[0:1], 2
	v_cmp_gt_i64_e32 vcc, s[26:27], v[14:15]
	s_and_saveexec_b64 s[0:1], vcc
	s_cbranch_execz .LBB136_82
; %bb.6:
	s_mov_b32 s0, 0x5384540f
	v_mov_b32_e32 v0, v13
	v_add_co_u32_e32 v22, vcc, s0, v12
	s_mov_b32 s0, 0x646e171e
	v_add_co_u32_e32 v23, vcc, s0, v0
	s_mov_b32 s0, 0x1715609d
	;; [unrolled: 2-line block ×6, first 2 shown]
	v_alignbit_b32 v29, v3, v2, 2
	s_mov_b32 s60, 0xd2511f53
	v_add_co_u32_e32 v28, vcc, s0, v12
	v_mad_u64_u32 v[4:5], s[0:1], v29, s60, 0
	v_xor_b32_e32 v1, v5, v13
	v_xor_b32_e32 v1, v1, v15
	s_mov_b32 s61, 0xcd9e8d57
	v_mad_u64_u32 v[6:7], s[0:1], v1, s61, 0
	v_xor_b32_e32 v1, v28, v7
	v_mad_u64_u32 v[8:9], s[0:1], v14, s61, 0
	v_and_b32_e32 v18, 3, v2
	v_xor_b32_e32 v1, v1, v8
	v_xor_b32_e32 v2, v12, v9
	v_lshrrev_b32_e32 v30, 2, v3
	v_mad_u64_u32 v[10:11], s[0:1], v1, s60, 0
	v_xor_b32_e32 v2, v2, v30
	v_xor_b32_e32 v1, v27, v11
	v_mad_u64_u32 v[2:3], s[0:1], v2, s60, 0
	v_xor_b32_e32 v1, v1, v2
	v_mad_u64_u32 v[8:9], s[0:1], v1, s61, 0
	s_mov_b32 s0, 0xbb67ae85
	v_add_co_u32_e32 v31, vcc, s0, v0
	v_xor_b32_e32 v2, v31, v3
	v_xor_b32_e32 v2, v2, v4
	v_xor_b32_e32 v1, v26, v9
	v_mad_u64_u32 v[2:3], s[0:1], v2, s61, 0
	v_xor_b32_e32 v1, v1, v2
	v_mad_u64_u32 v[4:5], s[0:1], v1, s60, 0
	s_mov_b32 s0, 0x3c6ef372
	v_add_co_u32_e32 v32, vcc, s0, v12
	v_xor_b32_e32 v2, v32, v3
	v_xor_b32_e32 v2, v2, v6
	v_xor_b32_e32 v1, v25, v5
	v_mad_u64_u32 v[2:3], s[0:1], v2, s60, 0
	v_xor_b32_e32 v1, v1, v2
	v_mad_u64_u32 v[6:7], s[0:1], v1, s61, 0
	s_mov_b32 s0, 0x32370b8f
	v_add_co_u32_e32 v33, vcc, s0, v0
	v_xor_b32_e32 v2, v33, v3
	v_xor_b32_e32 v2, v2, v10
	v_xor_b32_e32 v1, v24, v7
	v_mad_u64_u32 v[2:3], s[0:1], v2, s61, 0
	v_xor_b32_e32 v1, v1, v2
	v_mad_u64_u32 v[10:11], s[0:1], v1, s60, 0
	s_mov_b32 s0, 0x78dde6e4
	v_add_co_u32_e32 v34, vcc, s0, v12
	v_xor_b32_e32 v2, v34, v3
	v_xor_b32_e32 v2, v2, v8
	v_xor_b32_e32 v1, v23, v11
	v_mad_u64_u32 v[2:3], s[0:1], v2, s60, 0
	v_xor_b32_e32 v1, v1, v2
	v_mad_u64_u32 v[8:9], s[0:1], v1, s61, 0
	s_mov_b32 s0, 0xa9066899
	v_add_co_u32_e32 v35, vcc, s0, v0
	v_xor_b32_e32 v2, v35, v3
	v_xor_b32_e32 v2, v2, v4
	v_xor_b32_e32 v1, v22, v9
	v_mad_u64_u32 v[2:3], s[0:1], v2, s61, 0
	v_xor_b32_e32 v1, v1, v2
	v_mad_u64_u32 v[4:5], s[0:1], v1, s60, 0
	s_mov_b32 s0, 0xb54cda56
	v_add_co_u32_e32 v36, vcc, s0, v12
	v_xor_b32_e32 v2, v36, v3
	v_add_co_u32_e32 v21, vcc, 0xdb3d7428, v0
	v_xor_b32_e32 v2, v2, v6
	v_xor_b32_e32 v1, v21, v5
	v_mad_u64_u32 v[2:3], s[0:1], v2, s60, 0
	v_xor_b32_e32 v1, v1, v2
	v_mad_u64_u32 v[6:7], s[0:1], v1, s61, 0
	s_mov_b32 s0, 0x1fd5c5a3
	v_add_co_u32_e32 v37, vcc, s0, v0
	v_xor_b32_e32 v0, v37, v3
	v_xor_b32_e32 v0, v0, v10
	v_mad_u64_u32 v[0:1], s[0:1], v0, s61, 0
	s_mov_b32 s0, 0xf1bbcdc8
	s_load_dwordx8 s[8:15], s[4:5], 0x30
	v_add_co_u32_e32 v38, vcc, s0, v12
	v_xor_b32_e32 v1, v38, v1
	v_xor_b32_e32 v1, v1, v8
	s_add_u32 s34, s4, 48
	v_mad_u64_u32 v[8:9], s[0:1], v1, s60, 0
	s_addc_u32 s35, s5, 0
	s_waitcnt lgkmcnt(0)
	s_add_i32 s0, s8, -1
	s_cmp_gt_u32 s0, 1
	s_cselect_b64 s[40:41], -1, 0
	s_cmp_lg_u32 s8, 0
	s_cselect_b64 s[42:43], -1, 0
	s_add_u32 s44, s4, 0xf4
	s_addc_u32 s45, s5, 0
	s_load_dwordx2 s[46:47], s[4:5], 0xf4
	s_load_dwordx4 s[28:31], s[4:5], 0x138
	s_min_u32 s1, s0, 15
	s_cmp_gt_u32 s8, 1
	s_cselect_b64 s[48:49], -1, 0
	s_add_i32 s1, s1, 1
	s_mov_b32 s8, s13
	s_lshl_b32 s13, s33, 1
	s_and_b32 s64, s1, 3
	s_cmp_lg_u32 s0, 2
	s_waitcnt lgkmcnt(0)
	v_cvt_f32_f64_e32 v39, s[30:31]
	s_cselect_b64 s[30:31], -1, 0
	s_and_b32 s65, s1, 28
	s_mov_b32 s59, 0
	v_add_u32_e32 v19, 0x8ff34781, v12
	v_add_u32_e32 v20, 0x96a522ad, v13
	v_xor_b32_e32 v0, v7, v0
	v_xor_b32_e32 v1, v9, v4
	s_cmp_lg_u32 s64, 0
	v_xor_b32_e32 v0, v19, v0
	v_xor_b32_e32 v2, v20, v1
	v_mov_b32_e32 v1, v6
	v_mov_b32_e32 v3, v8
	s_mov_b32 s15, s59
	s_mul_i32 s62, s33, 3
	s_mov_b32 s63, s59
	s_mov_b64 s[50:51], 0
	s_cselect_b64 s[52:53], -1, 0
	v_mov_b32_e32 v40, v14
	v_mov_b32_e32 v41, v15
	s_branch .LBB136_9
.LBB136_7:                              ;   in Loop: Header=BB136_9 Depth=1
	v_cvt_f32_u32_e32 v0, v3
	v_mov_b32_e32 v1, 0x2f800000
	v_fmac_f32_e32 v1, 0x2f800000, v0
	v_cmp_lt_f32_e32 vcc, v1, v39
	v_cndmask_b32_e64 v0, 0, 1, vcc
	v_mov_b32_e32 v1, s59
	global_store_dwordx2 v8, v[0:1], s[28:29]
.LBB136_8:                              ;   in Loop: Header=BB136_9 Depth=1
	s_or_b64 exec, exec, s[36:37]
	v_add_co_u32_e32 v14, vcc, s58, v14
	v_addc_co_u32_e32 v15, vcc, 0, v15, vcc
	v_mov_b32_e32 v7, v16
	v_cmp_le_i64_e32 vcc, s[26:27], v[14:15]
	v_pk_mov_b32 v[0:1], v[4:5], v[4:5] op_sel:[0,1]
	s_or_b64 s[50:51], vcc, s[50:51]
	v_pk_mov_b32 v[2:3], v[6:7], v[6:7] op_sel:[0,1]
	s_barrier
	s_andn2_b64 exec, exec, s[50:51]
	s_cbranch_execz .LBB136_82
.LBB136_9:                              ; =>This Loop Header: Depth=1
                                        ;     Child Loop BB136_24 Depth 2
                                        ;     Child Loop BB136_30 Depth 2
	;; [unrolled: 1-line block ×8, first 2 shown]
	v_add_co_u32_e32 v29, vcc, 1, v29
	v_cndmask_b32_e64 v4, 0, 1, vcc
	v_addc_co_u32_e32 v30, vcc, 0, v30, vcc
	v_cmp_eq_u32_e32 vcc, 0, v30
	v_cndmask_b32_e32 v4, 0, v4, vcc
	v_add_u32_e32 v40, v4, v40
	v_cmp_eq_u32_e32 vcc, 0, v40
	v_cndmask_b32_e32 v4, 0, v4, vcc
	v_add_u32_e32 v41, v4, v41
	v_mad_u64_u32 v[4:5], s[0:1], v29, s60, 0
	v_mad_u64_u32 v[6:7], s[0:1], v40, s61, 0
	v_xor_b32_e32 v5, v5, v13
	v_xor_b32_e32 v7, v7, v12
	v_xor_b32_e32 v5, v41, v5
	v_xor_b32_e32 v7, v30, v7
	v_mad_u64_u32 v[10:11], s[0:1], v5, s61, 0
	v_mad_u64_u32 v[8:9], s[0:1], v7, s60, 0
	v_xor_b32_e32 v5, v28, v11
	v_xor_b32_e32 v5, v5, v6
	v_xor_b32_e32 v6, v31, v9
	v_xor_b32_e32 v6, v6, v4
	;; [unrolled: 6-line block ×10, first 2 shown]
	v_mov_b32_e32 v5, v10
	v_mov_b32_e32 v6, v11
	v_cmp_lt_i32_e32 vcc, 1, v18
	s_and_saveexec_b64 s[0:1], vcc
	s_xor_b64 s[0:1], exec, s[0:1]
	s_cbranch_execz .LBB136_15
; %bb.10:                               ;   in Loop: Header=BB136_9 Depth=1
	v_cmp_lt_i32_e32 vcc, 2, v18
	s_and_saveexec_b64 s[2:3], vcc
	s_xor_b64 s[2:3], exec, s[2:3]
; %bb.11:                               ;   in Loop: Header=BB136_9 Depth=1
	v_mov_b32_e32 v8, v3
	v_mov_b32_e32 v9, v4
	v_pk_mov_b32 v[0:1], v[8:9], v[8:9] op_sel:[0,1]
	v_pk_mov_b32 v[2:3], v[10:11], v[10:11] op_sel:[0,1]
                                        ; implicit-def: $vgpr10_vgpr11
; %bb.12:                               ;   in Loop: Header=BB136_9 Depth=1
	s_andn2_saveexec_b64 s[2:3], s[2:3]
; %bb.13:                               ;   in Loop: Header=BB136_9 Depth=1
	v_mov_b32_e32 v0, v2
	v_mov_b32_e32 v1, v3
	;; [unrolled: 1-line block ×4, first 2 shown]
; %bb.14:                               ;   in Loop: Header=BB136_9 Depth=1
	s_or_b64 exec, exec, s[2:3]
.LBB136_15:                             ;   in Loop: Header=BB136_9 Depth=1
	s_andn2_saveexec_b64 s[0:1], s[0:1]
	s_cbranch_execz .LBB136_19
; %bb.16:                               ;   in Loop: Header=BB136_9 Depth=1
	v_cmp_eq_u32_e32 vcc, 1, v18
	s_and_saveexec_b64 s[2:3], vcc
; %bb.17:                               ;   in Loop: Header=BB136_9 Depth=1
	v_mov_b32_e32 v0, v1
	v_mov_b32_e32 v1, v2
	;; [unrolled: 1-line block ×4, first 2 shown]
; %bb.18:                               ;   in Loop: Header=BB136_9 Depth=1
	s_or_b64 exec, exec, s[2:3]
.LBB136_19:                             ;   in Loop: Header=BB136_9 Depth=1
	s_or_b64 exec, exec, s[0:1]
	v_cndmask_b32_e64 v7, 0, 1, s[40:41]
	v_cmp_gt_i64_e32 vcc, s[24:25], v[14:15]
	v_cmp_ne_u32_e64 s[0:1], 1, v7
	s_and_saveexec_b64 s[2:3], vcc
	s_cbranch_execz .LBB136_35
; %bb.20:                               ;   in Loop: Header=BB136_9 Depth=1
	s_and_b64 vcc, exec, s[0:1]
	s_cbranch_vccnz .LBB136_26
; %bb.21:                               ;   in Loop: Header=BB136_9 Depth=1
	s_andn2_b64 vcc, exec, s[42:43]
	s_cbranch_vccnz .LBB136_27
; %bb.22:                               ;   in Loop: Header=BB136_9 Depth=1
	s_mov_b32 s6, 0
	s_andn2_b64 vcc, exec, s[30:31]
	v_mov_b32_e32 v8, 0
	s_cbranch_vccnz .LBB136_28
; %bb.23:                               ;   in Loop: Header=BB136_9 Depth=1
	s_mov_b32 s66, 0
	v_mov_b32_e32 v8, 0
	s_mov_b64 s[54:55], s[34:35]
	s_mov_b64 s[56:57], s[44:45]
	v_mov_b32_e32 v7, v14
.LBB136_24:                             ;   Parent Loop BB136_9 Depth=1
                                        ; =>  This Inner Loop Header: Depth=2
	s_load_dwordx8 s[16:23], s[54:55], 0x4
	s_load_dwordx4 s[4:7], s[54:55], 0x24
	s_load_dwordx4 s[36:39], s[56:57], 0x0
	s_add_u32 s54, s54, 48
	s_addc_u32 s55, s55, 0
	s_waitcnt lgkmcnt(0)
	v_mul_hi_u32 v9, s17, v7
	v_add_u32_e32 v9, v7, v9
	v_lshrrev_b32_e32 v9, s18, v9
	v_mul_lo_u32 v10, v9, s16
	v_mul_hi_u32 v11, s20, v9
	v_sub_u32_e32 v7, v7, v10
	v_add_u32_e32 v10, v9, v11
	v_lshrrev_b32_e32 v10, s21, v10
	v_mul_lo_u32 v11, v10, s19
	v_mul_hi_u32 v17, s23, v10
	v_sub_u32_e32 v9, v9, v11
	v_add_u32_e32 v11, v10, v17
	v_mul_lo_u32 v7, v7, s36
	v_mul_lo_u32 v9, v9, s37
	v_lshrrev_b32_e32 v11, s4, v11
	v_add3_u32 v8, v7, v8, v9
	v_mul_lo_u32 v7, v11, s22
	v_mul_hi_u32 v9, s6, v11
	v_sub_u32_e32 v7, v10, v7
	v_add_u32_e32 v9, v11, v9
	v_mul_lo_u32 v10, v7, s38
	v_lshrrev_b32_e32 v7, s7, v9
	s_add_i32 s66, s66, 4
	v_mul_lo_u32 v9, v7, s5
	s_add_u32 s56, s56, 16
	v_sub_u32_e32 v9, v11, v9
	s_addc_u32 s57, s57, 0
	v_mul_lo_u32 v9, v9, s39
	s_cmp_lg_u32 s65, s66
	v_add3_u32 v8, v10, v8, v9
	s_cbranch_scc1 .LBB136_24
; %bb.25:                               ;   in Loop: Header=BB136_9 Depth=1
	s_mov_b32 s6, s65
	s_andn2_b64 vcc, exec, s[52:53]
	s_cbranch_vccz .LBB136_29
	s_branch .LBB136_31
.LBB136_26:                             ;   in Loop: Header=BB136_9 Depth=1
                                        ; implicit-def: $vgpr8
	s_branch .LBB136_32
.LBB136_27:                             ;   in Loop: Header=BB136_9 Depth=1
	v_mov_b32_e32 v8, 0
	s_branch .LBB136_31
.LBB136_28:                             ;   in Loop: Header=BB136_9 Depth=1
	v_mov_b32_e32 v7, v14
	s_andn2_b64 vcc, exec, s[52:53]
	s_cbranch_vccnz .LBB136_31
.LBB136_29:                             ;   in Loop: Header=BB136_9 Depth=1
	s_lshl_b32 s4, s6, 2
	s_add_u32 s4, s44, s4
	s_addc_u32 s5, s45, 0
	s_mul_i32 s6, s6, 12
	s_add_u32 s6, s34, s6
	s_addc_u32 s7, s35, 0
	s_mov_b32 s16, s64
.LBB136_30:                             ;   Parent Loop BB136_9 Depth=1
                                        ; =>  This Inner Loop Header: Depth=2
	s_load_dwordx2 s[18:19], s[6:7], 0x4
	s_load_dword s17, s[6:7], 0xc
	s_load_dword s20, s[4:5], 0x0
	s_add_u32 s6, s6, 12
	s_addc_u32 s7, s7, 0
	s_waitcnt lgkmcnt(0)
	v_mul_hi_u32 v9, s19, v7
	v_add_u32_e32 v9, v7, v9
	v_lshrrev_b32_e32 v9, s17, v9
	s_add_u32 s4, s4, 4
	v_mul_lo_u32 v10, v9, s18
	s_addc_u32 s5, s5, 0
	s_add_i32 s16, s16, -1
	v_sub_u32_e32 v10, v7, v10
	s_cmp_lg_u32 s16, 0
	v_mov_b32_e32 v7, v9
	v_mad_u64_u32 v[8:9], s[18:19], v10, s20, v[8:9]
	s_cbranch_scc1 .LBB136_30
.LBB136_31:                             ;   in Loop: Header=BB136_9 Depth=1
	s_cbranch_execnz .LBB136_34
.LBB136_32:                             ;   in Loop: Header=BB136_9 Depth=1
	v_mul_hi_u32 v7, v14, s10
	v_add_u32_e32 v7, v7, v14
	v_lshrrev_b32_e32 v7, s11, v7
	v_mul_lo_u32 v8, v7, s9
	v_sub_u32_e32 v8, v14, v8
	s_andn2_b64 vcc, exec, s[48:49]
	v_mul_lo_u32 v8, v8, s46
	s_cbranch_vccnz .LBB136_34
; %bb.33:                               ;   in Loop: Header=BB136_9 Depth=1
	v_mul_hi_u32 v9, s8, v7
	v_add_u32_e32 v9, v7, v9
	v_lshrrev_b32_e32 v9, s14, v9
	v_mul_lo_u32 v9, v9, s12
	v_sub_u32_e32 v7, v7, v9
	v_mad_u64_u32 v[8:9], s[4:5], v7, s47, v[8:9]
.LBB136_34:                             ;   in Loop: Header=BB136_9 Depth=1
	v_cvt_f32_u32_e32 v0, v0
	v_mov_b32_e32 v7, 0x2f800000
	v_mov_b32_e32 v11, s59
	v_fmac_f32_e32 v7, 0x2f800000, v0
	v_cmp_lt_f32_e32 vcc, v7, v39
	v_cndmask_b32_e64 v10, 0, 1, vcc
	global_store_dwordx2 v8, v[10:11], s[28:29]
.LBB136_35:                             ;   in Loop: Header=BB136_9 Depth=1
	s_or_b64 exec, exec, s[2:3]
	v_mov_b32_e32 v0, s59
	v_add_co_u32_e32 v8, vcc, s33, v14
	v_addc_co_u32_e32 v9, vcc, v15, v0, vcc
	v_cmp_gt_i64_e32 vcc, s[24:25], v[8:9]
	s_and_saveexec_b64 s[2:3], vcc
	s_cbranch_execz .LBB136_51
; %bb.36:                               ;   in Loop: Header=BB136_9 Depth=1
	s_and_b64 vcc, exec, s[0:1]
	s_cbranch_vccnz .LBB136_42
; %bb.37:                               ;   in Loop: Header=BB136_9 Depth=1
	s_andn2_b64 vcc, exec, s[42:43]
	s_cbranch_vccnz .LBB136_43
; %bb.38:                               ;   in Loop: Header=BB136_9 Depth=1
	s_mov_b32 s6, 0
	s_andn2_b64 vcc, exec, s[30:31]
	v_mov_b32_e32 v10, 0
	s_cbranch_vccnz .LBB136_44
; %bb.39:                               ;   in Loop: Header=BB136_9 Depth=1
	s_mov_b32 s66, 0
	v_mov_b32_e32 v10, 0
	s_mov_b64 s[54:55], s[34:35]
	s_mov_b64 s[56:57], s[44:45]
	v_mov_b32_e32 v0, v8
.LBB136_40:                             ;   Parent Loop BB136_9 Depth=1
                                        ; =>  This Inner Loop Header: Depth=2
	s_load_dwordx8 s[16:23], s[54:55], 0x4
	s_load_dwordx4 s[4:7], s[54:55], 0x24
	s_load_dwordx4 s[36:39], s[56:57], 0x0
	s_add_u32 s54, s54, 48
	s_addc_u32 s55, s55, 0
	s_waitcnt lgkmcnt(0)
	v_mul_hi_u32 v7, s17, v0
	v_add_u32_e32 v7, v0, v7
	v_lshrrev_b32_e32 v7, s18, v7
	v_mul_lo_u32 v9, v7, s16
	v_mul_hi_u32 v11, s20, v7
	v_sub_u32_e32 v0, v0, v9
	v_add_u32_e32 v9, v7, v11
	v_lshrrev_b32_e32 v9, s21, v9
	v_mul_lo_u32 v11, v9, s19
	v_mul_hi_u32 v17, s23, v9
	v_sub_u32_e32 v7, v7, v11
	v_add_u32_e32 v11, v9, v17
	v_mul_lo_u32 v0, v0, s36
	v_mul_lo_u32 v7, v7, s37
	v_lshrrev_b32_e32 v11, s4, v11
	v_add3_u32 v7, v0, v10, v7
	v_mul_lo_u32 v0, v11, s22
	v_mul_hi_u32 v10, s6, v11
	v_sub_u32_e32 v0, v9, v0
	v_add_u32_e32 v9, v11, v10
	v_mul_lo_u32 v10, v0, s38
	v_lshrrev_b32_e32 v0, s7, v9
	s_add_i32 s66, s66, 4
	v_mul_lo_u32 v9, v0, s5
	s_add_u32 s56, s56, 16
	v_sub_u32_e32 v9, v11, v9
	s_addc_u32 s57, s57, 0
	v_mul_lo_u32 v9, v9, s39
	s_cmp_eq_u32 s65, s66
	v_add3_u32 v10, v10, v7, v9
	s_cbranch_scc0 .LBB136_40
; %bb.41:                               ;   in Loop: Header=BB136_9 Depth=1
	s_mov_b32 s6, s65
	s_andn2_b64 vcc, exec, s[52:53]
	s_cbranch_vccz .LBB136_45
	s_branch .LBB136_47
.LBB136_42:                             ;   in Loop: Header=BB136_9 Depth=1
                                        ; implicit-def: $vgpr10
	s_branch .LBB136_48
.LBB136_43:                             ;   in Loop: Header=BB136_9 Depth=1
	v_mov_b32_e32 v10, 0
	s_branch .LBB136_47
.LBB136_44:                             ;   in Loop: Header=BB136_9 Depth=1
	v_mov_b32_e32 v0, v8
	s_andn2_b64 vcc, exec, s[52:53]
	s_cbranch_vccnz .LBB136_47
.LBB136_45:                             ;   in Loop: Header=BB136_9 Depth=1
	s_lshl_b32 s4, s6, 2
	s_add_u32 s4, s44, s4
	s_addc_u32 s5, s45, 0
	s_mul_i32 s6, s6, 12
	s_add_u32 s6, s34, s6
	s_addc_u32 s7, s35, 0
	s_mov_b32 s16, s64
.LBB136_46:                             ;   Parent Loop BB136_9 Depth=1
                                        ; =>  This Inner Loop Header: Depth=2
	s_load_dwordx2 s[18:19], s[6:7], 0x4
	s_load_dword s17, s[6:7], 0xc
	s_load_dword s20, s[4:5], 0x0
	s_add_u32 s6, s6, 12
	s_addc_u32 s7, s7, 0
	s_waitcnt lgkmcnt(0)
	v_mul_hi_u32 v7, s19, v0
	v_add_u32_e32 v7, v0, v7
	v_lshrrev_b32_e32 v7, s17, v7
	s_add_u32 s4, s4, 4
	v_mul_lo_u32 v9, v7, s18
	s_addc_u32 s5, s5, 0
	s_add_i32 s16, s16, -1
	v_sub_u32_e32 v9, v0, v9
	s_cmp_lg_u32 s16, 0
	v_mov_b32_e32 v0, v7
	v_mad_u64_u32 v[10:11], s[18:19], v9, s20, v[10:11]
	s_cbranch_scc1 .LBB136_46
.LBB136_47:                             ;   in Loop: Header=BB136_9 Depth=1
	s_cbranch_execnz .LBB136_50
.LBB136_48:                             ;   in Loop: Header=BB136_9 Depth=1
	v_mul_hi_u32 v0, v8, s10
	v_add_u32_e32 v0, v0, v8
	v_lshrrev_b32_e32 v0, s11, v0
	v_mul_lo_u32 v7, v0, s9
	v_sub_u32_e32 v7, v8, v7
	s_andn2_b64 vcc, exec, s[48:49]
	v_mul_lo_u32 v10, v7, s46
	s_cbranch_vccnz .LBB136_50
; %bb.49:                               ;   in Loop: Header=BB136_9 Depth=1
	v_mul_hi_u32 v7, s8, v0
	v_add_u32_e32 v7, v0, v7
	v_lshrrev_b32_e32 v7, s14, v7
	v_mul_lo_u32 v7, v7, s12
	v_sub_u32_e32 v0, v0, v7
	v_mad_u64_u32 v[10:11], s[4:5], v0, s47, v[10:11]
.LBB136_50:                             ;   in Loop: Header=BB136_9 Depth=1
	v_cvt_f32_u32_e32 v0, v1
	v_mov_b32_e32 v1, 0x2f800000
	v_fmac_f32_e32 v1, 0x2f800000, v0
	v_cmp_lt_f32_e32 vcc, v1, v39
	v_cndmask_b32_e64 v0, 0, 1, vcc
	v_mov_b32_e32 v1, s59
	global_store_dwordx2 v10, v[0:1], s[28:29]
.LBB136_51:                             ;   in Loop: Header=BB136_9 Depth=1
	s_or_b64 exec, exec, s[2:3]
	v_mov_b32_e32 v1, s15
	v_add_co_u32_e32 v0, vcc, s13, v14
	v_addc_co_u32_e32 v1, vcc, v15, v1, vcc
	v_cmp_gt_i64_e32 vcc, s[24:25], v[0:1]
	s_and_saveexec_b64 s[2:3], vcc
	s_cbranch_execz .LBB136_67
; %bb.52:                               ;   in Loop: Header=BB136_9 Depth=1
	s_and_b64 vcc, exec, s[0:1]
	s_cbranch_vccnz .LBB136_58
; %bb.53:                               ;   in Loop: Header=BB136_9 Depth=1
	s_andn2_b64 vcc, exec, s[42:43]
	s_cbranch_vccnz .LBB136_59
; %bb.54:                               ;   in Loop: Header=BB136_9 Depth=1
	s_mov_b32 s6, 0
	s_andn2_b64 vcc, exec, s[30:31]
	v_mov_b32_e32 v8, 0
	s_cbranch_vccnz .LBB136_60
; %bb.55:                               ;   in Loop: Header=BB136_9 Depth=1
	s_mov_b32 s66, 0
	v_mov_b32_e32 v8, 0
	s_mov_b64 s[54:55], s[34:35]
	s_mov_b64 s[56:57], s[44:45]
	v_mov_b32_e32 v1, v0
.LBB136_56:                             ;   Parent Loop BB136_9 Depth=1
                                        ; =>  This Inner Loop Header: Depth=2
	s_load_dwordx8 s[16:23], s[54:55], 0x4
	s_load_dwordx4 s[4:7], s[54:55], 0x24
	s_load_dwordx4 s[36:39], s[56:57], 0x0
	s_add_u32 s54, s54, 48
	s_addc_u32 s55, s55, 0
	s_waitcnt lgkmcnt(0)
	v_mul_hi_u32 v7, s17, v1
	v_add_u32_e32 v7, v1, v7
	v_lshrrev_b32_e32 v7, s18, v7
	v_mul_lo_u32 v9, v7, s16
	v_mul_hi_u32 v10, s20, v7
	v_sub_u32_e32 v1, v1, v9
	v_add_u32_e32 v9, v7, v10
	v_lshrrev_b32_e32 v9, s21, v9
	v_mul_lo_u32 v10, v9, s19
	v_mul_hi_u32 v11, s23, v9
	v_sub_u32_e32 v7, v7, v10
	v_add_u32_e32 v10, v9, v11
	v_mul_lo_u32 v1, v1, s36
	v_mul_lo_u32 v7, v7, s37
	v_lshrrev_b32_e32 v10, s4, v10
	v_add3_u32 v7, v1, v8, v7
	v_mul_lo_u32 v1, v10, s22
	v_mul_hi_u32 v8, s6, v10
	v_sub_u32_e32 v1, v9, v1
	v_add_u32_e32 v8, v10, v8
	v_mul_lo_u32 v9, v1, s38
	v_lshrrev_b32_e32 v1, s7, v8
	s_add_i32 s66, s66, 4
	v_mul_lo_u32 v8, v1, s5
	s_add_u32 s56, s56, 16
	v_sub_u32_e32 v8, v10, v8
	s_addc_u32 s57, s57, 0
	v_mul_lo_u32 v8, v8, s39
	s_cmp_eq_u32 s65, s66
	v_add3_u32 v8, v9, v7, v8
	s_cbranch_scc0 .LBB136_56
; %bb.57:                               ;   in Loop: Header=BB136_9 Depth=1
	s_mov_b32 s6, s65
	s_andn2_b64 vcc, exec, s[52:53]
	s_cbranch_vccz .LBB136_61
	s_branch .LBB136_63
.LBB136_58:                             ;   in Loop: Header=BB136_9 Depth=1
                                        ; implicit-def: $vgpr8
	s_branch .LBB136_64
.LBB136_59:                             ;   in Loop: Header=BB136_9 Depth=1
	v_mov_b32_e32 v8, 0
	s_branch .LBB136_63
.LBB136_60:                             ;   in Loop: Header=BB136_9 Depth=1
	v_mov_b32_e32 v1, v0
	s_andn2_b64 vcc, exec, s[52:53]
	s_cbranch_vccnz .LBB136_63
.LBB136_61:                             ;   in Loop: Header=BB136_9 Depth=1
	s_lshl_b32 s4, s6, 2
	s_add_u32 s4, s44, s4
	s_addc_u32 s5, s45, 0
	s_mul_i32 s6, s6, 12
	s_add_u32 s6, s34, s6
	s_addc_u32 s7, s35, 0
	s_mov_b32 s16, s64
.LBB136_62:                             ;   Parent Loop BB136_9 Depth=1
                                        ; =>  This Inner Loop Header: Depth=2
	s_load_dwordx2 s[18:19], s[6:7], 0x4
	s_load_dword s17, s[6:7], 0xc
	s_load_dword s20, s[4:5], 0x0
	s_add_u32 s6, s6, 12
	s_addc_u32 s7, s7, 0
	s_waitcnt lgkmcnt(0)
	v_mul_hi_u32 v7, s19, v1
	v_add_u32_e32 v7, v1, v7
	v_lshrrev_b32_e32 v7, s17, v7
	s_add_u32 s4, s4, 4
	v_mul_lo_u32 v9, v7, s18
	s_addc_u32 s5, s5, 0
	s_add_i32 s16, s16, -1
	v_sub_u32_e32 v9, v1, v9
	s_cmp_lg_u32 s16, 0
	v_mov_b32_e32 v1, v7
	v_mad_u64_u32 v[8:9], s[18:19], v9, s20, v[8:9]
	s_cbranch_scc1 .LBB136_62
.LBB136_63:                             ;   in Loop: Header=BB136_9 Depth=1
	s_cbranch_execnz .LBB136_66
.LBB136_64:                             ;   in Loop: Header=BB136_9 Depth=1
	v_mul_hi_u32 v1, v0, s10
	v_add_u32_e32 v1, v1, v0
	v_lshrrev_b32_e32 v1, s11, v1
	v_mul_lo_u32 v7, v1, s9
	v_sub_u32_e32 v0, v0, v7
	s_andn2_b64 vcc, exec, s[48:49]
	v_mul_lo_u32 v8, v0, s46
	s_cbranch_vccnz .LBB136_66
; %bb.65:                               ;   in Loop: Header=BB136_9 Depth=1
	v_mul_hi_u32 v0, s8, v1
	v_add_u32_e32 v0, v1, v0
	v_lshrrev_b32_e32 v0, s14, v0
	v_mul_lo_u32 v0, v0, s12
	v_sub_u32_e32 v0, v1, v0
	v_mad_u64_u32 v[8:9], s[4:5], v0, s47, v[8:9]
.LBB136_66:                             ;   in Loop: Header=BB136_9 Depth=1
	v_cvt_f32_u32_e32 v0, v2
	v_mov_b32_e32 v1, 0x2f800000
	v_fmac_f32_e32 v1, 0x2f800000, v0
	v_cmp_lt_f32_e32 vcc, v1, v39
	v_cndmask_b32_e64 v0, 0, 1, vcc
	v_mov_b32_e32 v1, s59
	global_store_dwordx2 v8, v[0:1], s[28:29]
.LBB136_67:                             ;   in Loop: Header=BB136_9 Depth=1
	s_or_b64 exec, exec, s[2:3]
	v_mov_b32_e32 v1, s63
	v_add_co_u32_e32 v0, vcc, s62, v14
	v_addc_co_u32_e32 v1, vcc, v15, v1, vcc
	v_cmp_gt_i64_e32 vcc, s[24:25], v[0:1]
	s_and_saveexec_b64 s[36:37], vcc
	s_cbranch_execz .LBB136_8
; %bb.68:                               ;   in Loop: Header=BB136_9 Depth=1
	s_and_b64 vcc, exec, s[0:1]
	s_cbranch_vccnz .LBB136_74
; %bb.69:                               ;   in Loop: Header=BB136_9 Depth=1
	s_andn2_b64 vcc, exec, s[42:43]
	s_cbranch_vccnz .LBB136_75
; %bb.70:                               ;   in Loop: Header=BB136_9 Depth=1
	s_mov_b32 s2, 0
	s_andn2_b64 vcc, exec, s[30:31]
	v_mov_b32_e32 v8, 0
	s_cbranch_vccnz .LBB136_76
; %bb.71:                               ;   in Loop: Header=BB136_9 Depth=1
	s_mov_b32 s56, 0
	v_mov_b32_e32 v8, 0
	s_mov_b64 s[38:39], s[34:35]
	s_mov_b64 s[54:55], s[44:45]
	v_mov_b32_e32 v1, v0
.LBB136_72:                             ;   Parent Loop BB136_9 Depth=1
                                        ; =>  This Inner Loop Header: Depth=2
	s_load_dwordx8 s[0:7], s[38:39], 0x4
	s_load_dwordx4 s[16:19], s[38:39], 0x24
	s_load_dwordx4 s[20:23], s[54:55], 0x0
	s_add_u32 s38, s38, 48
	s_addc_u32 s39, s39, 0
	s_waitcnt lgkmcnt(0)
	v_mul_hi_u32 v2, s1, v1
	v_add_u32_e32 v2, v1, v2
	v_lshrrev_b32_e32 v2, s2, v2
	v_mul_lo_u32 v7, v2, s0
	v_mul_hi_u32 v9, s4, v2
	v_sub_u32_e32 v1, v1, v7
	v_add_u32_e32 v7, v2, v9
	v_lshrrev_b32_e32 v7, s5, v7
	v_mul_lo_u32 v9, v7, s3
	v_mul_hi_u32 v10, s7, v7
	v_sub_u32_e32 v2, v2, v9
	v_add_u32_e32 v9, v7, v10
	v_mul_lo_u32 v1, v1, s20
	v_mul_lo_u32 v2, v2, s21
	v_lshrrev_b32_e32 v9, s16, v9
	v_add3_u32 v2, v1, v8, v2
	v_mul_lo_u32 v1, v9, s6
	v_mul_hi_u32 v8, s18, v9
	v_sub_u32_e32 v1, v7, v1
	v_add_u32_e32 v7, v9, v8
	v_mul_lo_u32 v8, v1, s22
	v_lshrrev_b32_e32 v1, s19, v7
	s_add_i32 s56, s56, 4
	v_mul_lo_u32 v7, v1, s17
	s_add_u32 s54, s54, 16
	v_sub_u32_e32 v7, v9, v7
	s_addc_u32 s55, s55, 0
	v_mul_lo_u32 v7, v7, s23
	s_cmp_eq_u32 s65, s56
	v_add3_u32 v8, v8, v2, v7
	s_cbranch_scc0 .LBB136_72
; %bb.73:                               ;   in Loop: Header=BB136_9 Depth=1
	s_mov_b32 s2, s65
	s_andn2_b64 vcc, exec, s[52:53]
	s_cbranch_vccz .LBB136_77
	s_branch .LBB136_79
.LBB136_74:                             ;   in Loop: Header=BB136_9 Depth=1
                                        ; implicit-def: $vgpr8
	s_branch .LBB136_80
.LBB136_75:                             ;   in Loop: Header=BB136_9 Depth=1
	v_mov_b32_e32 v8, 0
	s_branch .LBB136_79
.LBB136_76:                             ;   in Loop: Header=BB136_9 Depth=1
	v_mov_b32_e32 v1, v0
	s_andn2_b64 vcc, exec, s[52:53]
	s_cbranch_vccnz .LBB136_79
.LBB136_77:                             ;   in Loop: Header=BB136_9 Depth=1
	s_lshl_b32 s0, s2, 2
	s_add_u32 s0, s44, s0
	s_addc_u32 s1, s45, 0
	s_mul_i32 s2, s2, 12
	s_add_u32 s2, s34, s2
	s_addc_u32 s3, s35, 0
	s_mov_b32 s4, s64
.LBB136_78:                             ;   Parent Loop BB136_9 Depth=1
                                        ; =>  This Inner Loop Header: Depth=2
	s_load_dwordx2 s[6:7], s[2:3], 0x4
	s_load_dword s5, s[2:3], 0xc
	s_load_dword s16, s[0:1], 0x0
	s_add_u32 s2, s2, 12
	s_addc_u32 s3, s3, 0
	s_waitcnt lgkmcnt(0)
	v_mul_hi_u32 v2, s7, v1
	v_add_u32_e32 v2, v1, v2
	v_lshrrev_b32_e32 v2, s5, v2
	s_add_u32 s0, s0, 4
	v_mul_lo_u32 v7, v2, s6
	s_addc_u32 s1, s1, 0
	s_add_i32 s4, s4, -1
	v_sub_u32_e32 v7, v1, v7
	s_cmp_lg_u32 s4, 0
	v_mov_b32_e32 v1, v2
	v_mad_u64_u32 v[8:9], s[6:7], v7, s16, v[8:9]
	s_cbranch_scc1 .LBB136_78
.LBB136_79:                             ;   in Loop: Header=BB136_9 Depth=1
	s_cbranch_execnz .LBB136_7
.LBB136_80:                             ;   in Loop: Header=BB136_9 Depth=1
	v_mul_hi_u32 v1, v0, s10
	v_add_u32_e32 v1, v1, v0
	v_lshrrev_b32_e32 v1, s11, v1
	v_mul_lo_u32 v2, v1, s9
	v_sub_u32_e32 v0, v0, v2
	s_andn2_b64 vcc, exec, s[48:49]
	v_mul_lo_u32 v8, v0, s46
	s_cbranch_vccnz .LBB136_7
; %bb.81:                               ;   in Loop: Header=BB136_9 Depth=1
	v_mul_hi_u32 v0, s8, v1
	v_add_u32_e32 v0, v1, v0
	v_lshrrev_b32_e32 v0, s14, v0
	v_mul_lo_u32 v0, v0, s12
	v_sub_u32_e32 v0, v1, v0
	v_mad_u64_u32 v[8:9], s[0:1], v0, s47, v[8:9]
	s_branch .LBB136_7
.LBB136_82:
	s_endpgm
.LBB136_83:
                                        ; implicit-def: $sgpr2_sgpr3
	s_andn2_b64 vcc, exec, s[0:1]
	s_cbranch_vccz .LBB136_4
	s_branch .LBB136_5
	.section	.rodata,"a",@progbits
	.p2align	6, 0x0
	.amdhsa_kernel _ZN2at6native12_GLOBAL__N_143distribution_elementwise_grid_stride_kernelIfLi4EZNS0_9templates4cuda21uniform_and_transformIlfPNS_17CUDAGeneratorImplEZZZNS4_16bernoulli_kernelIS7_EEvRNS_18TensorIteratorBaseEdT_ENKUlvE_clEvENKUlvE2_clEvEUlfE_EEvSA_T1_T2_EUlP25hiprandStatePhilox4_32_10E0_ZNS1_27distribution_nullary_kernelIlf15HIP_vector_typeIfLj4EES7_SJ_SE_EEvSA_SG_RKT3_T4_EUlifE0_EEvlNS_15PhiloxCudaStateESF_SG_
		.amdhsa_group_segment_fixed_size 0
		.amdhsa_private_segment_fixed_size 0
		.amdhsa_kernarg_size 584
		.amdhsa_user_sgpr_count 6
		.amdhsa_user_sgpr_private_segment_buffer 1
		.amdhsa_user_sgpr_dispatch_ptr 0
		.amdhsa_user_sgpr_queue_ptr 0
		.amdhsa_user_sgpr_kernarg_segment_ptr 1
		.amdhsa_user_sgpr_dispatch_id 0
		.amdhsa_user_sgpr_flat_scratch_init 0
		.amdhsa_user_sgpr_kernarg_preload_length 0
		.amdhsa_user_sgpr_kernarg_preload_offset 0
		.amdhsa_user_sgpr_private_segment_size 0
		.amdhsa_uses_dynamic_stack 0
		.amdhsa_system_sgpr_private_segment_wavefront_offset 0
		.amdhsa_system_sgpr_workgroup_id_x 1
		.amdhsa_system_sgpr_workgroup_id_y 0
		.amdhsa_system_sgpr_workgroup_id_z 0
		.amdhsa_system_sgpr_workgroup_info 0
		.amdhsa_system_vgpr_workitem_id 0
		.amdhsa_next_free_vgpr 42
		.amdhsa_next_free_sgpr 67
		.amdhsa_accum_offset 44
		.amdhsa_reserve_vcc 1
		.amdhsa_reserve_flat_scratch 0
		.amdhsa_float_round_mode_32 0
		.amdhsa_float_round_mode_16_64 0
		.amdhsa_float_denorm_mode_32 3
		.amdhsa_float_denorm_mode_16_64 3
		.amdhsa_dx10_clamp 1
		.amdhsa_ieee_mode 1
		.amdhsa_fp16_overflow 0
		.amdhsa_tg_split 0
		.amdhsa_exception_fp_ieee_invalid_op 0
		.amdhsa_exception_fp_denorm_src 0
		.amdhsa_exception_fp_ieee_div_zero 0
		.amdhsa_exception_fp_ieee_overflow 0
		.amdhsa_exception_fp_ieee_underflow 0
		.amdhsa_exception_fp_ieee_inexact 0
		.amdhsa_exception_int_div_zero 0
	.end_amdhsa_kernel
	.section	.text._ZN2at6native12_GLOBAL__N_143distribution_elementwise_grid_stride_kernelIfLi4EZNS0_9templates4cuda21uniform_and_transformIlfPNS_17CUDAGeneratorImplEZZZNS4_16bernoulli_kernelIS7_EEvRNS_18TensorIteratorBaseEdT_ENKUlvE_clEvENKUlvE2_clEvEUlfE_EEvSA_T1_T2_EUlP25hiprandStatePhilox4_32_10E0_ZNS1_27distribution_nullary_kernelIlf15HIP_vector_typeIfLj4EES7_SJ_SE_EEvSA_SG_RKT3_T4_EUlifE0_EEvlNS_15PhiloxCudaStateESF_SG_,"axG",@progbits,_ZN2at6native12_GLOBAL__N_143distribution_elementwise_grid_stride_kernelIfLi4EZNS0_9templates4cuda21uniform_and_transformIlfPNS_17CUDAGeneratorImplEZZZNS4_16bernoulli_kernelIS7_EEvRNS_18TensorIteratorBaseEdT_ENKUlvE_clEvENKUlvE2_clEvEUlfE_EEvSA_T1_T2_EUlP25hiprandStatePhilox4_32_10E0_ZNS1_27distribution_nullary_kernelIlf15HIP_vector_typeIfLj4EES7_SJ_SE_EEvSA_SG_RKT3_T4_EUlifE0_EEvlNS_15PhiloxCudaStateESF_SG_,comdat
.Lfunc_end136:
	.size	_ZN2at6native12_GLOBAL__N_143distribution_elementwise_grid_stride_kernelIfLi4EZNS0_9templates4cuda21uniform_and_transformIlfPNS_17CUDAGeneratorImplEZZZNS4_16bernoulli_kernelIS7_EEvRNS_18TensorIteratorBaseEdT_ENKUlvE_clEvENKUlvE2_clEvEUlfE_EEvSA_T1_T2_EUlP25hiprandStatePhilox4_32_10E0_ZNS1_27distribution_nullary_kernelIlf15HIP_vector_typeIfLj4EES7_SJ_SE_EEvSA_SG_RKT3_T4_EUlifE0_EEvlNS_15PhiloxCudaStateESF_SG_, .Lfunc_end136-_ZN2at6native12_GLOBAL__N_143distribution_elementwise_grid_stride_kernelIfLi4EZNS0_9templates4cuda21uniform_and_transformIlfPNS_17CUDAGeneratorImplEZZZNS4_16bernoulli_kernelIS7_EEvRNS_18TensorIteratorBaseEdT_ENKUlvE_clEvENKUlvE2_clEvEUlfE_EEvSA_T1_T2_EUlP25hiprandStatePhilox4_32_10E0_ZNS1_27distribution_nullary_kernelIlf15HIP_vector_typeIfLj4EES7_SJ_SE_EEvSA_SG_RKT3_T4_EUlifE0_EEvlNS_15PhiloxCudaStateESF_SG_
                                        ; -- End function
	.section	.AMDGPU.csdata,"",@progbits
; Kernel info:
; codeLenInByte = 4448
; NumSgprs: 71
; NumVgprs: 42
; NumAgprs: 0
; TotalNumVgprs: 42
; ScratchSize: 0
; MemoryBound: 0
; FloatMode: 240
; IeeeMode: 1
; LDSByteSize: 0 bytes/workgroup (compile time only)
; SGPRBlocks: 8
; VGPRBlocks: 5
; NumSGPRsForWavesPerEU: 71
; NumVGPRsForWavesPerEU: 42
; AccumOffset: 44
; Occupancy: 8
; WaveLimiterHint : 1
; COMPUTE_PGM_RSRC2:SCRATCH_EN: 0
; COMPUTE_PGM_RSRC2:USER_SGPR: 6
; COMPUTE_PGM_RSRC2:TRAP_HANDLER: 0
; COMPUTE_PGM_RSRC2:TGID_X_EN: 1
; COMPUTE_PGM_RSRC2:TGID_Y_EN: 0
; COMPUTE_PGM_RSRC2:TGID_Z_EN: 0
; COMPUTE_PGM_RSRC2:TIDIG_COMP_CNT: 0
; COMPUTE_PGM_RSRC3_GFX90A:ACCUM_OFFSET: 10
; COMPUTE_PGM_RSRC3_GFX90A:TG_SPLIT: 0
	.section	.text._ZN2at6native12_GLOBAL__N_143distribution_elementwise_grid_stride_kernelIfLi4EZNS0_9templates4cuda21uniform_and_transformIsfPNS_17CUDAGeneratorImplEZZZNS4_16bernoulli_kernelIS7_EEvRNS_18TensorIteratorBaseEdT_ENKUlvE_clEvENKUlvE3_clEvEUlfE_EEvSA_T1_T2_EUlP25hiprandStatePhilox4_32_10E_ZNS1_27distribution_nullary_kernelIsf15HIP_vector_typeIdLj2EES7_SJ_SE_EEvSA_SG_RKT3_T4_EUlifE_EEvlNS_15PhiloxCudaStateESF_SG_,"axG",@progbits,_ZN2at6native12_GLOBAL__N_143distribution_elementwise_grid_stride_kernelIfLi4EZNS0_9templates4cuda21uniform_and_transformIsfPNS_17CUDAGeneratorImplEZZZNS4_16bernoulli_kernelIS7_EEvRNS_18TensorIteratorBaseEdT_ENKUlvE_clEvENKUlvE3_clEvEUlfE_EEvSA_T1_T2_EUlP25hiprandStatePhilox4_32_10E_ZNS1_27distribution_nullary_kernelIsf15HIP_vector_typeIdLj2EES7_SJ_SE_EEvSA_SG_RKT3_T4_EUlifE_EEvlNS_15PhiloxCudaStateESF_SG_,comdat
	.globl	_ZN2at6native12_GLOBAL__N_143distribution_elementwise_grid_stride_kernelIfLi4EZNS0_9templates4cuda21uniform_and_transformIsfPNS_17CUDAGeneratorImplEZZZNS4_16bernoulli_kernelIS7_EEvRNS_18TensorIteratorBaseEdT_ENKUlvE_clEvENKUlvE3_clEvEUlfE_EEvSA_T1_T2_EUlP25hiprandStatePhilox4_32_10E_ZNS1_27distribution_nullary_kernelIsf15HIP_vector_typeIdLj2EES7_SJ_SE_EEvSA_SG_RKT3_T4_EUlifE_EEvlNS_15PhiloxCudaStateESF_SG_ ; -- Begin function _ZN2at6native12_GLOBAL__N_143distribution_elementwise_grid_stride_kernelIfLi4EZNS0_9templates4cuda21uniform_and_transformIsfPNS_17CUDAGeneratorImplEZZZNS4_16bernoulli_kernelIS7_EEvRNS_18TensorIteratorBaseEdT_ENKUlvE_clEvENKUlvE3_clEvEUlfE_EEvSA_T1_T2_EUlP25hiprandStatePhilox4_32_10E_ZNS1_27distribution_nullary_kernelIsf15HIP_vector_typeIdLj2EES7_SJ_SE_EEvSA_SG_RKT3_T4_EUlifE_EEvlNS_15PhiloxCudaStateESF_SG_
	.p2align	8
	.type	_ZN2at6native12_GLOBAL__N_143distribution_elementwise_grid_stride_kernelIfLi4EZNS0_9templates4cuda21uniform_and_transformIsfPNS_17CUDAGeneratorImplEZZZNS4_16bernoulli_kernelIS7_EEvRNS_18TensorIteratorBaseEdT_ENKUlvE_clEvENKUlvE3_clEvEUlfE_EEvSA_T1_T2_EUlP25hiprandStatePhilox4_32_10E_ZNS1_27distribution_nullary_kernelIsf15HIP_vector_typeIdLj2EES7_SJ_SE_EEvSA_SG_RKT3_T4_EUlifE_EEvlNS_15PhiloxCudaStateESF_SG_,@function
_ZN2at6native12_GLOBAL__N_143distribution_elementwise_grid_stride_kernelIfLi4EZNS0_9templates4cuda21uniform_and_transformIsfPNS_17CUDAGeneratorImplEZZZNS4_16bernoulli_kernelIS7_EEvRNS_18TensorIteratorBaseEdT_ENKUlvE_clEvENKUlvE3_clEvEUlfE_EEvSA_T1_T2_EUlP25hiprandStatePhilox4_32_10E_ZNS1_27distribution_nullary_kernelIsf15HIP_vector_typeIdLj2EES7_SJ_SE_EEvSA_SG_RKT3_T4_EUlifE_EEvlNS_15PhiloxCudaStateESF_SG_: ; @_ZN2at6native12_GLOBAL__N_143distribution_elementwise_grid_stride_kernelIfLi4EZNS0_9templates4cuda21uniform_and_transformIsfPNS_17CUDAGeneratorImplEZZZNS4_16bernoulli_kernelIS7_EEvRNS_18TensorIteratorBaseEdT_ENKUlvE_clEvENKUlvE3_clEvEUlfE_EEvSA_T1_T2_EUlP25hiprandStatePhilox4_32_10E_ZNS1_27distribution_nullary_kernelIsf15HIP_vector_typeIdLj2EES7_SJ_SE_EEvSA_SG_RKT3_T4_EUlifE_EEvlNS_15PhiloxCudaStateESF_SG_
; %bb.0:
	s_load_dword s7, s[4:5], 0x20
	s_load_dwordx2 s[10:11], s[4:5], 0x10
	s_load_dwordx4 s[0:3], s[4:5], 0x0
	s_mov_b32 s8, 0
	s_waitcnt lgkmcnt(0)
	s_bitcmp0_b32 s7, 0
	v_pk_mov_b32 v[2:3], s[10:11], s[10:11] op_sel:[0,1]
	v_pk_mov_b32 v[14:15], s[2:3], s[2:3] op_sel:[0,1]
	s_cbranch_scc1 .LBB137_2
; %bb.1:
	v_pk_mov_b32 v[2:3], s[10:11], s[10:11] op_sel:[0,1]
	flat_load_dwordx2 v[2:3], v[2:3]
	v_pk_mov_b32 v[4:5], s[2:3], s[2:3] op_sel:[0,1]
	flat_load_dwordx2 v[14:15], v[4:5]
	s_load_dwordx2 s[2:3], s[4:5], 0x18
	s_waitcnt lgkmcnt(0)
	v_mov_b32_e32 v1, s3
	s_waitcnt vmcnt(0)
	v_add_co_u32_e32 v2, vcc, s2, v2
	v_addc_co_u32_e32 v3, vcc, v3, v1, vcc
.LBB137_2:
	s_load_dword s2, s[4:5], 0x54
	s_load_dword s17, s[4:5], 0x48
	s_waitcnt lgkmcnt(0)
	s_and_b32 s7, s2, 0xffff
	s_add_u32 s10, s0, -1
	s_mul_i32 s12, s17, s7
	s_addc_u32 s9, s1, -1
	s_lshl_b32 s13, s12, 2
	s_cmp_lg_u64 s[8:9], 0
	s_mov_b64 s[2:3], -1
	s_cbranch_scc0 .LBB137_23
; %bb.3:
	v_cvt_f32_u32_e32 v1, s13
	v_cvt_f32_ubyte0_e32 v4, 0
	s_sub_u32 s8, 0, s13
	s_subb_u32 s11, 0, 0
	v_madmk_f32 v1, v4, 0x4f800000, v1
	v_rcp_f32_e32 v1, v1
	v_mul_f32_e32 v1, 0x5f7ffffc, v1
	v_mul_f32_e32 v4, 0x2f800000, v1
	v_trunc_f32_e32 v4, v4
	v_madmk_f32 v1, v4, 0xcf800000, v1
	v_cvt_u32_f32_e32 v4, v4
	v_cvt_u32_f32_e32 v1, v1
	v_readfirstlane_b32 s14, v4
	v_readfirstlane_b32 s15, v1
	s_mul_i32 s16, s8, s14
	s_mul_hi_u32 s19, s8, s15
	s_mul_i32 s18, s11, s15
	s_add_i32 s16, s19, s16
	s_add_i32 s16, s16, s18
	s_mul_i32 s20, s8, s15
	s_mul_hi_u32 s18, s15, s16
	s_mul_i32 s19, s15, s16
	s_mul_hi_u32 s15, s15, s20
	s_add_u32 s15, s15, s19
	s_addc_u32 s18, 0, s18
	s_mul_hi_u32 s21, s14, s20
	s_mul_i32 s20, s14, s20
	s_add_u32 s15, s15, s20
	s_mul_hi_u32 s19, s14, s16
	s_addc_u32 s15, s18, s21
	s_addc_u32 s18, s19, 0
	s_mul_i32 s16, s14, s16
	s_add_u32 s15, s15, s16
	s_addc_u32 s16, 0, s18
	v_add_co_u32_e32 v1, vcc, s15, v1
	s_cmp_lg_u64 vcc, 0
	s_addc_u32 s14, s14, s16
	v_readfirstlane_b32 s16, v1
	s_mul_i32 s15, s8, s14
	s_mul_hi_u32 s18, s8, s16
	s_add_i32 s15, s18, s15
	s_mul_i32 s11, s11, s16
	s_add_i32 s15, s15, s11
	s_mul_i32 s8, s8, s16
	s_mul_hi_u32 s18, s14, s8
	s_mul_i32 s19, s14, s8
	s_mul_i32 s21, s16, s15
	s_mul_hi_u32 s8, s16, s8
	s_mul_hi_u32 s20, s16, s15
	s_add_u32 s8, s8, s21
	s_addc_u32 s16, 0, s20
	s_add_u32 s8, s8, s19
	s_mul_hi_u32 s11, s14, s15
	s_addc_u32 s8, s16, s18
	s_addc_u32 s11, s11, 0
	s_mul_i32 s15, s14, s15
	s_add_u32 s8, s8, s15
	s_addc_u32 s11, 0, s11
	v_add_co_u32_e32 v1, vcc, s8, v1
	s_cmp_lg_u64 vcc, 0
	s_addc_u32 s11, s14, s11
	s_ashr_i32 s14, s9, 31
	s_add_u32 s8, s10, s14
	s_mov_b32 s15, s14
	s_addc_u32 s9, s9, s14
	s_xor_b64 s[8:9], s[8:9], s[14:15]
	v_readfirstlane_b32 s19, v1
	s_mul_i32 s18, s8, s11
	s_mul_hi_u32 s20, s8, s19
	s_mul_hi_u32 s16, s8, s11
	s_add_u32 s18, s20, s18
	s_addc_u32 s16, 0, s16
	s_mul_hi_u32 s21, s9, s19
	s_mul_i32 s19, s9, s19
	s_add_u32 s18, s18, s19
	s_mul_hi_u32 s20, s9, s11
	s_addc_u32 s16, s16, s21
	s_addc_u32 s18, s20, 0
	s_mul_i32 s11, s9, s11
	s_add_u32 s11, s16, s11
	s_addc_u32 s16, 0, s18
	s_add_u32 s18, s11, 1
	s_addc_u32 s19, s16, 0
	s_add_u32 s20, s11, 2
	s_mul_i32 s22, s13, s16
	s_mul_hi_u32 s23, s13, s11
	s_addc_u32 s21, s16, 0
	s_add_i32 s23, s23, s22
	s_mul_i32 s22, s13, s11
	v_mov_b32_e32 v1, s22
	v_sub_co_u32_e32 v1, vcc, s8, v1
	s_cmp_lg_u64 vcc, 0
	s_subb_u32 s8, s9, s23
	v_subrev_co_u32_e32 v4, vcc, s13, v1
	s_cmp_lg_u64 vcc, 0
	s_subb_u32 s9, s8, 0
	v_readfirstlane_b32 s22, v4
	s_cmp_ge_u32 s22, s13
	s_cselect_b32 s22, -1, 0
	s_cmp_eq_u32 s9, 0
	s_cselect_b32 s9, s22, -1
	s_cmp_lg_u32 s9, 0
	s_cselect_b32 s9, s21, s19
	v_readfirstlane_b32 s19, v1
	s_cselect_b32 s18, s20, s18
	s_cmp_ge_u32 s19, s13
	s_cselect_b32 s19, -1, 0
	s_cmp_eq_u32 s8, 0
	s_cselect_b32 s8, s19, -1
	s_cmp_lg_u32 s8, 0
	s_cselect_b32 s9, s9, s16
	s_cselect_b32 s8, s18, s11
	s_xor_b64 s[8:9], s[8:9], s[14:15]
	s_sub_u32 s8, s8, s14
	s_subb_u32 s9, s9, s14
	s_cbranch_execnz .LBB137_5
.LBB137_4:
	v_cvt_f32_u32_e32 v1, s13
	s_sub_i32 s2, 0, s13
	s_mov_b32 s9, 0
	v_rcp_iflag_f32_e32 v1, v1
	v_mul_f32_e32 v1, 0x4f7ffffe, v1
	v_cvt_u32_f32_e32 v1, v1
	v_readfirstlane_b32 s3, v1
	s_mul_i32 s2, s2, s3
	s_mul_hi_u32 s2, s3, s2
	s_add_i32 s3, s3, s2
	s_mul_hi_u32 s2, s10, s3
	s_mul_i32 s8, s2, s13
	s_sub_i32 s8, s10, s8
	s_add_i32 s3, s2, 1
	s_sub_i32 s10, s8, s13
	s_cmp_ge_u32 s8, s13
	s_cselect_b32 s2, s3, s2
	s_cselect_b32 s8, s10, s8
	s_add_i32 s3, s2, 1
	s_cmp_ge_u32 s8, s13
	s_cselect_b32 s8, s3, s2
.LBB137_5:
	v_mov_b32_e32 v1, 0
	v_mov_b32_e32 v4, s6
	v_mad_u64_u32 v[16:17], s[2:3], s7, v4, v[0:1]
	s_add_u32 s2, s8, 1
	s_addc_u32 s3, s9, 0
	s_mul_hi_u32 s8, s17, s7
	s_mul_i32 s3, s12, s3
	s_mul_hi_u32 s9, s12, s2
	s_add_i32 s3, s9, s3
	s_mul_i32 s8, s8, s2
	s_add_i32 s3, s3, s8
	s_mul_i32 s2, s12, s2
	s_lshl_b64 s[2:3], s[2:3], 2
	v_cmp_gt_i64_e32 vcc, s[2:3], v[16:17]
	s_and_saveexec_b64 s[8:9], vcc
	s_cbranch_execz .LBB137_22
; %bb.6:
	s_load_dwordx2 s[8:9], s[4:5], 0x30
	s_load_dword s19, s[4:5], 0x38
	s_load_dwordx2 s[10:11], s[4:5], 0x40
	s_mov_b32 s4, 0x5384540f
	v_mov_b32_e32 v4, v15
	v_add_co_u32_e32 v22, vcc, s4, v14
	s_mov_b32 s4, 0x646e171e
	v_add_co_u32_e32 v23, vcc, s4, v4
	s_mov_b32 s4, 0x1715609d
	;; [unrolled: 2-line block ×6, first 2 shown]
	v_alignbit_b32 v29, v3, v2, 2
	s_mov_b32 s15, 0xd2511f53
	v_add_co_u32_e32 v28, vcc, s4, v14
	v_mad_u64_u32 v[6:7], s[4:5], v29, s15, 0
	v_xor_b32_e32 v1, v7, v15
	v_xor_b32_e32 v1, v1, v17
	s_mov_b32 s16, 0xcd9e8d57
	v_mad_u64_u32 v[8:9], s[4:5], v1, s16, 0
	v_xor_b32_e32 v1, v28, v9
	v_mad_u64_u32 v[10:11], s[4:5], v16, s16, 0
	v_and_b32_e32 v18, 3, v2
	v_xor_b32_e32 v1, v1, v10
	v_xor_b32_e32 v2, v14, v11
	v_lshrrev_b32_e32 v30, 2, v3
	v_mad_u64_u32 v[12:13], s[4:5], v1, s15, 0
	v_xor_b32_e32 v2, v2, v30
	v_xor_b32_e32 v1, v27, v13
	v_mad_u64_u32 v[2:3], s[4:5], v2, s15, 0
	v_xor_b32_e32 v1, v1, v2
	v_mad_u64_u32 v[10:11], s[4:5], v1, s16, 0
	s_mov_b32 s4, 0xbb67ae85
	v_add_co_u32_e32 v31, vcc, s4, v4
	v_xor_b32_e32 v2, v31, v3
	v_xor_b32_e32 v2, v2, v6
	v_xor_b32_e32 v1, v26, v11
	v_mad_u64_u32 v[2:3], s[4:5], v2, s16, 0
	v_xor_b32_e32 v1, v1, v2
	v_mad_u64_u32 v[6:7], s[4:5], v1, s15, 0
	s_mov_b32 s4, 0x3c6ef372
	v_add_co_u32_e32 v32, vcc, s4, v14
	v_xor_b32_e32 v2, v32, v3
	;; [unrolled: 8-line block ×6, first 2 shown]
	v_add_co_u32_e32 v21, vcc, 0xdb3d7428, v4
	v_xor_b32_e32 v2, v2, v8
	v_xor_b32_e32 v1, v21, v7
	v_mad_u64_u32 v[2:3], s[4:5], v2, s15, 0
	v_xor_b32_e32 v1, v1, v2
	v_mad_u64_u32 v[8:9], s[4:5], v1, s16, 0
	s_mov_b32 s4, 0x1fd5c5a3
	v_add_co_u32_e32 v37, vcc, s4, v4
	v_xor_b32_e32 v1, v37, v3
	v_xor_b32_e32 v1, v1, v12
	v_mad_u64_u32 v[2:3], s[4:5], v1, s16, 0
	s_mov_b32 s4, 0xf1bbcdc8
	v_add_u32_e32 v19, 0x8ff34781, v14
	v_xor_b32_e32 v1, v9, v2
	v_add_co_u32_e32 v38, vcc, s4, v14
	v_xor_b32_e32 v2, v19, v1
	v_xor_b32_e32 v1, v38, v3
	;; [unrolled: 1-line block ×3, first 2 shown]
	v_mad_u64_u32 v[10:11], s[4:5], v1, s15, 0
	v_add_u32_e32 v20, 0x96a522ad, v15
	v_xor_b32_e32 v1, v11, v6
	s_mul_i32 s4, s6, s7
	v_xor_b32_e32 v4, v20, v1
	v_add_u32_e32 v1, s4, v0
	s_waitcnt lgkmcnt(0)
	s_mul_i32 s4, s17, s19
	s_mul_i32 s4, s4, s7
	s_lshl_b32 s18, s4, 2
	s_add_i32 s4, s6, s17
	s_mul_i32 s4, s4, s7
	s_mov_b32 s14, 0
	v_add_u32_e32 v0, s4, v0
	v_mov_b32_e32 v3, v8
	v_mov_b32_e32 v5, v10
	v_cvt_f32_f64_e32 v39, s[10:11]
	v_mul_lo_u32 v40, s19, v1
	v_mul_lo_u32 v41, s19, v0
	s_mov_b64 s[4:5], 0
	s_mov_b32 s17, s14
	v_mov_b32_e32 v42, v16
	v_mov_b32_e32 v43, v17
	s_branch .LBB137_8
.LBB137_7:                              ;   in Loop: Header=BB137_8 Depth=1
	s_or_b64 exec, exec, s[6:7]
	v_add_co_u32_e32 v16, vcc, s13, v16
	v_addc_co_u32_e32 v17, vcc, 0, v17, vcc
	v_mov_b32_e32 v9, v0
	s_add_i32 s17, s17, s18
	v_cmp_le_i64_e32 vcc, s[2:3], v[16:17]
	v_pk_mov_b32 v[2:3], v[6:7], v[6:7] op_sel:[0,1]
	s_or_b64 s[4:5], vcc, s[4:5]
	v_pk_mov_b32 v[4:5], v[8:9], v[8:9] op_sel:[0,1]
	s_barrier
	s_andn2_b64 exec, exec, s[4:5]
	s_cbranch_execz .LBB137_22
.LBB137_8:                              ; =>This Inner Loop Header: Depth=1
	v_add_co_u32_e32 v29, vcc, 1, v29
	v_cndmask_b32_e64 v0, 0, 1, vcc
	v_addc_co_u32_e32 v30, vcc, 0, v30, vcc
	v_cmp_eq_u32_e32 vcc, 0, v30
	v_cndmask_b32_e32 v0, 0, v0, vcc
	v_add_u32_e32 v42, v0, v42
	v_cmp_eq_u32_e32 vcc, 0, v42
	v_cndmask_b32_e32 v0, 0, v0, vcc
	v_add_u32_e32 v43, v0, v43
	v_mad_u64_u32 v[0:1], s[6:7], v29, s15, 0
	v_mad_u64_u32 v[6:7], s[6:7], v42, s16, 0
	v_xor_b32_e32 v1, v1, v15
	v_xor_b32_e32 v7, v7, v14
	v_xor_b32_e32 v1, v43, v1
	v_xor_b32_e32 v7, v30, v7
	v_mad_u64_u32 v[10:11], s[6:7], v1, s16, 0
	v_mad_u64_u32 v[8:9], s[6:7], v7, s15, 0
	v_xor_b32_e32 v1, v28, v11
	v_xor_b32_e32 v1, v1, v6
	v_xor_b32_e32 v6, v31, v9
	v_xor_b32_e32 v6, v6, v0
	v_mad_u64_u32 v[0:1], s[6:7], v1, s15, 0
	v_mad_u64_u32 v[6:7], s[6:7], v6, s16, 0
	v_xor_b32_e32 v1, v27, v1
	v_xor_b32_e32 v7, v32, v7
	v_xor_b32_e32 v1, v1, v8
	v_xor_b32_e32 v7, v7, v10
	v_mad_u64_u32 v[10:11], s[6:7], v1, s16, 0
	v_mad_u64_u32 v[8:9], s[6:7], v7, s15, 0
	v_xor_b32_e32 v1, v26, v11
	v_xor_b32_e32 v1, v1, v6
	v_xor_b32_e32 v6, v33, v9
	v_xor_b32_e32 v6, v6, v0
	v_mad_u64_u32 v[0:1], s[6:7], v1, s15, 0
	v_mad_u64_u32 v[6:7], s[6:7], v6, s16, 0
	v_xor_b32_e32 v1, v25, v1
	v_xor_b32_e32 v7, v34, v7
	v_xor_b32_e32 v1, v1, v8
	v_xor_b32_e32 v7, v7, v10
	v_mad_u64_u32 v[10:11], s[6:7], v1, s16, 0
	v_mad_u64_u32 v[8:9], s[6:7], v7, s15, 0
	v_xor_b32_e32 v1, v24, v11
	v_xor_b32_e32 v1, v1, v6
	v_xor_b32_e32 v6, v35, v9
	v_xor_b32_e32 v6, v6, v0
	v_mad_u64_u32 v[0:1], s[6:7], v1, s15, 0
	v_mad_u64_u32 v[6:7], s[6:7], v6, s16, 0
	v_xor_b32_e32 v1, v23, v1
	v_xor_b32_e32 v7, v36, v7
	v_xor_b32_e32 v1, v1, v8
	v_xor_b32_e32 v7, v7, v10
	v_mad_u64_u32 v[10:11], s[6:7], v1, s16, 0
	v_mad_u64_u32 v[8:9], s[6:7], v7, s15, 0
	v_xor_b32_e32 v1, v22, v11
	v_xor_b32_e32 v1, v1, v6
	v_xor_b32_e32 v6, v37, v9
	v_xor_b32_e32 v0, v6, v0
	v_mad_u64_u32 v[6:7], s[6:7], v0, s16, 0
	v_mad_u64_u32 v[44:45], s[6:7], v1, s15, 0
	v_xor_b32_e32 v0, v38, v7
	v_xor_b32_e32 v0, v0, v10
	v_xor_b32_e32 v1, v21, v45
	v_xor_b32_e32 v7, v1, v8
	v_mad_u64_u32 v[0:1], s[6:7], v0, s15, 0
	v_mad_u64_u32 v[12:13], s[6:7], v7, s16, 0
	v_xor_b32_e32 v1, v1, v44
	v_xor_b32_e32 v6, v13, v6
	v_xor_b32_e32 v13, v20, v1
	v_xor_b32_e32 v6, v19, v6
	v_mov_b32_e32 v7, v12
	v_mov_b32_e32 v8, v13
	v_cmp_lt_i32_e32 vcc, 1, v18
	s_and_saveexec_b64 s[6:7], vcc
	s_xor_b64 s[6:7], exec, s[6:7]
	s_cbranch_execnz .LBB137_14
; %bb.9:                                ;   in Loop: Header=BB137_8 Depth=1
	s_andn2_saveexec_b64 s[6:7], s[6:7]
	s_cbranch_execnz .LBB137_19
.LBB137_10:                             ;   in Loop: Header=BB137_8 Depth=1
	s_or_b64 exec, exec, s[6:7]
	v_cmp_gt_i64_e32 vcc, s[0:1], v[16:17]
	s_and_saveexec_b64 s[6:7], vcc
	s_cbranch_execz .LBB137_12
.LBB137_11:                             ;   in Loop: Header=BB137_8 Depth=1
	v_lshrrev_b32_e32 v1, 11, v3
	v_cvt_f64_u32_e32 v[10:11], v1
	v_ldexp_f64 v[10:11], v[10:11], 32
	v_cvt_f64_u32_e32 v[2:3], v2
	v_add_f64 v[2:3], v[10:11], v[2:3]
	v_mov_b32_e32 v10, 0
	v_mov_b32_e32 v11, 0x3ca00000
	v_fmac_f64_e32 v[10:11], 0x3ca00000, v[2:3]
	v_add_u32_e32 v2, s17, v40
	v_ashrrev_i32_e32 v3, 31, v2
	v_mov_b32_e32 v9, s9
	v_add_co_u32_e32 v2, vcc, s8, v2
	v_cvt_f32_f64_e32 v1, v[10:11]
	v_addc_co_u32_e32 v3, vcc, v9, v3, vcc
	v_cmp_gt_f32_e32 vcc, v39, v1
	v_cndmask_b32_e64 v1, 0, 1, vcc
	global_store_short v[2:3], v1, off
.LBB137_12:                             ;   in Loop: Header=BB137_8 Depth=1
	s_or_b64 exec, exec, s[6:7]
	v_mov_b32_e32 v1, s14
	v_add_co_u32_e32 v2, vcc, s12, v16
	v_addc_co_u32_e32 v3, vcc, v1, v17, vcc
	v_cmp_gt_i64_e32 vcc, s[0:1], v[2:3]
	s_and_saveexec_b64 s[6:7], vcc
	s_cbranch_execz .LBB137_7
; %bb.13:                               ;   in Loop: Header=BB137_8 Depth=1
	v_lshrrev_b32_e32 v1, 11, v5
	v_cvt_f64_u32_e32 v[2:3], v1
	v_ldexp_f64 v[2:3], v[2:3], 32
	v_cvt_f64_u32_e32 v[4:5], v4
	v_add_f64 v[2:3], v[2:3], v[4:5]
	v_mov_b32_e32 v4, 0
	v_mov_b32_e32 v5, 0x3ca00000
	v_fmac_f64_e32 v[4:5], 0x3ca00000, v[2:3]
	v_add_u32_e32 v2, s17, v41
	v_cvt_f32_f64_e32 v1, v[4:5]
	v_ashrrev_i32_e32 v3, 31, v2
	v_mov_b32_e32 v4, s9
	v_add_co_u32_e32 v2, vcc, s8, v2
	v_addc_co_u32_e32 v3, vcc, v4, v3, vcc
	v_cmp_gt_f32_e32 vcc, v39, v1
	v_cndmask_b32_e64 v1, 0, 1, vcc
	global_store_short v[2:3], v1, off
	s_branch .LBB137_7
.LBB137_14:                             ;   in Loop: Header=BB137_8 Depth=1
	v_cmp_lt_i32_e32 vcc, 2, v18
	s_and_saveexec_b64 s[10:11], vcc
	s_xor_b64 s[10:11], exec, s[10:11]
; %bb.15:                               ;   in Loop: Header=BB137_8 Depth=1
	v_mov_b32_e32 v10, v5
	v_mov_b32_e32 v11, v6
	v_pk_mov_b32 v[2:3], v[10:11], v[10:11] op_sel:[0,1]
	v_pk_mov_b32 v[4:5], v[12:13], v[12:13] op_sel:[0,1]
                                        ; implicit-def: $vgpr12_vgpr13
; %bb.16:                               ;   in Loop: Header=BB137_8 Depth=1
	s_andn2_saveexec_b64 s[10:11], s[10:11]
; %bb.17:                               ;   in Loop: Header=BB137_8 Depth=1
	v_mov_b32_e32 v2, v4
	v_mov_b32_e32 v3, v5
	;; [unrolled: 1-line block ×4, first 2 shown]
; %bb.18:                               ;   in Loop: Header=BB137_8 Depth=1
	s_or_b64 exec, exec, s[10:11]
	s_andn2_saveexec_b64 s[6:7], s[6:7]
	s_cbranch_execz .LBB137_10
.LBB137_19:                             ;   in Loop: Header=BB137_8 Depth=1
	v_cmp_eq_u32_e32 vcc, 1, v18
	s_and_saveexec_b64 s[10:11], vcc
; %bb.20:                               ;   in Loop: Header=BB137_8 Depth=1
	v_mov_b32_e32 v2, v3
	v_mov_b32_e32 v3, v4
	;; [unrolled: 1-line block ×4, first 2 shown]
; %bb.21:                               ;   in Loop: Header=BB137_8 Depth=1
	s_or_b64 exec, exec, s[10:11]
	s_or_b64 exec, exec, s[6:7]
	v_cmp_gt_i64_e32 vcc, s[0:1], v[16:17]
	s_and_saveexec_b64 s[6:7], vcc
	s_cbranch_execnz .LBB137_11
	s_branch .LBB137_12
.LBB137_22:
	s_endpgm
.LBB137_23:
                                        ; implicit-def: $sgpr8_sgpr9
	s_andn2_b64 vcc, exec, s[2:3]
	s_cbranch_vccz .LBB137_4
	s_branch .LBB137_5
	.section	.rodata,"a",@progbits
	.p2align	6, 0x0
	.amdhsa_kernel _ZN2at6native12_GLOBAL__N_143distribution_elementwise_grid_stride_kernelIfLi4EZNS0_9templates4cuda21uniform_and_transformIsfPNS_17CUDAGeneratorImplEZZZNS4_16bernoulli_kernelIS7_EEvRNS_18TensorIteratorBaseEdT_ENKUlvE_clEvENKUlvE3_clEvEUlfE_EEvSA_T1_T2_EUlP25hiprandStatePhilox4_32_10E_ZNS1_27distribution_nullary_kernelIsf15HIP_vector_typeIdLj2EES7_SJ_SE_EEvSA_SG_RKT3_T4_EUlifE_EEvlNS_15PhiloxCudaStateESF_SG_
		.amdhsa_group_segment_fixed_size 0
		.amdhsa_private_segment_fixed_size 0
		.amdhsa_kernarg_size 328
		.amdhsa_user_sgpr_count 6
		.amdhsa_user_sgpr_private_segment_buffer 1
		.amdhsa_user_sgpr_dispatch_ptr 0
		.amdhsa_user_sgpr_queue_ptr 0
		.amdhsa_user_sgpr_kernarg_segment_ptr 1
		.amdhsa_user_sgpr_dispatch_id 0
		.amdhsa_user_sgpr_flat_scratch_init 0
		.amdhsa_user_sgpr_kernarg_preload_length 0
		.amdhsa_user_sgpr_kernarg_preload_offset 0
		.amdhsa_user_sgpr_private_segment_size 0
		.amdhsa_uses_dynamic_stack 0
		.amdhsa_system_sgpr_private_segment_wavefront_offset 0
		.amdhsa_system_sgpr_workgroup_id_x 1
		.amdhsa_system_sgpr_workgroup_id_y 0
		.amdhsa_system_sgpr_workgroup_id_z 0
		.amdhsa_system_sgpr_workgroup_info 0
		.amdhsa_system_vgpr_workitem_id 0
		.amdhsa_next_free_vgpr 46
		.amdhsa_next_free_sgpr 24
		.amdhsa_accum_offset 48
		.amdhsa_reserve_vcc 1
		.amdhsa_reserve_flat_scratch 0
		.amdhsa_float_round_mode_32 0
		.amdhsa_float_round_mode_16_64 0
		.amdhsa_float_denorm_mode_32 3
		.amdhsa_float_denorm_mode_16_64 3
		.amdhsa_dx10_clamp 1
		.amdhsa_ieee_mode 1
		.amdhsa_fp16_overflow 0
		.amdhsa_tg_split 0
		.amdhsa_exception_fp_ieee_invalid_op 0
		.amdhsa_exception_fp_denorm_src 0
		.amdhsa_exception_fp_ieee_div_zero 0
		.amdhsa_exception_fp_ieee_overflow 0
		.amdhsa_exception_fp_ieee_underflow 0
		.amdhsa_exception_fp_ieee_inexact 0
		.amdhsa_exception_int_div_zero 0
	.end_amdhsa_kernel
	.section	.text._ZN2at6native12_GLOBAL__N_143distribution_elementwise_grid_stride_kernelIfLi4EZNS0_9templates4cuda21uniform_and_transformIsfPNS_17CUDAGeneratorImplEZZZNS4_16bernoulli_kernelIS7_EEvRNS_18TensorIteratorBaseEdT_ENKUlvE_clEvENKUlvE3_clEvEUlfE_EEvSA_T1_T2_EUlP25hiprandStatePhilox4_32_10E_ZNS1_27distribution_nullary_kernelIsf15HIP_vector_typeIdLj2EES7_SJ_SE_EEvSA_SG_RKT3_T4_EUlifE_EEvlNS_15PhiloxCudaStateESF_SG_,"axG",@progbits,_ZN2at6native12_GLOBAL__N_143distribution_elementwise_grid_stride_kernelIfLi4EZNS0_9templates4cuda21uniform_and_transformIsfPNS_17CUDAGeneratorImplEZZZNS4_16bernoulli_kernelIS7_EEvRNS_18TensorIteratorBaseEdT_ENKUlvE_clEvENKUlvE3_clEvEUlfE_EEvSA_T1_T2_EUlP25hiprandStatePhilox4_32_10E_ZNS1_27distribution_nullary_kernelIsf15HIP_vector_typeIdLj2EES7_SJ_SE_EEvSA_SG_RKT3_T4_EUlifE_EEvlNS_15PhiloxCudaStateESF_SG_,comdat
.Lfunc_end137:
	.size	_ZN2at6native12_GLOBAL__N_143distribution_elementwise_grid_stride_kernelIfLi4EZNS0_9templates4cuda21uniform_and_transformIsfPNS_17CUDAGeneratorImplEZZZNS4_16bernoulli_kernelIS7_EEvRNS_18TensorIteratorBaseEdT_ENKUlvE_clEvENKUlvE3_clEvEUlfE_EEvSA_T1_T2_EUlP25hiprandStatePhilox4_32_10E_ZNS1_27distribution_nullary_kernelIsf15HIP_vector_typeIdLj2EES7_SJ_SE_EEvSA_SG_RKT3_T4_EUlifE_EEvlNS_15PhiloxCudaStateESF_SG_, .Lfunc_end137-_ZN2at6native12_GLOBAL__N_143distribution_elementwise_grid_stride_kernelIfLi4EZNS0_9templates4cuda21uniform_and_transformIsfPNS_17CUDAGeneratorImplEZZZNS4_16bernoulli_kernelIS7_EEvRNS_18TensorIteratorBaseEdT_ENKUlvE_clEvENKUlvE3_clEvEUlfE_EEvSA_T1_T2_EUlP25hiprandStatePhilox4_32_10E_ZNS1_27distribution_nullary_kernelIsf15HIP_vector_typeIdLj2EES7_SJ_SE_EEvSA_SG_RKT3_T4_EUlifE_EEvlNS_15PhiloxCudaStateESF_SG_
                                        ; -- End function
	.section	.AMDGPU.csdata,"",@progbits
; Kernel info:
; codeLenInByte = 2300
; NumSgprs: 28
; NumVgprs: 46
; NumAgprs: 0
; TotalNumVgprs: 46
; ScratchSize: 0
; MemoryBound: 0
; FloatMode: 240
; IeeeMode: 1
; LDSByteSize: 0 bytes/workgroup (compile time only)
; SGPRBlocks: 3
; VGPRBlocks: 5
; NumSGPRsForWavesPerEU: 28
; NumVGPRsForWavesPerEU: 46
; AccumOffset: 48
; Occupancy: 8
; WaveLimiterHint : 0
; COMPUTE_PGM_RSRC2:SCRATCH_EN: 0
; COMPUTE_PGM_RSRC2:USER_SGPR: 6
; COMPUTE_PGM_RSRC2:TRAP_HANDLER: 0
; COMPUTE_PGM_RSRC2:TGID_X_EN: 1
; COMPUTE_PGM_RSRC2:TGID_Y_EN: 0
; COMPUTE_PGM_RSRC2:TGID_Z_EN: 0
; COMPUTE_PGM_RSRC2:TIDIG_COMP_CNT: 0
; COMPUTE_PGM_RSRC3_GFX90A:ACCUM_OFFSET: 11
; COMPUTE_PGM_RSRC3_GFX90A:TG_SPLIT: 0
	.section	.text._ZN2at6native12_GLOBAL__N_143distribution_elementwise_grid_stride_kernelIfLi4EZNS0_9templates4cuda21uniform_and_transformIsfPNS_17CUDAGeneratorImplEZZZNS4_16bernoulli_kernelIS7_EEvRNS_18TensorIteratorBaseEdT_ENKUlvE_clEvENKUlvE3_clEvEUlfE_EEvSA_T1_T2_EUlP25hiprandStatePhilox4_32_10E_ZNS1_27distribution_nullary_kernelIsf15HIP_vector_typeIdLj2EES7_SJ_SE_EEvSA_SG_RKT3_T4_EUlifE0_EEvlNS_15PhiloxCudaStateESF_SG_,"axG",@progbits,_ZN2at6native12_GLOBAL__N_143distribution_elementwise_grid_stride_kernelIfLi4EZNS0_9templates4cuda21uniform_and_transformIsfPNS_17CUDAGeneratorImplEZZZNS4_16bernoulli_kernelIS7_EEvRNS_18TensorIteratorBaseEdT_ENKUlvE_clEvENKUlvE3_clEvEUlfE_EEvSA_T1_T2_EUlP25hiprandStatePhilox4_32_10E_ZNS1_27distribution_nullary_kernelIsf15HIP_vector_typeIdLj2EES7_SJ_SE_EEvSA_SG_RKT3_T4_EUlifE0_EEvlNS_15PhiloxCudaStateESF_SG_,comdat
	.globl	_ZN2at6native12_GLOBAL__N_143distribution_elementwise_grid_stride_kernelIfLi4EZNS0_9templates4cuda21uniform_and_transformIsfPNS_17CUDAGeneratorImplEZZZNS4_16bernoulli_kernelIS7_EEvRNS_18TensorIteratorBaseEdT_ENKUlvE_clEvENKUlvE3_clEvEUlfE_EEvSA_T1_T2_EUlP25hiprandStatePhilox4_32_10E_ZNS1_27distribution_nullary_kernelIsf15HIP_vector_typeIdLj2EES7_SJ_SE_EEvSA_SG_RKT3_T4_EUlifE0_EEvlNS_15PhiloxCudaStateESF_SG_ ; -- Begin function _ZN2at6native12_GLOBAL__N_143distribution_elementwise_grid_stride_kernelIfLi4EZNS0_9templates4cuda21uniform_and_transformIsfPNS_17CUDAGeneratorImplEZZZNS4_16bernoulli_kernelIS7_EEvRNS_18TensorIteratorBaseEdT_ENKUlvE_clEvENKUlvE3_clEvEUlfE_EEvSA_T1_T2_EUlP25hiprandStatePhilox4_32_10E_ZNS1_27distribution_nullary_kernelIsf15HIP_vector_typeIdLj2EES7_SJ_SE_EEvSA_SG_RKT3_T4_EUlifE0_EEvlNS_15PhiloxCudaStateESF_SG_
	.p2align	8
	.type	_ZN2at6native12_GLOBAL__N_143distribution_elementwise_grid_stride_kernelIfLi4EZNS0_9templates4cuda21uniform_and_transformIsfPNS_17CUDAGeneratorImplEZZZNS4_16bernoulli_kernelIS7_EEvRNS_18TensorIteratorBaseEdT_ENKUlvE_clEvENKUlvE3_clEvEUlfE_EEvSA_T1_T2_EUlP25hiprandStatePhilox4_32_10E_ZNS1_27distribution_nullary_kernelIsf15HIP_vector_typeIdLj2EES7_SJ_SE_EEvSA_SG_RKT3_T4_EUlifE0_EEvlNS_15PhiloxCudaStateESF_SG_,@function
_ZN2at6native12_GLOBAL__N_143distribution_elementwise_grid_stride_kernelIfLi4EZNS0_9templates4cuda21uniform_and_transformIsfPNS_17CUDAGeneratorImplEZZZNS4_16bernoulli_kernelIS7_EEvRNS_18TensorIteratorBaseEdT_ENKUlvE_clEvENKUlvE3_clEvEUlfE_EEvSA_T1_T2_EUlP25hiprandStatePhilox4_32_10E_ZNS1_27distribution_nullary_kernelIsf15HIP_vector_typeIdLj2EES7_SJ_SE_EEvSA_SG_RKT3_T4_EUlifE0_EEvlNS_15PhiloxCudaStateESF_SG_: ; @_ZN2at6native12_GLOBAL__N_143distribution_elementwise_grid_stride_kernelIfLi4EZNS0_9templates4cuda21uniform_and_transformIsfPNS_17CUDAGeneratorImplEZZZNS4_16bernoulli_kernelIS7_EEvRNS_18TensorIteratorBaseEdT_ENKUlvE_clEvENKUlvE3_clEvEUlfE_EEvSA_T1_T2_EUlP25hiprandStatePhilox4_32_10E_ZNS1_27distribution_nullary_kernelIsf15HIP_vector_typeIdLj2EES7_SJ_SE_EEvSA_SG_RKT3_T4_EUlifE0_EEvlNS_15PhiloxCudaStateESF_SG_
; %bb.0:
	s_load_dword s2, s[4:5], 0x20
	s_load_dwordx2 s[0:1], s[4:5], 0x10
	s_load_dwordx4 s[24:27], s[4:5], 0x0
	s_waitcnt lgkmcnt(0)
	s_bitcmp0_b32 s2, 0
	s_mov_b32 s2, 0
	v_pk_mov_b32 v[2:3], s[0:1], s[0:1] op_sel:[0,1]
	v_pk_mov_b32 v[12:13], s[26:27], s[26:27] op_sel:[0,1]
	s_cbranch_scc1 .LBB138_2
; %bb.1:
	v_pk_mov_b32 v[2:3], s[0:1], s[0:1] op_sel:[0,1]
	flat_load_dwordx2 v[2:3], v[2:3]
	v_pk_mov_b32 v[4:5], s[26:27], s[26:27] op_sel:[0,1]
	flat_load_dwordx2 v[12:13], v[4:5]
	s_load_dwordx2 s[0:1], s[4:5], 0x18
	s_waitcnt lgkmcnt(0)
	v_mov_b32_e32 v1, s1
	s_waitcnt vmcnt(0)
	v_add_co_u32_e32 v2, vcc, s0, v2
	v_addc_co_u32_e32 v3, vcc, v3, v1, vcc
.LBB138_2:
	s_load_dword s0, s[4:5], 0x154
	s_load_dword s7, s[4:5], 0x148
	s_waitcnt lgkmcnt(0)
	s_and_b32 s8, s0, 0xffff
	s_add_u32 s9, s24, -1
	s_mul_i32 s33, s7, s8
	s_addc_u32 s3, s25, -1
	s_lshl_b32 s58, s33, 2
	s_cmp_lg_u64 s[2:3], 0
	s_mov_b64 s[0:1], -1
	s_cbranch_scc0 .LBB138_51
; %bb.3:
	v_cvt_f32_u32_e32 v1, s58
	v_cvt_f32_ubyte0_e32 v4, 0
	s_sub_u32 s2, 0, s58
	s_subb_u32 s10, 0, 0
	v_madmk_f32 v1, v4, 0x4f800000, v1
	v_rcp_f32_e32 v1, v1
	v_mul_f32_e32 v1, 0x5f7ffffc, v1
	v_mul_f32_e32 v4, 0x2f800000, v1
	v_trunc_f32_e32 v4, v4
	v_madmk_f32 v1, v4, 0xcf800000, v1
	v_cvt_u32_f32_e32 v4, v4
	v_cvt_u32_f32_e32 v1, v1
	v_readfirstlane_b32 s11, v4
	v_readfirstlane_b32 s12, v1
	s_mul_i32 s13, s2, s11
	s_mul_hi_u32 s15, s2, s12
	s_mul_i32 s14, s10, s12
	s_add_i32 s13, s15, s13
	s_add_i32 s13, s13, s14
	s_mul_i32 s16, s2, s12
	s_mul_hi_u32 s14, s12, s13
	s_mul_i32 s15, s12, s13
	s_mul_hi_u32 s12, s12, s16
	s_add_u32 s12, s12, s15
	s_addc_u32 s14, 0, s14
	s_mul_hi_u32 s17, s11, s16
	s_mul_i32 s16, s11, s16
	s_add_u32 s12, s12, s16
	s_mul_hi_u32 s15, s11, s13
	s_addc_u32 s12, s14, s17
	s_addc_u32 s14, s15, 0
	s_mul_i32 s13, s11, s13
	s_add_u32 s12, s12, s13
	s_addc_u32 s13, 0, s14
	v_add_co_u32_e32 v1, vcc, s12, v1
	s_cmp_lg_u64 vcc, 0
	s_addc_u32 s11, s11, s13
	v_readfirstlane_b32 s13, v1
	s_mul_i32 s12, s2, s11
	s_mul_hi_u32 s14, s2, s13
	s_add_i32 s12, s14, s12
	s_mul_i32 s10, s10, s13
	s_add_i32 s12, s12, s10
	s_mul_i32 s2, s2, s13
	s_mul_hi_u32 s14, s11, s2
	s_mul_i32 s15, s11, s2
	s_mul_i32 s17, s13, s12
	s_mul_hi_u32 s2, s13, s2
	s_mul_hi_u32 s16, s13, s12
	s_add_u32 s2, s2, s17
	s_addc_u32 s13, 0, s16
	s_add_u32 s2, s2, s15
	s_mul_hi_u32 s10, s11, s12
	s_addc_u32 s2, s13, s14
	s_addc_u32 s10, s10, 0
	s_mul_i32 s12, s11, s12
	s_add_u32 s2, s2, s12
	s_addc_u32 s10, 0, s10
	v_add_co_u32_e32 v1, vcc, s2, v1
	s_cmp_lg_u64 vcc, 0
	s_addc_u32 s12, s11, s10
	s_ashr_i32 s10, s3, 31
	s_add_u32 s2, s9, s10
	s_mov_b32 s11, s10
	s_addc_u32 s3, s3, s10
	s_xor_b64 s[2:3], s[2:3], s[10:11]
	v_readfirstlane_b32 s15, v1
	s_mul_i32 s14, s2, s12
	s_mul_hi_u32 s16, s2, s15
	s_mul_hi_u32 s13, s2, s12
	s_add_u32 s14, s16, s14
	s_addc_u32 s13, 0, s13
	s_mul_hi_u32 s17, s3, s15
	s_mul_i32 s15, s3, s15
	s_add_u32 s14, s14, s15
	s_mul_hi_u32 s16, s3, s12
	s_addc_u32 s13, s13, s17
	s_addc_u32 s14, s16, 0
	s_mul_i32 s12, s3, s12
	s_add_u32 s12, s13, s12
	s_addc_u32 s13, 0, s14
	s_add_u32 s14, s12, 1
	s_addc_u32 s15, s13, 0
	s_add_u32 s16, s12, 2
	s_mul_i32 s18, s58, s13
	s_mul_hi_u32 s19, s58, s12
	s_addc_u32 s17, s13, 0
	s_add_i32 s19, s19, s18
	s_mul_i32 s18, s58, s12
	v_mov_b32_e32 v1, s18
	v_sub_co_u32_e32 v1, vcc, s2, v1
	s_cmp_lg_u64 vcc, 0
	s_subb_u32 s2, s3, s19
	v_subrev_co_u32_e32 v4, vcc, s58, v1
	s_cmp_lg_u64 vcc, 0
	s_subb_u32 s3, s2, 0
	v_readfirstlane_b32 s18, v4
	s_cmp_ge_u32 s18, s58
	s_cselect_b32 s18, -1, 0
	s_cmp_eq_u32 s3, 0
	s_cselect_b32 s3, s18, -1
	s_cmp_lg_u32 s3, 0
	s_cselect_b32 s3, s17, s15
	v_readfirstlane_b32 s15, v1
	s_cselect_b32 s14, s16, s14
	s_cmp_ge_u32 s15, s58
	s_cselect_b32 s15, -1, 0
	s_cmp_eq_u32 s2, 0
	s_cselect_b32 s2, s15, -1
	s_cmp_lg_u32 s2, 0
	s_cselect_b32 s3, s3, s13
	s_cselect_b32 s2, s14, s12
	s_xor_b64 s[2:3], s[2:3], s[10:11]
	s_sub_u32 s2, s2, s10
	s_subb_u32 s3, s3, s10
	s_cbranch_execnz .LBB138_5
.LBB138_4:
	v_cvt_f32_u32_e32 v1, s58
	s_sub_i32 s0, 0, s58
	s_mov_b32 s3, 0
	v_rcp_iflag_f32_e32 v1, v1
	v_mul_f32_e32 v1, 0x4f7ffffe, v1
	v_cvt_u32_f32_e32 v1, v1
	v_readfirstlane_b32 s1, v1
	s_mul_i32 s0, s0, s1
	s_mul_hi_u32 s0, s1, s0
	s_add_i32 s1, s1, s0
	s_mul_hi_u32 s0, s9, s1
	s_mul_i32 s2, s0, s58
	s_sub_i32 s2, s9, s2
	s_add_i32 s1, s0, 1
	s_sub_i32 s9, s2, s58
	s_cmp_ge_u32 s2, s58
	s_cselect_b32 s0, s1, s0
	s_cselect_b32 s2, s9, s2
	s_add_i32 s1, s0, 1
	s_cmp_ge_u32 s2, s58
	s_cselect_b32 s2, s1, s0
.LBB138_5:
	v_mov_b32_e32 v1, 0
	v_mov_b32_e32 v4, s6
	v_mad_u64_u32 v[14:15], s[0:1], s8, v4, v[0:1]
	s_add_u32 s0, s2, 1
	s_addc_u32 s1, s3, 0
	s_mul_hi_u32 s2, s7, s8
	s_mul_i32 s1, s33, s1
	s_mul_hi_u32 s3, s33, s0
	s_add_i32 s1, s3, s1
	s_mul_i32 s2, s2, s0
	s_add_i32 s1, s1, s2
	s_mul_i32 s0, s33, s0
	s_lshl_b64 s[26:27], s[0:1], 2
	v_cmp_gt_i64_e32 vcc, s[26:27], v[14:15]
	s_and_saveexec_b64 s[0:1], vcc
	s_cbranch_execz .LBB138_50
; %bb.6:
	s_mov_b32 s0, 0x5384540f
	v_mov_b32_e32 v0, v13
	v_add_co_u32_e32 v22, vcc, s0, v12
	s_mov_b32 s0, 0x646e171e
	v_add_co_u32_e32 v23, vcc, s0, v0
	s_mov_b32 s0, 0x1715609d
	;; [unrolled: 2-line block ×6, first 2 shown]
	v_alignbit_b32 v29, v3, v2, 2
	s_mov_b32 s60, 0xd2511f53
	v_add_co_u32_e32 v28, vcc, s0, v12
	v_mad_u64_u32 v[4:5], s[0:1], v29, s60, 0
	v_xor_b32_e32 v1, v5, v13
	v_xor_b32_e32 v1, v1, v15
	s_mov_b32 s61, 0xcd9e8d57
	v_mad_u64_u32 v[6:7], s[0:1], v1, s61, 0
	v_xor_b32_e32 v1, v28, v7
	v_mad_u64_u32 v[8:9], s[0:1], v14, s61, 0
	v_and_b32_e32 v18, 3, v2
	v_xor_b32_e32 v1, v1, v8
	v_xor_b32_e32 v2, v12, v9
	v_lshrrev_b32_e32 v30, 2, v3
	v_mad_u64_u32 v[10:11], s[0:1], v1, s60, 0
	v_xor_b32_e32 v2, v2, v30
	v_xor_b32_e32 v1, v27, v11
	v_mad_u64_u32 v[2:3], s[0:1], v2, s60, 0
	v_xor_b32_e32 v1, v1, v2
	v_mad_u64_u32 v[8:9], s[0:1], v1, s61, 0
	s_mov_b32 s0, 0xbb67ae85
	v_add_co_u32_e32 v31, vcc, s0, v0
	v_xor_b32_e32 v2, v31, v3
	v_xor_b32_e32 v2, v2, v4
	v_xor_b32_e32 v1, v26, v9
	v_mad_u64_u32 v[2:3], s[0:1], v2, s61, 0
	v_xor_b32_e32 v1, v1, v2
	v_mad_u64_u32 v[4:5], s[0:1], v1, s60, 0
	s_mov_b32 s0, 0x3c6ef372
	v_add_co_u32_e32 v32, vcc, s0, v12
	v_xor_b32_e32 v2, v32, v3
	;; [unrolled: 8-line block ×6, first 2 shown]
	v_add_co_u32_e32 v21, vcc, 0xdb3d7428, v0
	v_xor_b32_e32 v2, v2, v6
	v_xor_b32_e32 v1, v21, v5
	v_mad_u64_u32 v[2:3], s[0:1], v2, s60, 0
	v_xor_b32_e32 v1, v1, v2
	v_mad_u64_u32 v[6:7], s[0:1], v1, s61, 0
	s_mov_b32 s0, 0x1fd5c5a3
	v_add_co_u32_e32 v37, vcc, s0, v0
	v_xor_b32_e32 v0, v37, v3
	v_xor_b32_e32 v0, v0, v10
	v_mad_u64_u32 v[0:1], s[0:1], v0, s61, 0
	s_mov_b32 s0, 0xf1bbcdc8
	s_load_dwordx8 s[8:15], s[4:5], 0x30
	v_add_co_u32_e32 v38, vcc, s0, v12
	v_xor_b32_e32 v1, v38, v1
	v_xor_b32_e32 v1, v1, v8
	s_add_u32 s34, s4, 48
	v_mad_u64_u32 v[8:9], s[0:1], v1, s60, 0
	s_addc_u32 s35, s5, 0
	s_waitcnt lgkmcnt(0)
	s_add_i32 s0, s8, -1
	s_cmp_gt_u32 s0, 1
	s_cselect_b64 s[40:41], -1, 0
	s_cmp_lg_u32 s8, 0
	s_cselect_b64 s[42:43], -1, 0
	s_add_u32 s44, s4, 0xf4
	s_addc_u32 s45, s5, 0
	s_load_dwordx2 s[46:47], s[4:5], 0xf4
	s_load_dwordx4 s[28:31], s[4:5], 0x138
	s_min_u32 s1, s0, 15
	s_cmp_gt_u32 s8, 1
	s_cselect_b64 s[48:49], -1, 0
	s_add_i32 s1, s1, 1
	s_mov_b32 s8, s13
	s_and_b32 s13, s1, 3
	s_cmp_lg_u32 s0, 2
	s_waitcnt lgkmcnt(0)
	v_cvt_f32_f64_e32 v39, s[30:31]
	s_cselect_b64 s[30:31], -1, 0
	s_and_b32 s15, s1, 28
	v_add_u32_e32 v19, 0x8ff34781, v12
	v_add_u32_e32 v20, 0x96a522ad, v13
	v_xor_b32_e32 v0, v7, v0
	v_xor_b32_e32 v1, v9, v4
	s_cmp_lg_u32 s13, 0
	s_mov_b32 s59, 0
	v_xor_b32_e32 v0, v19, v0
	v_xor_b32_e32 v2, v20, v1
	v_mov_b32_e32 v1, v6
	v_mov_b32_e32 v3, v8
	s_mov_b64 s[50:51], 0
	s_cselect_b64 s[52:53], -1, 0
	v_mov_b32_e32 v40, v14
	v_mov_b32_e32 v41, v15
	s_branch .LBB138_9
.LBB138_7:                              ;   in Loop: Header=BB138_9 Depth=1
	v_lshrrev_b32_e32 v0, 11, v3
	v_cvt_f64_u32_e32 v[0:1], v0
	v_ldexp_f64 v[0:1], v[0:1], 32
	v_cvt_f64_u32_e32 v[2:3], v2
	v_add_f64 v[0:1], v[0:1], v[2:3]
	v_mov_b32_e32 v2, 0
	v_mov_b32_e32 v3, 0x3ca00000
	v_fmac_f64_e32 v[2:3], 0x3ca00000, v[0:1]
	v_cvt_f32_f64_e32 v0, v[2:3]
	v_cmp_gt_f32_e32 vcc, v39, v0
	v_cndmask_b32_e64 v0, 0, 1, vcc
	global_store_short v8, v0, s[28:29]
.LBB138_8:                              ;   in Loop: Header=BB138_9 Depth=1
	s_or_b64 exec, exec, s[36:37]
	v_add_co_u32_e32 v14, vcc, s58, v14
	v_addc_co_u32_e32 v15, vcc, 0, v15, vcc
	v_mov_b32_e32 v7, v16
	v_cmp_le_i64_e32 vcc, s[26:27], v[14:15]
	v_pk_mov_b32 v[0:1], v[4:5], v[4:5] op_sel:[0,1]
	s_or_b64 s[50:51], vcc, s[50:51]
	v_pk_mov_b32 v[2:3], v[6:7], v[6:7] op_sel:[0,1]
	s_barrier
	s_andn2_b64 exec, exec, s[50:51]
	s_cbranch_execz .LBB138_50
.LBB138_9:                              ; =>This Loop Header: Depth=1
                                        ;     Child Loop BB138_24 Depth 2
                                        ;     Child Loop BB138_30 Depth 2
	;; [unrolled: 1-line block ×4, first 2 shown]
	v_add_co_u32_e32 v29, vcc, 1, v29
	v_cndmask_b32_e64 v4, 0, 1, vcc
	v_addc_co_u32_e32 v30, vcc, 0, v30, vcc
	v_cmp_eq_u32_e32 vcc, 0, v30
	v_cndmask_b32_e32 v4, 0, v4, vcc
	v_add_u32_e32 v40, v4, v40
	v_cmp_eq_u32_e32 vcc, 0, v40
	v_cndmask_b32_e32 v4, 0, v4, vcc
	v_add_u32_e32 v41, v4, v41
	v_mad_u64_u32 v[4:5], s[0:1], v29, s60, 0
	v_mad_u64_u32 v[6:7], s[0:1], v40, s61, 0
	v_xor_b32_e32 v5, v5, v13
	v_xor_b32_e32 v7, v7, v12
	v_xor_b32_e32 v5, v41, v5
	v_xor_b32_e32 v7, v30, v7
	v_mad_u64_u32 v[10:11], s[0:1], v5, s61, 0
	v_mad_u64_u32 v[8:9], s[0:1], v7, s60, 0
	v_xor_b32_e32 v5, v28, v11
	v_xor_b32_e32 v5, v5, v6
	v_xor_b32_e32 v6, v31, v9
	v_xor_b32_e32 v6, v6, v4
	;; [unrolled: 6-line block ×10, first 2 shown]
	v_mov_b32_e32 v5, v10
	v_mov_b32_e32 v6, v11
	v_cmp_lt_i32_e32 vcc, 1, v18
	s_and_saveexec_b64 s[0:1], vcc
	s_xor_b64 s[0:1], exec, s[0:1]
	s_cbranch_execz .LBB138_15
; %bb.10:                               ;   in Loop: Header=BB138_9 Depth=1
	v_cmp_lt_i32_e32 vcc, 2, v18
	s_and_saveexec_b64 s[2:3], vcc
	s_xor_b64 s[2:3], exec, s[2:3]
; %bb.11:                               ;   in Loop: Header=BB138_9 Depth=1
	v_mov_b32_e32 v8, v3
	v_mov_b32_e32 v9, v4
	v_pk_mov_b32 v[0:1], v[8:9], v[8:9] op_sel:[0,1]
	v_pk_mov_b32 v[2:3], v[10:11], v[10:11] op_sel:[0,1]
                                        ; implicit-def: $vgpr10_vgpr11
; %bb.12:                               ;   in Loop: Header=BB138_9 Depth=1
	s_andn2_saveexec_b64 s[2:3], s[2:3]
; %bb.13:                               ;   in Loop: Header=BB138_9 Depth=1
	v_mov_b32_e32 v0, v2
	v_mov_b32_e32 v1, v3
	;; [unrolled: 1-line block ×4, first 2 shown]
; %bb.14:                               ;   in Loop: Header=BB138_9 Depth=1
	s_or_b64 exec, exec, s[2:3]
.LBB138_15:                             ;   in Loop: Header=BB138_9 Depth=1
	s_andn2_saveexec_b64 s[0:1], s[0:1]
	s_cbranch_execz .LBB138_19
; %bb.16:                               ;   in Loop: Header=BB138_9 Depth=1
	v_cmp_eq_u32_e32 vcc, 1, v18
	s_and_saveexec_b64 s[2:3], vcc
; %bb.17:                               ;   in Loop: Header=BB138_9 Depth=1
	v_mov_b32_e32 v0, v1
	v_mov_b32_e32 v1, v2
	v_mov_b32_e32 v2, v3
	v_mov_b32_e32 v3, v4
; %bb.18:                               ;   in Loop: Header=BB138_9 Depth=1
	s_or_b64 exec, exec, s[2:3]
.LBB138_19:                             ;   in Loop: Header=BB138_9 Depth=1
	s_or_b64 exec, exec, s[0:1]
	v_cndmask_b32_e64 v7, 0, 1, s[40:41]
	v_cmp_gt_i64_e32 vcc, s[24:25], v[14:15]
	v_cmp_ne_u32_e64 s[0:1], 1, v7
	s_and_saveexec_b64 s[2:3], vcc
	s_cbranch_execz .LBB138_35
; %bb.20:                               ;   in Loop: Header=BB138_9 Depth=1
	s_and_b64 vcc, exec, s[0:1]
	s_cbranch_vccnz .LBB138_26
; %bb.21:                               ;   in Loop: Header=BB138_9 Depth=1
	s_andn2_b64 vcc, exec, s[42:43]
	s_cbranch_vccnz .LBB138_27
; %bb.22:                               ;   in Loop: Header=BB138_9 Depth=1
	s_mov_b32 s6, 0
	s_andn2_b64 vcc, exec, s[30:31]
	v_mov_b32_e32 v8, 0
	s_cbranch_vccnz .LBB138_28
; %bb.23:                               ;   in Loop: Header=BB138_9 Depth=1
	s_mov_b32 s62, 0
	v_mov_b32_e32 v8, 0
	s_mov_b64 s[54:55], s[34:35]
	s_mov_b64 s[56:57], s[44:45]
	v_mov_b32_e32 v7, v14
.LBB138_24:                             ;   Parent Loop BB138_9 Depth=1
                                        ; =>  This Inner Loop Header: Depth=2
	s_load_dwordx8 s[16:23], s[54:55], 0x4
	s_load_dwordx4 s[4:7], s[54:55], 0x24
	s_load_dwordx4 s[36:39], s[56:57], 0x0
	s_add_u32 s54, s54, 48
	s_addc_u32 s55, s55, 0
	s_waitcnt lgkmcnt(0)
	v_mul_hi_u32 v9, s17, v7
	v_add_u32_e32 v9, v7, v9
	v_lshrrev_b32_e32 v9, s18, v9
	v_mul_lo_u32 v10, v9, s16
	v_mul_hi_u32 v11, s20, v9
	v_sub_u32_e32 v7, v7, v10
	v_add_u32_e32 v10, v9, v11
	v_lshrrev_b32_e32 v10, s21, v10
	v_mul_lo_u32 v11, v10, s19
	v_mul_hi_u32 v17, s23, v10
	v_sub_u32_e32 v9, v9, v11
	v_add_u32_e32 v11, v10, v17
	v_mul_lo_u32 v7, v7, s36
	v_mul_lo_u32 v9, v9, s37
	v_lshrrev_b32_e32 v11, s4, v11
	v_add3_u32 v8, v7, v8, v9
	v_mul_lo_u32 v7, v11, s22
	v_mul_hi_u32 v9, s6, v11
	v_sub_u32_e32 v7, v10, v7
	v_add_u32_e32 v9, v11, v9
	v_mul_lo_u32 v10, v7, s38
	v_lshrrev_b32_e32 v7, s7, v9
	s_add_i32 s62, s62, 4
	v_mul_lo_u32 v9, v7, s5
	s_add_u32 s56, s56, 16
	v_sub_u32_e32 v9, v11, v9
	s_addc_u32 s57, s57, 0
	v_mul_lo_u32 v9, v9, s39
	s_cmp_lg_u32 s15, s62
	v_add3_u32 v8, v10, v8, v9
	s_cbranch_scc1 .LBB138_24
; %bb.25:                               ;   in Loop: Header=BB138_9 Depth=1
	s_mov_b32 s6, s15
	s_andn2_b64 vcc, exec, s[52:53]
	s_cbranch_vccz .LBB138_29
	s_branch .LBB138_31
.LBB138_26:                             ;   in Loop: Header=BB138_9 Depth=1
                                        ; implicit-def: $vgpr8
	s_branch .LBB138_32
.LBB138_27:                             ;   in Loop: Header=BB138_9 Depth=1
	v_mov_b32_e32 v8, 0
	s_branch .LBB138_31
.LBB138_28:                             ;   in Loop: Header=BB138_9 Depth=1
	v_mov_b32_e32 v7, v14
	s_andn2_b64 vcc, exec, s[52:53]
	s_cbranch_vccnz .LBB138_31
.LBB138_29:                             ;   in Loop: Header=BB138_9 Depth=1
	s_lshl_b32 s4, s6, 2
	s_add_u32 s4, s44, s4
	s_addc_u32 s5, s45, 0
	s_mul_i32 s6, s6, 12
	s_add_u32 s6, s34, s6
	s_addc_u32 s7, s35, 0
	s_mov_b32 s16, s13
.LBB138_30:                             ;   Parent Loop BB138_9 Depth=1
                                        ; =>  This Inner Loop Header: Depth=2
	s_load_dwordx2 s[18:19], s[6:7], 0x4
	s_load_dword s17, s[6:7], 0xc
	s_load_dword s20, s[4:5], 0x0
	s_add_u32 s6, s6, 12
	s_addc_u32 s7, s7, 0
	s_waitcnt lgkmcnt(0)
	v_mul_hi_u32 v9, s19, v7
	v_add_u32_e32 v9, v7, v9
	v_lshrrev_b32_e32 v9, s17, v9
	s_add_u32 s4, s4, 4
	v_mul_lo_u32 v10, v9, s18
	s_addc_u32 s5, s5, 0
	s_add_i32 s16, s16, -1
	v_sub_u32_e32 v10, v7, v10
	s_cmp_lg_u32 s16, 0
	v_mov_b32_e32 v7, v9
	v_mad_u64_u32 v[8:9], s[18:19], v10, s20, v[8:9]
	s_cbranch_scc1 .LBB138_30
.LBB138_31:                             ;   in Loop: Header=BB138_9 Depth=1
	s_cbranch_execnz .LBB138_34
.LBB138_32:                             ;   in Loop: Header=BB138_9 Depth=1
	v_mul_hi_u32 v7, v14, s10
	v_add_u32_e32 v7, v7, v14
	v_lshrrev_b32_e32 v7, s11, v7
	v_mul_lo_u32 v8, v7, s9
	v_sub_u32_e32 v8, v14, v8
	s_andn2_b64 vcc, exec, s[48:49]
	v_mul_lo_u32 v8, v8, s46
	s_cbranch_vccnz .LBB138_34
; %bb.33:                               ;   in Loop: Header=BB138_9 Depth=1
	v_mul_hi_u32 v9, s8, v7
	v_add_u32_e32 v9, v7, v9
	v_lshrrev_b32_e32 v9, s14, v9
	v_mul_lo_u32 v9, v9, s12
	v_sub_u32_e32 v7, v7, v9
	v_mad_u64_u32 v[8:9], s[4:5], v7, s47, v[8:9]
.LBB138_34:                             ;   in Loop: Header=BB138_9 Depth=1
	v_lshrrev_b32_e32 v1, 11, v1
	v_cvt_f64_u32_e32 v[10:11], v1
	v_ldexp_f64 v[10:11], v[10:11], 32
	v_cvt_f64_u32_e32 v[0:1], v0
	v_add_f64 v[0:1], v[10:11], v[0:1]
	v_mov_b32_e32 v10, 0
	v_mov_b32_e32 v11, 0x3ca00000
	v_fmac_f64_e32 v[10:11], 0x3ca00000, v[0:1]
	v_cvt_f32_f64_e32 v0, v[10:11]
	v_cmp_gt_f32_e32 vcc, v39, v0
	v_cndmask_b32_e64 v0, 0, 1, vcc
	global_store_short v8, v0, s[28:29]
.LBB138_35:                             ;   in Loop: Header=BB138_9 Depth=1
	s_or_b64 exec, exec, s[2:3]
	v_mov_b32_e32 v1, s59
	v_add_co_u32_e32 v0, vcc, s33, v14
	v_addc_co_u32_e32 v1, vcc, v15, v1, vcc
	v_cmp_gt_i64_e32 vcc, s[24:25], v[0:1]
	s_and_saveexec_b64 s[36:37], vcc
	s_cbranch_execz .LBB138_8
; %bb.36:                               ;   in Loop: Header=BB138_9 Depth=1
	s_and_b64 vcc, exec, s[0:1]
	s_cbranch_vccnz .LBB138_42
; %bb.37:                               ;   in Loop: Header=BB138_9 Depth=1
	s_andn2_b64 vcc, exec, s[42:43]
	s_cbranch_vccnz .LBB138_43
; %bb.38:                               ;   in Loop: Header=BB138_9 Depth=1
	s_mov_b32 s2, 0
	s_andn2_b64 vcc, exec, s[30:31]
	v_mov_b32_e32 v8, 0
	s_cbranch_vccnz .LBB138_44
; %bb.39:                               ;   in Loop: Header=BB138_9 Depth=1
	s_mov_b32 s56, 0
	v_mov_b32_e32 v8, 0
	s_mov_b64 s[38:39], s[34:35]
	s_mov_b64 s[54:55], s[44:45]
	v_mov_b32_e32 v1, v0
.LBB138_40:                             ;   Parent Loop BB138_9 Depth=1
                                        ; =>  This Inner Loop Header: Depth=2
	s_load_dwordx8 s[0:7], s[38:39], 0x4
	s_load_dwordx4 s[16:19], s[38:39], 0x24
	s_load_dwordx4 s[20:23], s[54:55], 0x0
	s_add_u32 s38, s38, 48
	s_addc_u32 s39, s39, 0
	s_waitcnt lgkmcnt(0)
	v_mul_hi_u32 v7, s1, v1
	v_add_u32_e32 v7, v1, v7
	v_lshrrev_b32_e32 v7, s2, v7
	v_mul_lo_u32 v9, v7, s0
	v_mul_hi_u32 v10, s4, v7
	v_sub_u32_e32 v1, v1, v9
	v_add_u32_e32 v9, v7, v10
	v_lshrrev_b32_e32 v9, s5, v9
	v_mul_lo_u32 v10, v9, s3
	v_mul_hi_u32 v11, s7, v9
	v_sub_u32_e32 v7, v7, v10
	v_add_u32_e32 v10, v9, v11
	v_mul_lo_u32 v1, v1, s20
	v_mul_lo_u32 v7, v7, s21
	v_lshrrev_b32_e32 v10, s16, v10
	v_add3_u32 v7, v1, v8, v7
	v_mul_lo_u32 v1, v10, s6
	v_mul_hi_u32 v8, s18, v10
	v_sub_u32_e32 v1, v9, v1
	v_add_u32_e32 v8, v10, v8
	v_mul_lo_u32 v9, v1, s22
	v_lshrrev_b32_e32 v1, s19, v8
	s_add_i32 s56, s56, 4
	v_mul_lo_u32 v8, v1, s17
	s_add_u32 s54, s54, 16
	v_sub_u32_e32 v8, v10, v8
	s_addc_u32 s55, s55, 0
	v_mul_lo_u32 v8, v8, s23
	s_cmp_eq_u32 s15, s56
	v_add3_u32 v8, v9, v7, v8
	s_cbranch_scc0 .LBB138_40
; %bb.41:                               ;   in Loop: Header=BB138_9 Depth=1
	s_mov_b32 s2, s15
	s_andn2_b64 vcc, exec, s[52:53]
	s_cbranch_vccz .LBB138_45
	s_branch .LBB138_47
.LBB138_42:                             ;   in Loop: Header=BB138_9 Depth=1
                                        ; implicit-def: $vgpr8
	s_branch .LBB138_48
.LBB138_43:                             ;   in Loop: Header=BB138_9 Depth=1
	v_mov_b32_e32 v8, 0
	s_branch .LBB138_47
.LBB138_44:                             ;   in Loop: Header=BB138_9 Depth=1
	v_mov_b32_e32 v1, v0
	s_andn2_b64 vcc, exec, s[52:53]
	s_cbranch_vccnz .LBB138_47
.LBB138_45:                             ;   in Loop: Header=BB138_9 Depth=1
	s_lshl_b32 s0, s2, 2
	s_add_u32 s0, s44, s0
	s_addc_u32 s1, s45, 0
	s_mul_i32 s2, s2, 12
	s_add_u32 s2, s34, s2
	s_addc_u32 s3, s35, 0
	s_mov_b32 s4, s13
.LBB138_46:                             ;   Parent Loop BB138_9 Depth=1
                                        ; =>  This Inner Loop Header: Depth=2
	s_load_dwordx2 s[6:7], s[2:3], 0x4
	s_load_dword s5, s[2:3], 0xc
	s_load_dword s16, s[0:1], 0x0
	s_add_u32 s2, s2, 12
	s_addc_u32 s3, s3, 0
	s_waitcnt lgkmcnt(0)
	v_mul_hi_u32 v7, s7, v1
	v_add_u32_e32 v7, v1, v7
	v_lshrrev_b32_e32 v7, s5, v7
	s_add_u32 s0, s0, 4
	v_mul_lo_u32 v9, v7, s6
	s_addc_u32 s1, s1, 0
	s_add_i32 s4, s4, -1
	v_sub_u32_e32 v9, v1, v9
	s_cmp_lg_u32 s4, 0
	v_mov_b32_e32 v1, v7
	v_mad_u64_u32 v[8:9], s[6:7], v9, s16, v[8:9]
	s_cbranch_scc1 .LBB138_46
.LBB138_47:                             ;   in Loop: Header=BB138_9 Depth=1
	s_cbranch_execnz .LBB138_7
.LBB138_48:                             ;   in Loop: Header=BB138_9 Depth=1
	v_mul_hi_u32 v1, v0, s10
	v_add_u32_e32 v1, v1, v0
	v_lshrrev_b32_e32 v1, s11, v1
	v_mul_lo_u32 v7, v1, s9
	v_sub_u32_e32 v0, v0, v7
	s_andn2_b64 vcc, exec, s[48:49]
	v_mul_lo_u32 v8, v0, s46
	s_cbranch_vccnz .LBB138_7
; %bb.49:                               ;   in Loop: Header=BB138_9 Depth=1
	v_mul_hi_u32 v0, s8, v1
	v_add_u32_e32 v0, v1, v0
	v_lshrrev_b32_e32 v0, s14, v0
	v_mul_lo_u32 v0, v0, s12
	v_sub_u32_e32 v0, v1, v0
	v_mad_u64_u32 v[8:9], s[0:1], v0, s47, v[8:9]
	s_branch .LBB138_7
.LBB138_50:
	s_endpgm
.LBB138_51:
                                        ; implicit-def: $sgpr2_sgpr3
	s_andn2_b64 vcc, exec, s[0:1]
	s_cbranch_vccz .LBB138_4
	s_branch .LBB138_5
	.section	.rodata,"a",@progbits
	.p2align	6, 0x0
	.amdhsa_kernel _ZN2at6native12_GLOBAL__N_143distribution_elementwise_grid_stride_kernelIfLi4EZNS0_9templates4cuda21uniform_and_transformIsfPNS_17CUDAGeneratorImplEZZZNS4_16bernoulli_kernelIS7_EEvRNS_18TensorIteratorBaseEdT_ENKUlvE_clEvENKUlvE3_clEvEUlfE_EEvSA_T1_T2_EUlP25hiprandStatePhilox4_32_10E_ZNS1_27distribution_nullary_kernelIsf15HIP_vector_typeIdLj2EES7_SJ_SE_EEvSA_SG_RKT3_T4_EUlifE0_EEvlNS_15PhiloxCudaStateESF_SG_
		.amdhsa_group_segment_fixed_size 0
		.amdhsa_private_segment_fixed_size 0
		.amdhsa_kernarg_size 584
		.amdhsa_user_sgpr_count 6
		.amdhsa_user_sgpr_private_segment_buffer 1
		.amdhsa_user_sgpr_dispatch_ptr 0
		.amdhsa_user_sgpr_queue_ptr 0
		.amdhsa_user_sgpr_kernarg_segment_ptr 1
		.amdhsa_user_sgpr_dispatch_id 0
		.amdhsa_user_sgpr_flat_scratch_init 0
		.amdhsa_user_sgpr_kernarg_preload_length 0
		.amdhsa_user_sgpr_kernarg_preload_offset 0
		.amdhsa_user_sgpr_private_segment_size 0
		.amdhsa_uses_dynamic_stack 0
		.amdhsa_system_sgpr_private_segment_wavefront_offset 0
		.amdhsa_system_sgpr_workgroup_id_x 1
		.amdhsa_system_sgpr_workgroup_id_y 0
		.amdhsa_system_sgpr_workgroup_id_z 0
		.amdhsa_system_sgpr_workgroup_info 0
		.amdhsa_system_vgpr_workitem_id 0
		.amdhsa_next_free_vgpr 42
		.amdhsa_next_free_sgpr 63
		.amdhsa_accum_offset 44
		.amdhsa_reserve_vcc 1
		.amdhsa_reserve_flat_scratch 0
		.amdhsa_float_round_mode_32 0
		.amdhsa_float_round_mode_16_64 0
		.amdhsa_float_denorm_mode_32 3
		.amdhsa_float_denorm_mode_16_64 3
		.amdhsa_dx10_clamp 1
		.amdhsa_ieee_mode 1
		.amdhsa_fp16_overflow 0
		.amdhsa_tg_split 0
		.amdhsa_exception_fp_ieee_invalid_op 0
		.amdhsa_exception_fp_denorm_src 0
		.amdhsa_exception_fp_ieee_div_zero 0
		.amdhsa_exception_fp_ieee_overflow 0
		.amdhsa_exception_fp_ieee_underflow 0
		.amdhsa_exception_fp_ieee_inexact 0
		.amdhsa_exception_int_div_zero 0
	.end_amdhsa_kernel
	.section	.text._ZN2at6native12_GLOBAL__N_143distribution_elementwise_grid_stride_kernelIfLi4EZNS0_9templates4cuda21uniform_and_transformIsfPNS_17CUDAGeneratorImplEZZZNS4_16bernoulli_kernelIS7_EEvRNS_18TensorIteratorBaseEdT_ENKUlvE_clEvENKUlvE3_clEvEUlfE_EEvSA_T1_T2_EUlP25hiprandStatePhilox4_32_10E_ZNS1_27distribution_nullary_kernelIsf15HIP_vector_typeIdLj2EES7_SJ_SE_EEvSA_SG_RKT3_T4_EUlifE0_EEvlNS_15PhiloxCudaStateESF_SG_,"axG",@progbits,_ZN2at6native12_GLOBAL__N_143distribution_elementwise_grid_stride_kernelIfLi4EZNS0_9templates4cuda21uniform_and_transformIsfPNS_17CUDAGeneratorImplEZZZNS4_16bernoulli_kernelIS7_EEvRNS_18TensorIteratorBaseEdT_ENKUlvE_clEvENKUlvE3_clEvEUlfE_EEvSA_T1_T2_EUlP25hiprandStatePhilox4_32_10E_ZNS1_27distribution_nullary_kernelIsf15HIP_vector_typeIdLj2EES7_SJ_SE_EEvSA_SG_RKT3_T4_EUlifE0_EEvlNS_15PhiloxCudaStateESF_SG_,comdat
.Lfunc_end138:
	.size	_ZN2at6native12_GLOBAL__N_143distribution_elementwise_grid_stride_kernelIfLi4EZNS0_9templates4cuda21uniform_and_transformIsfPNS_17CUDAGeneratorImplEZZZNS4_16bernoulli_kernelIS7_EEvRNS_18TensorIteratorBaseEdT_ENKUlvE_clEvENKUlvE3_clEvEUlfE_EEvSA_T1_T2_EUlP25hiprandStatePhilox4_32_10E_ZNS1_27distribution_nullary_kernelIsf15HIP_vector_typeIdLj2EES7_SJ_SE_EEvSA_SG_RKT3_T4_EUlifE0_EEvlNS_15PhiloxCudaStateESF_SG_, .Lfunc_end138-_ZN2at6native12_GLOBAL__N_143distribution_elementwise_grid_stride_kernelIfLi4EZNS0_9templates4cuda21uniform_and_transformIsfPNS_17CUDAGeneratorImplEZZZNS4_16bernoulli_kernelIS7_EEvRNS_18TensorIteratorBaseEdT_ENKUlvE_clEvENKUlvE3_clEvEUlfE_EEvSA_T1_T2_EUlP25hiprandStatePhilox4_32_10E_ZNS1_27distribution_nullary_kernelIsf15HIP_vector_typeIdLj2EES7_SJ_SE_EEvSA_SG_RKT3_T4_EUlifE0_EEvlNS_15PhiloxCudaStateESF_SG_
                                        ; -- End function
	.section	.AMDGPU.csdata,"",@progbits
; Kernel info:
; codeLenInByte = 3312
; NumSgprs: 67
; NumVgprs: 42
; NumAgprs: 0
; TotalNumVgprs: 42
; ScratchSize: 0
; MemoryBound: 0
; FloatMode: 240
; IeeeMode: 1
; LDSByteSize: 0 bytes/workgroup (compile time only)
; SGPRBlocks: 8
; VGPRBlocks: 5
; NumSGPRsForWavesPerEU: 67
; NumVGPRsForWavesPerEU: 42
; AccumOffset: 44
; Occupancy: 8
; WaveLimiterHint : 1
; COMPUTE_PGM_RSRC2:SCRATCH_EN: 0
; COMPUTE_PGM_RSRC2:USER_SGPR: 6
; COMPUTE_PGM_RSRC2:TRAP_HANDLER: 0
; COMPUTE_PGM_RSRC2:TGID_X_EN: 1
; COMPUTE_PGM_RSRC2:TGID_Y_EN: 0
; COMPUTE_PGM_RSRC2:TGID_Z_EN: 0
; COMPUTE_PGM_RSRC2:TIDIG_COMP_CNT: 0
; COMPUTE_PGM_RSRC3_GFX90A:ACCUM_OFFSET: 10
; COMPUTE_PGM_RSRC3_GFX90A:TG_SPLIT: 0
	.section	.text._ZN2at6native12_GLOBAL__N_143distribution_elementwise_grid_stride_kernelIfLi4EZNS0_9templates4cuda21uniform_and_transformIsfPNS_17CUDAGeneratorImplEZZZNS4_16bernoulli_kernelIS7_EEvRNS_18TensorIteratorBaseEdT_ENKUlvE_clEvENKUlvE3_clEvEUlfE_EEvSA_T1_T2_EUlP25hiprandStatePhilox4_32_10E0_ZNS1_27distribution_nullary_kernelIsf15HIP_vector_typeIfLj4EES7_SJ_SE_EEvSA_SG_RKT3_T4_EUlifE_EEvlNS_15PhiloxCudaStateESF_SG_,"axG",@progbits,_ZN2at6native12_GLOBAL__N_143distribution_elementwise_grid_stride_kernelIfLi4EZNS0_9templates4cuda21uniform_and_transformIsfPNS_17CUDAGeneratorImplEZZZNS4_16bernoulli_kernelIS7_EEvRNS_18TensorIteratorBaseEdT_ENKUlvE_clEvENKUlvE3_clEvEUlfE_EEvSA_T1_T2_EUlP25hiprandStatePhilox4_32_10E0_ZNS1_27distribution_nullary_kernelIsf15HIP_vector_typeIfLj4EES7_SJ_SE_EEvSA_SG_RKT3_T4_EUlifE_EEvlNS_15PhiloxCudaStateESF_SG_,comdat
	.globl	_ZN2at6native12_GLOBAL__N_143distribution_elementwise_grid_stride_kernelIfLi4EZNS0_9templates4cuda21uniform_and_transformIsfPNS_17CUDAGeneratorImplEZZZNS4_16bernoulli_kernelIS7_EEvRNS_18TensorIteratorBaseEdT_ENKUlvE_clEvENKUlvE3_clEvEUlfE_EEvSA_T1_T2_EUlP25hiprandStatePhilox4_32_10E0_ZNS1_27distribution_nullary_kernelIsf15HIP_vector_typeIfLj4EES7_SJ_SE_EEvSA_SG_RKT3_T4_EUlifE_EEvlNS_15PhiloxCudaStateESF_SG_ ; -- Begin function _ZN2at6native12_GLOBAL__N_143distribution_elementwise_grid_stride_kernelIfLi4EZNS0_9templates4cuda21uniform_and_transformIsfPNS_17CUDAGeneratorImplEZZZNS4_16bernoulli_kernelIS7_EEvRNS_18TensorIteratorBaseEdT_ENKUlvE_clEvENKUlvE3_clEvEUlfE_EEvSA_T1_T2_EUlP25hiprandStatePhilox4_32_10E0_ZNS1_27distribution_nullary_kernelIsf15HIP_vector_typeIfLj4EES7_SJ_SE_EEvSA_SG_RKT3_T4_EUlifE_EEvlNS_15PhiloxCudaStateESF_SG_
	.p2align	8
	.type	_ZN2at6native12_GLOBAL__N_143distribution_elementwise_grid_stride_kernelIfLi4EZNS0_9templates4cuda21uniform_and_transformIsfPNS_17CUDAGeneratorImplEZZZNS4_16bernoulli_kernelIS7_EEvRNS_18TensorIteratorBaseEdT_ENKUlvE_clEvENKUlvE3_clEvEUlfE_EEvSA_T1_T2_EUlP25hiprandStatePhilox4_32_10E0_ZNS1_27distribution_nullary_kernelIsf15HIP_vector_typeIfLj4EES7_SJ_SE_EEvSA_SG_RKT3_T4_EUlifE_EEvlNS_15PhiloxCudaStateESF_SG_,@function
_ZN2at6native12_GLOBAL__N_143distribution_elementwise_grid_stride_kernelIfLi4EZNS0_9templates4cuda21uniform_and_transformIsfPNS_17CUDAGeneratorImplEZZZNS4_16bernoulli_kernelIS7_EEvRNS_18TensorIteratorBaseEdT_ENKUlvE_clEvENKUlvE3_clEvEUlfE_EEvSA_T1_T2_EUlP25hiprandStatePhilox4_32_10E0_ZNS1_27distribution_nullary_kernelIsf15HIP_vector_typeIfLj4EES7_SJ_SE_EEvSA_SG_RKT3_T4_EUlifE_EEvlNS_15PhiloxCudaStateESF_SG_: ; @_ZN2at6native12_GLOBAL__N_143distribution_elementwise_grid_stride_kernelIfLi4EZNS0_9templates4cuda21uniform_and_transformIsfPNS_17CUDAGeneratorImplEZZZNS4_16bernoulli_kernelIS7_EEvRNS_18TensorIteratorBaseEdT_ENKUlvE_clEvENKUlvE3_clEvEUlfE_EEvSA_T1_T2_EUlP25hiprandStatePhilox4_32_10E0_ZNS1_27distribution_nullary_kernelIsf15HIP_vector_typeIfLj4EES7_SJ_SE_EEvSA_SG_RKT3_T4_EUlifE_EEvlNS_15PhiloxCudaStateESF_SG_
; %bb.0:
	s_load_dword s7, s[4:5], 0x20
	s_load_dwordx2 s[10:11], s[4:5], 0x10
	s_load_dwordx4 s[0:3], s[4:5], 0x0
	s_mov_b32 s8, 0
	s_waitcnt lgkmcnt(0)
	s_bitcmp0_b32 s7, 0
	v_pk_mov_b32 v[2:3], s[10:11], s[10:11] op_sel:[0,1]
	v_pk_mov_b32 v[14:15], s[2:3], s[2:3] op_sel:[0,1]
	s_cbranch_scc1 .LBB139_2
; %bb.1:
	v_pk_mov_b32 v[2:3], s[10:11], s[10:11] op_sel:[0,1]
	flat_load_dwordx2 v[2:3], v[2:3]
	v_pk_mov_b32 v[4:5], s[2:3], s[2:3] op_sel:[0,1]
	flat_load_dwordx2 v[14:15], v[4:5]
	s_load_dwordx2 s[2:3], s[4:5], 0x18
	s_waitcnt lgkmcnt(0)
	v_mov_b32_e32 v1, s3
	s_waitcnt vmcnt(0)
	v_add_co_u32_e32 v2, vcc, s2, v2
	v_addc_co_u32_e32 v3, vcc, v3, v1, vcc
.LBB139_2:
	s_load_dword s2, s[4:5], 0x54
	s_load_dword s17, s[4:5], 0x48
	s_waitcnt lgkmcnt(0)
	s_and_b32 s7, s2, 0xffff
	s_add_u32 s10, s0, -1
	s_mul_i32 s12, s17, s7
	s_addc_u32 s9, s1, -1
	s_lshl_b32 s13, s12, 2
	s_cmp_lg_u64 s[8:9], 0
	s_mov_b64 s[2:3], -1
	s_cbranch_scc0 .LBB139_27
; %bb.3:
	v_cvt_f32_u32_e32 v1, s13
	v_cvt_f32_ubyte0_e32 v4, 0
	s_sub_u32 s8, 0, s13
	s_subb_u32 s11, 0, 0
	v_madmk_f32 v1, v4, 0x4f800000, v1
	v_rcp_f32_e32 v1, v1
	v_mul_f32_e32 v1, 0x5f7ffffc, v1
	v_mul_f32_e32 v4, 0x2f800000, v1
	v_trunc_f32_e32 v4, v4
	v_madmk_f32 v1, v4, 0xcf800000, v1
	v_cvt_u32_f32_e32 v4, v4
	v_cvt_u32_f32_e32 v1, v1
	v_readfirstlane_b32 s14, v4
	v_readfirstlane_b32 s15, v1
	s_mul_i32 s16, s8, s14
	s_mul_hi_u32 s19, s8, s15
	s_mul_i32 s18, s11, s15
	s_add_i32 s16, s19, s16
	s_add_i32 s16, s16, s18
	s_mul_i32 s20, s8, s15
	s_mul_hi_u32 s18, s15, s16
	s_mul_i32 s19, s15, s16
	s_mul_hi_u32 s15, s15, s20
	s_add_u32 s15, s15, s19
	s_addc_u32 s18, 0, s18
	s_mul_hi_u32 s21, s14, s20
	s_mul_i32 s20, s14, s20
	s_add_u32 s15, s15, s20
	s_mul_hi_u32 s19, s14, s16
	s_addc_u32 s15, s18, s21
	s_addc_u32 s18, s19, 0
	s_mul_i32 s16, s14, s16
	s_add_u32 s15, s15, s16
	s_addc_u32 s16, 0, s18
	v_add_co_u32_e32 v1, vcc, s15, v1
	s_cmp_lg_u64 vcc, 0
	s_addc_u32 s14, s14, s16
	v_readfirstlane_b32 s16, v1
	s_mul_i32 s15, s8, s14
	s_mul_hi_u32 s18, s8, s16
	s_add_i32 s15, s18, s15
	s_mul_i32 s11, s11, s16
	s_add_i32 s15, s15, s11
	s_mul_i32 s8, s8, s16
	s_mul_hi_u32 s18, s14, s8
	s_mul_i32 s19, s14, s8
	s_mul_i32 s21, s16, s15
	s_mul_hi_u32 s8, s16, s8
	s_mul_hi_u32 s20, s16, s15
	s_add_u32 s8, s8, s21
	s_addc_u32 s16, 0, s20
	s_add_u32 s8, s8, s19
	s_mul_hi_u32 s11, s14, s15
	s_addc_u32 s8, s16, s18
	s_addc_u32 s11, s11, 0
	s_mul_i32 s15, s14, s15
	s_add_u32 s8, s8, s15
	s_addc_u32 s11, 0, s11
	v_add_co_u32_e32 v1, vcc, s8, v1
	s_cmp_lg_u64 vcc, 0
	s_addc_u32 s11, s14, s11
	s_ashr_i32 s14, s9, 31
	s_add_u32 s8, s10, s14
	s_mov_b32 s15, s14
	s_addc_u32 s9, s9, s14
	s_xor_b64 s[8:9], s[8:9], s[14:15]
	v_readfirstlane_b32 s19, v1
	s_mul_i32 s18, s8, s11
	s_mul_hi_u32 s20, s8, s19
	s_mul_hi_u32 s16, s8, s11
	s_add_u32 s18, s20, s18
	s_addc_u32 s16, 0, s16
	s_mul_hi_u32 s21, s9, s19
	s_mul_i32 s19, s9, s19
	s_add_u32 s18, s18, s19
	s_mul_hi_u32 s20, s9, s11
	s_addc_u32 s16, s16, s21
	s_addc_u32 s18, s20, 0
	s_mul_i32 s11, s9, s11
	s_add_u32 s11, s16, s11
	s_addc_u32 s16, 0, s18
	s_add_u32 s18, s11, 1
	s_addc_u32 s19, s16, 0
	s_add_u32 s20, s11, 2
	s_mul_i32 s22, s13, s16
	s_mul_hi_u32 s23, s13, s11
	s_addc_u32 s21, s16, 0
	s_add_i32 s23, s23, s22
	s_mul_i32 s22, s13, s11
	v_mov_b32_e32 v1, s22
	v_sub_co_u32_e32 v1, vcc, s8, v1
	s_cmp_lg_u64 vcc, 0
	s_subb_u32 s8, s9, s23
	v_subrev_co_u32_e32 v4, vcc, s13, v1
	s_cmp_lg_u64 vcc, 0
	s_subb_u32 s9, s8, 0
	v_readfirstlane_b32 s22, v4
	s_cmp_ge_u32 s22, s13
	s_cselect_b32 s22, -1, 0
	s_cmp_eq_u32 s9, 0
	s_cselect_b32 s9, s22, -1
	s_cmp_lg_u32 s9, 0
	s_cselect_b32 s9, s21, s19
	v_readfirstlane_b32 s19, v1
	s_cselect_b32 s18, s20, s18
	s_cmp_ge_u32 s19, s13
	s_cselect_b32 s19, -1, 0
	s_cmp_eq_u32 s8, 0
	s_cselect_b32 s8, s19, -1
	s_cmp_lg_u32 s8, 0
	s_cselect_b32 s9, s9, s16
	s_cselect_b32 s8, s18, s11
	s_xor_b64 s[8:9], s[8:9], s[14:15]
	s_sub_u32 s8, s8, s14
	s_subb_u32 s9, s9, s14
	s_cbranch_execnz .LBB139_5
.LBB139_4:
	v_cvt_f32_u32_e32 v1, s13
	s_sub_i32 s2, 0, s13
	s_mov_b32 s9, 0
	v_rcp_iflag_f32_e32 v1, v1
	v_mul_f32_e32 v1, 0x4f7ffffe, v1
	v_cvt_u32_f32_e32 v1, v1
	v_readfirstlane_b32 s3, v1
	s_mul_i32 s2, s2, s3
	s_mul_hi_u32 s2, s3, s2
	s_add_i32 s3, s3, s2
	s_mul_hi_u32 s2, s10, s3
	s_mul_i32 s8, s2, s13
	s_sub_i32 s8, s10, s8
	s_add_i32 s3, s2, 1
	s_sub_i32 s10, s8, s13
	s_cmp_ge_u32 s8, s13
	s_cselect_b32 s2, s3, s2
	s_cselect_b32 s8, s10, s8
	s_add_i32 s3, s2, 1
	s_cmp_ge_u32 s8, s13
	s_cselect_b32 s8, s3, s2
.LBB139_5:
	v_mov_b32_e32 v1, 0
	v_mov_b32_e32 v4, s6
	v_mad_u64_u32 v[16:17], s[2:3], s7, v4, v[0:1]
	s_add_u32 s2, s8, 1
	s_addc_u32 s3, s9, 0
	s_mul_hi_u32 s8, s17, s7
	s_mul_i32 s3, s12, s3
	s_mul_hi_u32 s9, s12, s2
	s_add_i32 s3, s9, s3
	s_mul_i32 s8, s8, s2
	s_add_i32 s3, s3, s8
	s_mul_i32 s2, s12, s2
	s_lshl_b64 s[2:3], s[2:3], 2
	v_cmp_gt_i64_e32 vcc, s[2:3], v[16:17]
	s_and_saveexec_b64 s[8:9], vcc
	s_cbranch_execz .LBB139_26
; %bb.6:
	s_load_dwordx2 s[8:9], s[4:5], 0x30
	s_load_dword s23, s[4:5], 0x38
	s_load_dwordx2 s[10:11], s[4:5], 0x40
	s_mov_b32 s4, 0x5384540f
	v_mov_b32_e32 v4, v15
	v_add_co_u32_e32 v22, vcc, s4, v14
	s_mov_b32 s4, 0x646e171e
	v_add_co_u32_e32 v23, vcc, s4, v4
	s_mov_b32 s4, 0x1715609d
	;; [unrolled: 2-line block ×6, first 2 shown]
	v_alignbit_b32 v29, v3, v2, 2
	s_mov_b32 s15, 0xd2511f53
	v_add_co_u32_e32 v28, vcc, s4, v14
	v_mad_u64_u32 v[6:7], s[4:5], v29, s15, 0
	v_xor_b32_e32 v1, v7, v15
	v_xor_b32_e32 v1, v1, v17
	s_mov_b32 s16, 0xcd9e8d57
	v_mad_u64_u32 v[8:9], s[4:5], v1, s16, 0
	v_xor_b32_e32 v1, v28, v9
	v_mad_u64_u32 v[10:11], s[4:5], v16, s16, 0
	v_and_b32_e32 v18, 3, v2
	v_xor_b32_e32 v1, v1, v10
	v_xor_b32_e32 v2, v14, v11
	v_lshrrev_b32_e32 v30, 2, v3
	v_mad_u64_u32 v[12:13], s[4:5], v1, s15, 0
	v_xor_b32_e32 v2, v2, v30
	v_xor_b32_e32 v1, v27, v13
	v_mad_u64_u32 v[2:3], s[4:5], v2, s15, 0
	v_xor_b32_e32 v1, v1, v2
	v_mad_u64_u32 v[10:11], s[4:5], v1, s16, 0
	s_mov_b32 s4, 0xbb67ae85
	v_add_co_u32_e32 v31, vcc, s4, v4
	v_xor_b32_e32 v2, v31, v3
	v_xor_b32_e32 v2, v2, v6
	v_xor_b32_e32 v1, v26, v11
	v_mad_u64_u32 v[2:3], s[4:5], v2, s16, 0
	v_xor_b32_e32 v1, v1, v2
	v_mad_u64_u32 v[6:7], s[4:5], v1, s15, 0
	s_mov_b32 s4, 0x3c6ef372
	v_add_co_u32_e32 v32, vcc, s4, v14
	v_xor_b32_e32 v2, v32, v3
	;; [unrolled: 8-line block ×6, first 2 shown]
	v_add_co_u32_e32 v21, vcc, 0xdb3d7428, v4
	v_xor_b32_e32 v2, v2, v8
	v_xor_b32_e32 v1, v21, v7
	v_mad_u64_u32 v[2:3], s[4:5], v2, s15, 0
	v_xor_b32_e32 v1, v1, v2
	v_mad_u64_u32 v[8:9], s[4:5], v1, s16, 0
	s_mov_b32 s4, 0x1fd5c5a3
	v_add_co_u32_e32 v37, vcc, s4, v4
	v_xor_b32_e32 v1, v37, v3
	v_xor_b32_e32 v1, v1, v12
	v_mad_u64_u32 v[2:3], s[4:5], v1, s16, 0
	s_mov_b32 s4, 0xf1bbcdc8
	v_add_u32_e32 v19, 0x8ff34781, v14
	v_xor_b32_e32 v1, v9, v2
	v_add_co_u32_e32 v38, vcc, s4, v14
	v_xor_b32_e32 v2, v19, v1
	v_xor_b32_e32 v1, v38, v3
	;; [unrolled: 1-line block ×3, first 2 shown]
	v_mad_u64_u32 v[10:11], s[4:5], v1, s15, 0
	v_add_u32_e32 v20, 0x96a522ad, v15
	v_xor_b32_e32 v1, v11, v6
	s_mul_i32 s4, s6, s7
	v_xor_b32_e32 v4, v20, v1
	v_add_u32_e32 v1, s4, v0
	s_waitcnt lgkmcnt(0)
	s_mul_i32 s4, s17, s23
	s_mul_i32 s4, s4, s7
	s_lshl_b32 s22, s4, 2
	s_mul_i32 s4, s17, 3
	s_add_i32 s4, s6, s4
	s_mul_i32 s4, s4, s7
	v_mul_lo_u32 v40, s23, v1
	v_add_u32_e32 v1, s4, v0
	s_lshl_b32 s4, s17, 1
	s_add_i32 s4, s6, s4
	s_mul_i32 s4, s4, s7
	v_mul_lo_u32 v41, s23, v1
	v_add_u32_e32 v1, s4, v0
	s_add_i32 s4, s6, s17
	s_mul_i32 s4, s4, s7
	s_mov_b32 s14, 0
	v_add_u32_e32 v0, s4, v0
	v_mov_b32_e32 v3, v8
	v_mov_b32_e32 v5, v10
	v_cvt_f32_f64_e32 v39, s[10:11]
	s_lshl_b32 s18, s12, 1
	s_mov_b32 s19, s14
	s_mul_i32 s20, s12, 3
	s_mov_b32 s21, s14
	v_mul_lo_u32 v42, s23, v1
	v_mul_lo_u32 v43, s23, v0
	s_mov_b64 s[4:5], 0
	s_mov_b32 s17, s14
	v_mov_b32_e32 v44, v16
	v_mov_b32_e32 v45, v17
	s_branch .LBB139_8
.LBB139_7:                              ;   in Loop: Header=BB139_8 Depth=1
	s_or_b64 exec, exec, s[6:7]
	v_add_co_u32_e32 v16, vcc, s13, v16
	v_addc_co_u32_e32 v17, vcc, 0, v17, vcc
	v_mov_b32_e32 v9, v0
	s_add_i32 s17, s17, s22
	v_cmp_le_i64_e32 vcc, s[2:3], v[16:17]
	v_pk_mov_b32 v[2:3], v[6:7], v[6:7] op_sel:[0,1]
	s_or_b64 s[4:5], vcc, s[4:5]
	v_pk_mov_b32 v[4:5], v[8:9], v[8:9] op_sel:[0,1]
	s_barrier
	s_andn2_b64 exec, exec, s[4:5]
	s_cbranch_execz .LBB139_26
.LBB139_8:                              ; =>This Inner Loop Header: Depth=1
	v_add_co_u32_e32 v29, vcc, 1, v29
	v_cndmask_b32_e64 v0, 0, 1, vcc
	v_addc_co_u32_e32 v30, vcc, 0, v30, vcc
	v_cmp_eq_u32_e32 vcc, 0, v30
	v_cndmask_b32_e32 v0, 0, v0, vcc
	v_add_u32_e32 v44, v0, v44
	v_cmp_eq_u32_e32 vcc, 0, v44
	v_cndmask_b32_e32 v0, 0, v0, vcc
	v_add_u32_e32 v45, v0, v45
	v_mad_u64_u32 v[0:1], s[6:7], v29, s15, 0
	v_mad_u64_u32 v[6:7], s[6:7], v44, s16, 0
	v_xor_b32_e32 v1, v1, v15
	v_xor_b32_e32 v7, v7, v14
	v_xor_b32_e32 v1, v45, v1
	v_xor_b32_e32 v7, v30, v7
	v_mad_u64_u32 v[10:11], s[6:7], v1, s16, 0
	v_mad_u64_u32 v[8:9], s[6:7], v7, s15, 0
	v_xor_b32_e32 v1, v28, v11
	v_xor_b32_e32 v1, v1, v6
	v_xor_b32_e32 v6, v31, v9
	v_xor_b32_e32 v6, v6, v0
	;; [unrolled: 6-line block ×10, first 2 shown]
	v_mov_b32_e32 v7, v12
	v_mov_b32_e32 v8, v13
	v_cmp_lt_i32_e32 vcc, 1, v18
	s_and_saveexec_b64 s[6:7], vcc
	s_xor_b64 s[6:7], exec, s[6:7]
	s_cbranch_execnz .LBB139_18
; %bb.9:                                ;   in Loop: Header=BB139_8 Depth=1
	s_andn2_saveexec_b64 s[6:7], s[6:7]
	s_cbranch_execnz .LBB139_23
.LBB139_10:                             ;   in Loop: Header=BB139_8 Depth=1
	s_or_b64 exec, exec, s[6:7]
	v_cmp_gt_i64_e32 vcc, s[0:1], v[16:17]
	s_and_saveexec_b64 s[6:7], vcc
	s_cbranch_execz .LBB139_12
.LBB139_11:                             ;   in Loop: Header=BB139_8 Depth=1
	v_cvt_f32_u32_e32 v1, v2
	v_mov_b32_e32 v2, 0x2f800000
	v_add_u32_e32 v9, s17, v40
	v_ashrrev_i32_e32 v11, 31, v9
	v_fmac_f32_e32 v2, 0x2f800000, v1
	v_mov_b32_e32 v1, s9
	v_add_co_u32_e32 v10, vcc, s8, v9
	v_addc_co_u32_e32 v11, vcc, v1, v11, vcc
	v_cmp_lt_f32_e32 vcc, v2, v39
	v_cndmask_b32_e64 v1, 0, 1, vcc
	global_store_short v[10:11], v1, off
.LBB139_12:                             ;   in Loop: Header=BB139_8 Depth=1
	s_or_b64 exec, exec, s[6:7]
	v_mov_b32_e32 v1, s14
	v_add_co_u32_e32 v10, vcc, s12, v16
	v_addc_co_u32_e32 v11, vcc, v1, v17, vcc
	v_cmp_gt_i64_e32 vcc, s[0:1], v[10:11]
	s_and_saveexec_b64 s[6:7], vcc
	s_cbranch_execz .LBB139_14
; %bb.13:                               ;   in Loop: Header=BB139_8 Depth=1
	v_cvt_f32_u32_e32 v1, v3
	v_mov_b32_e32 v9, 0x2f800000
	v_add_u32_e32 v2, s17, v43
	v_ashrrev_i32_e32 v3, 31, v2
	v_fmac_f32_e32 v9, 0x2f800000, v1
	v_mov_b32_e32 v1, s9
	v_add_co_u32_e32 v2, vcc, s8, v2
	v_addc_co_u32_e32 v3, vcc, v1, v3, vcc
	v_cmp_lt_f32_e32 vcc, v9, v39
	v_cndmask_b32_e64 v1, 0, 1, vcc
	global_store_short v[2:3], v1, off
.LBB139_14:                             ;   in Loop: Header=BB139_8 Depth=1
	s_or_b64 exec, exec, s[6:7]
	v_mov_b32_e32 v1, s19
	v_add_co_u32_e32 v2, vcc, s18, v16
	v_addc_co_u32_e32 v3, vcc, v1, v17, vcc
	v_cmp_gt_i64_e32 vcc, s[0:1], v[2:3]
	s_and_saveexec_b64 s[6:7], vcc
	s_cbranch_execz .LBB139_16
; %bb.15:                               ;   in Loop: Header=BB139_8 Depth=1
	v_cvt_f32_u32_e32 v1, v4
	v_mov_b32_e32 v4, 0x2f800000
	v_add_u32_e32 v2, s17, v42
	v_ashrrev_i32_e32 v3, 31, v2
	v_fmac_f32_e32 v4, 0x2f800000, v1
	v_mov_b32_e32 v1, s9
	v_add_co_u32_e32 v2, vcc, s8, v2
	v_addc_co_u32_e32 v3, vcc, v1, v3, vcc
	v_cmp_lt_f32_e32 vcc, v4, v39
	v_cndmask_b32_e64 v1, 0, 1, vcc
	global_store_short v[2:3], v1, off
.LBB139_16:                             ;   in Loop: Header=BB139_8 Depth=1
	s_or_b64 exec, exec, s[6:7]
	v_mov_b32_e32 v1, s21
	v_add_co_u32_e32 v2, vcc, s20, v16
	v_addc_co_u32_e32 v3, vcc, v1, v17, vcc
	v_cmp_gt_i64_e32 vcc, s[0:1], v[2:3]
	s_and_saveexec_b64 s[6:7], vcc
	s_cbranch_execz .LBB139_7
; %bb.17:                               ;   in Loop: Header=BB139_8 Depth=1
	v_cvt_f32_u32_e32 v1, v5
	v_mov_b32_e32 v4, 0x2f800000
	v_add_u32_e32 v2, s17, v41
	v_ashrrev_i32_e32 v3, 31, v2
	v_fmac_f32_e32 v4, 0x2f800000, v1
	v_mov_b32_e32 v1, s9
	v_add_co_u32_e32 v2, vcc, s8, v2
	v_addc_co_u32_e32 v3, vcc, v1, v3, vcc
	v_cmp_lt_f32_e32 vcc, v4, v39
	v_cndmask_b32_e64 v1, 0, 1, vcc
	global_store_short v[2:3], v1, off
	s_branch .LBB139_7
.LBB139_18:                             ;   in Loop: Header=BB139_8 Depth=1
	v_cmp_lt_i32_e32 vcc, 2, v18
	s_and_saveexec_b64 s[10:11], vcc
	s_xor_b64 s[10:11], exec, s[10:11]
; %bb.19:                               ;   in Loop: Header=BB139_8 Depth=1
	v_mov_b32_e32 v10, v5
	v_mov_b32_e32 v11, v6
	v_pk_mov_b32 v[2:3], v[10:11], v[10:11] op_sel:[0,1]
	v_pk_mov_b32 v[4:5], v[12:13], v[12:13] op_sel:[0,1]
                                        ; implicit-def: $vgpr12_vgpr13
; %bb.20:                               ;   in Loop: Header=BB139_8 Depth=1
	s_andn2_saveexec_b64 s[10:11], s[10:11]
; %bb.21:                               ;   in Loop: Header=BB139_8 Depth=1
	v_mov_b32_e32 v2, v4
	v_mov_b32_e32 v3, v5
	;; [unrolled: 1-line block ×4, first 2 shown]
; %bb.22:                               ;   in Loop: Header=BB139_8 Depth=1
	s_or_b64 exec, exec, s[10:11]
	s_andn2_saveexec_b64 s[6:7], s[6:7]
	s_cbranch_execz .LBB139_10
.LBB139_23:                             ;   in Loop: Header=BB139_8 Depth=1
	v_cmp_eq_u32_e32 vcc, 1, v18
	s_and_saveexec_b64 s[10:11], vcc
; %bb.24:                               ;   in Loop: Header=BB139_8 Depth=1
	v_mov_b32_e32 v2, v3
	v_mov_b32_e32 v3, v4
	;; [unrolled: 1-line block ×4, first 2 shown]
; %bb.25:                               ;   in Loop: Header=BB139_8 Depth=1
	s_or_b64 exec, exec, s[10:11]
	s_or_b64 exec, exec, s[6:7]
	v_cmp_gt_i64_e32 vcc, s[0:1], v[16:17]
	s_and_saveexec_b64 s[6:7], vcc
	s_cbranch_execnz .LBB139_11
	s_branch .LBB139_12
.LBB139_26:
	s_endpgm
.LBB139_27:
                                        ; implicit-def: $sgpr8_sgpr9
	s_andn2_b64 vcc, exec, s[2:3]
	s_cbranch_vccz .LBB139_4
	s_branch .LBB139_5
	.section	.rodata,"a",@progbits
	.p2align	6, 0x0
	.amdhsa_kernel _ZN2at6native12_GLOBAL__N_143distribution_elementwise_grid_stride_kernelIfLi4EZNS0_9templates4cuda21uniform_and_transformIsfPNS_17CUDAGeneratorImplEZZZNS4_16bernoulli_kernelIS7_EEvRNS_18TensorIteratorBaseEdT_ENKUlvE_clEvENKUlvE3_clEvEUlfE_EEvSA_T1_T2_EUlP25hiprandStatePhilox4_32_10E0_ZNS1_27distribution_nullary_kernelIsf15HIP_vector_typeIfLj4EES7_SJ_SE_EEvSA_SG_RKT3_T4_EUlifE_EEvlNS_15PhiloxCudaStateESF_SG_
		.amdhsa_group_segment_fixed_size 0
		.amdhsa_private_segment_fixed_size 0
		.amdhsa_kernarg_size 328
		.amdhsa_user_sgpr_count 6
		.amdhsa_user_sgpr_private_segment_buffer 1
		.amdhsa_user_sgpr_dispatch_ptr 0
		.amdhsa_user_sgpr_queue_ptr 0
		.amdhsa_user_sgpr_kernarg_segment_ptr 1
		.amdhsa_user_sgpr_dispatch_id 0
		.amdhsa_user_sgpr_flat_scratch_init 0
		.amdhsa_user_sgpr_kernarg_preload_length 0
		.amdhsa_user_sgpr_kernarg_preload_offset 0
		.amdhsa_user_sgpr_private_segment_size 0
		.amdhsa_uses_dynamic_stack 0
		.amdhsa_system_sgpr_private_segment_wavefront_offset 0
		.amdhsa_system_sgpr_workgroup_id_x 1
		.amdhsa_system_sgpr_workgroup_id_y 0
		.amdhsa_system_sgpr_workgroup_id_z 0
		.amdhsa_system_sgpr_workgroup_info 0
		.amdhsa_system_vgpr_workitem_id 0
		.amdhsa_next_free_vgpr 48
		.amdhsa_next_free_sgpr 24
		.amdhsa_accum_offset 48
		.amdhsa_reserve_vcc 1
		.amdhsa_reserve_flat_scratch 0
		.amdhsa_float_round_mode_32 0
		.amdhsa_float_round_mode_16_64 0
		.amdhsa_float_denorm_mode_32 3
		.amdhsa_float_denorm_mode_16_64 3
		.amdhsa_dx10_clamp 1
		.amdhsa_ieee_mode 1
		.amdhsa_fp16_overflow 0
		.amdhsa_tg_split 0
		.amdhsa_exception_fp_ieee_invalid_op 0
		.amdhsa_exception_fp_denorm_src 0
		.amdhsa_exception_fp_ieee_div_zero 0
		.amdhsa_exception_fp_ieee_overflow 0
		.amdhsa_exception_fp_ieee_underflow 0
		.amdhsa_exception_fp_ieee_inexact 0
		.amdhsa_exception_int_div_zero 0
	.end_amdhsa_kernel
	.section	.text._ZN2at6native12_GLOBAL__N_143distribution_elementwise_grid_stride_kernelIfLi4EZNS0_9templates4cuda21uniform_and_transformIsfPNS_17CUDAGeneratorImplEZZZNS4_16bernoulli_kernelIS7_EEvRNS_18TensorIteratorBaseEdT_ENKUlvE_clEvENKUlvE3_clEvEUlfE_EEvSA_T1_T2_EUlP25hiprandStatePhilox4_32_10E0_ZNS1_27distribution_nullary_kernelIsf15HIP_vector_typeIfLj4EES7_SJ_SE_EEvSA_SG_RKT3_T4_EUlifE_EEvlNS_15PhiloxCudaStateESF_SG_,"axG",@progbits,_ZN2at6native12_GLOBAL__N_143distribution_elementwise_grid_stride_kernelIfLi4EZNS0_9templates4cuda21uniform_and_transformIsfPNS_17CUDAGeneratorImplEZZZNS4_16bernoulli_kernelIS7_EEvRNS_18TensorIteratorBaseEdT_ENKUlvE_clEvENKUlvE3_clEvEUlfE_EEvSA_T1_T2_EUlP25hiprandStatePhilox4_32_10E0_ZNS1_27distribution_nullary_kernelIsf15HIP_vector_typeIfLj4EES7_SJ_SE_EEvSA_SG_RKT3_T4_EUlifE_EEvlNS_15PhiloxCudaStateESF_SG_,comdat
.Lfunc_end139:
	.size	_ZN2at6native12_GLOBAL__N_143distribution_elementwise_grid_stride_kernelIfLi4EZNS0_9templates4cuda21uniform_and_transformIsfPNS_17CUDAGeneratorImplEZZZNS4_16bernoulli_kernelIS7_EEvRNS_18TensorIteratorBaseEdT_ENKUlvE_clEvENKUlvE3_clEvEUlfE_EEvSA_T1_T2_EUlP25hiprandStatePhilox4_32_10E0_ZNS1_27distribution_nullary_kernelIsf15HIP_vector_typeIfLj4EES7_SJ_SE_EEvSA_SG_RKT3_T4_EUlifE_EEvlNS_15PhiloxCudaStateESF_SG_, .Lfunc_end139-_ZN2at6native12_GLOBAL__N_143distribution_elementwise_grid_stride_kernelIfLi4EZNS0_9templates4cuda21uniform_and_transformIsfPNS_17CUDAGeneratorImplEZZZNS4_16bernoulli_kernelIS7_EEvRNS_18TensorIteratorBaseEdT_ENKUlvE_clEvENKUlvE3_clEvEUlfE_EEvSA_T1_T2_EUlP25hiprandStatePhilox4_32_10E0_ZNS1_27distribution_nullary_kernelIsf15HIP_vector_typeIfLj4EES7_SJ_SE_EEvSA_SG_RKT3_T4_EUlifE_EEvlNS_15PhiloxCudaStateESF_SG_
                                        ; -- End function
	.section	.AMDGPU.csdata,"",@progbits
; Kernel info:
; codeLenInByte = 2476
; NumSgprs: 28
; NumVgprs: 48
; NumAgprs: 0
; TotalNumVgprs: 48
; ScratchSize: 0
; MemoryBound: 0
; FloatMode: 240
; IeeeMode: 1
; LDSByteSize: 0 bytes/workgroup (compile time only)
; SGPRBlocks: 3
; VGPRBlocks: 5
; NumSGPRsForWavesPerEU: 28
; NumVGPRsForWavesPerEU: 48
; AccumOffset: 48
; Occupancy: 8
; WaveLimiterHint : 0
; COMPUTE_PGM_RSRC2:SCRATCH_EN: 0
; COMPUTE_PGM_RSRC2:USER_SGPR: 6
; COMPUTE_PGM_RSRC2:TRAP_HANDLER: 0
; COMPUTE_PGM_RSRC2:TGID_X_EN: 1
; COMPUTE_PGM_RSRC2:TGID_Y_EN: 0
; COMPUTE_PGM_RSRC2:TGID_Z_EN: 0
; COMPUTE_PGM_RSRC2:TIDIG_COMP_CNT: 0
; COMPUTE_PGM_RSRC3_GFX90A:ACCUM_OFFSET: 11
; COMPUTE_PGM_RSRC3_GFX90A:TG_SPLIT: 0
	.section	.text._ZN2at6native12_GLOBAL__N_143distribution_elementwise_grid_stride_kernelIfLi4EZNS0_9templates4cuda21uniform_and_transformIsfPNS_17CUDAGeneratorImplEZZZNS4_16bernoulli_kernelIS7_EEvRNS_18TensorIteratorBaseEdT_ENKUlvE_clEvENKUlvE3_clEvEUlfE_EEvSA_T1_T2_EUlP25hiprandStatePhilox4_32_10E0_ZNS1_27distribution_nullary_kernelIsf15HIP_vector_typeIfLj4EES7_SJ_SE_EEvSA_SG_RKT3_T4_EUlifE0_EEvlNS_15PhiloxCudaStateESF_SG_,"axG",@progbits,_ZN2at6native12_GLOBAL__N_143distribution_elementwise_grid_stride_kernelIfLi4EZNS0_9templates4cuda21uniform_and_transformIsfPNS_17CUDAGeneratorImplEZZZNS4_16bernoulli_kernelIS7_EEvRNS_18TensorIteratorBaseEdT_ENKUlvE_clEvENKUlvE3_clEvEUlfE_EEvSA_T1_T2_EUlP25hiprandStatePhilox4_32_10E0_ZNS1_27distribution_nullary_kernelIsf15HIP_vector_typeIfLj4EES7_SJ_SE_EEvSA_SG_RKT3_T4_EUlifE0_EEvlNS_15PhiloxCudaStateESF_SG_,comdat
	.globl	_ZN2at6native12_GLOBAL__N_143distribution_elementwise_grid_stride_kernelIfLi4EZNS0_9templates4cuda21uniform_and_transformIsfPNS_17CUDAGeneratorImplEZZZNS4_16bernoulli_kernelIS7_EEvRNS_18TensorIteratorBaseEdT_ENKUlvE_clEvENKUlvE3_clEvEUlfE_EEvSA_T1_T2_EUlP25hiprandStatePhilox4_32_10E0_ZNS1_27distribution_nullary_kernelIsf15HIP_vector_typeIfLj4EES7_SJ_SE_EEvSA_SG_RKT3_T4_EUlifE0_EEvlNS_15PhiloxCudaStateESF_SG_ ; -- Begin function _ZN2at6native12_GLOBAL__N_143distribution_elementwise_grid_stride_kernelIfLi4EZNS0_9templates4cuda21uniform_and_transformIsfPNS_17CUDAGeneratorImplEZZZNS4_16bernoulli_kernelIS7_EEvRNS_18TensorIteratorBaseEdT_ENKUlvE_clEvENKUlvE3_clEvEUlfE_EEvSA_T1_T2_EUlP25hiprandStatePhilox4_32_10E0_ZNS1_27distribution_nullary_kernelIsf15HIP_vector_typeIfLj4EES7_SJ_SE_EEvSA_SG_RKT3_T4_EUlifE0_EEvlNS_15PhiloxCudaStateESF_SG_
	.p2align	8
	.type	_ZN2at6native12_GLOBAL__N_143distribution_elementwise_grid_stride_kernelIfLi4EZNS0_9templates4cuda21uniform_and_transformIsfPNS_17CUDAGeneratorImplEZZZNS4_16bernoulli_kernelIS7_EEvRNS_18TensorIteratorBaseEdT_ENKUlvE_clEvENKUlvE3_clEvEUlfE_EEvSA_T1_T2_EUlP25hiprandStatePhilox4_32_10E0_ZNS1_27distribution_nullary_kernelIsf15HIP_vector_typeIfLj4EES7_SJ_SE_EEvSA_SG_RKT3_T4_EUlifE0_EEvlNS_15PhiloxCudaStateESF_SG_,@function
_ZN2at6native12_GLOBAL__N_143distribution_elementwise_grid_stride_kernelIfLi4EZNS0_9templates4cuda21uniform_and_transformIsfPNS_17CUDAGeneratorImplEZZZNS4_16bernoulli_kernelIS7_EEvRNS_18TensorIteratorBaseEdT_ENKUlvE_clEvENKUlvE3_clEvEUlfE_EEvSA_T1_T2_EUlP25hiprandStatePhilox4_32_10E0_ZNS1_27distribution_nullary_kernelIsf15HIP_vector_typeIfLj4EES7_SJ_SE_EEvSA_SG_RKT3_T4_EUlifE0_EEvlNS_15PhiloxCudaStateESF_SG_: ; @_ZN2at6native12_GLOBAL__N_143distribution_elementwise_grid_stride_kernelIfLi4EZNS0_9templates4cuda21uniform_and_transformIsfPNS_17CUDAGeneratorImplEZZZNS4_16bernoulli_kernelIS7_EEvRNS_18TensorIteratorBaseEdT_ENKUlvE_clEvENKUlvE3_clEvEUlfE_EEvSA_T1_T2_EUlP25hiprandStatePhilox4_32_10E0_ZNS1_27distribution_nullary_kernelIsf15HIP_vector_typeIfLj4EES7_SJ_SE_EEvSA_SG_RKT3_T4_EUlifE0_EEvlNS_15PhiloxCudaStateESF_SG_
; %bb.0:
	s_load_dword s2, s[4:5], 0x20
	s_load_dwordx2 s[0:1], s[4:5], 0x10
	s_load_dwordx4 s[24:27], s[4:5], 0x0
	s_waitcnt lgkmcnt(0)
	s_bitcmp0_b32 s2, 0
	s_mov_b32 s2, 0
	v_pk_mov_b32 v[2:3], s[0:1], s[0:1] op_sel:[0,1]
	v_pk_mov_b32 v[12:13], s[26:27], s[26:27] op_sel:[0,1]
	s_cbranch_scc1 .LBB140_2
; %bb.1:
	v_pk_mov_b32 v[2:3], s[0:1], s[0:1] op_sel:[0,1]
	flat_load_dwordx2 v[2:3], v[2:3]
	v_pk_mov_b32 v[4:5], s[26:27], s[26:27] op_sel:[0,1]
	flat_load_dwordx2 v[12:13], v[4:5]
	s_load_dwordx2 s[0:1], s[4:5], 0x18
	s_waitcnt lgkmcnt(0)
	v_mov_b32_e32 v1, s1
	s_waitcnt vmcnt(0)
	v_add_co_u32_e32 v2, vcc, s0, v2
	v_addc_co_u32_e32 v3, vcc, v3, v1, vcc
.LBB140_2:
	s_load_dword s0, s[4:5], 0x154
	s_load_dword s7, s[4:5], 0x148
	s_waitcnt lgkmcnt(0)
	s_and_b32 s8, s0, 0xffff
	s_add_u32 s9, s24, -1
	s_mul_i32 s33, s7, s8
	s_addc_u32 s3, s25, -1
	s_lshl_b32 s58, s33, 2
	s_cmp_lg_u64 s[2:3], 0
	s_mov_b64 s[0:1], -1
	s_cbranch_scc0 .LBB140_83
; %bb.3:
	v_cvt_f32_u32_e32 v1, s58
	v_cvt_f32_ubyte0_e32 v4, 0
	s_sub_u32 s2, 0, s58
	s_subb_u32 s10, 0, 0
	v_madmk_f32 v1, v4, 0x4f800000, v1
	v_rcp_f32_e32 v1, v1
	v_mul_f32_e32 v1, 0x5f7ffffc, v1
	v_mul_f32_e32 v4, 0x2f800000, v1
	v_trunc_f32_e32 v4, v4
	v_madmk_f32 v1, v4, 0xcf800000, v1
	v_cvt_u32_f32_e32 v4, v4
	v_cvt_u32_f32_e32 v1, v1
	v_readfirstlane_b32 s11, v4
	v_readfirstlane_b32 s12, v1
	s_mul_i32 s13, s2, s11
	s_mul_hi_u32 s15, s2, s12
	s_mul_i32 s14, s10, s12
	s_add_i32 s13, s15, s13
	s_add_i32 s13, s13, s14
	s_mul_i32 s16, s2, s12
	s_mul_hi_u32 s14, s12, s13
	s_mul_i32 s15, s12, s13
	s_mul_hi_u32 s12, s12, s16
	s_add_u32 s12, s12, s15
	s_addc_u32 s14, 0, s14
	s_mul_hi_u32 s17, s11, s16
	s_mul_i32 s16, s11, s16
	s_add_u32 s12, s12, s16
	s_mul_hi_u32 s15, s11, s13
	s_addc_u32 s12, s14, s17
	s_addc_u32 s14, s15, 0
	s_mul_i32 s13, s11, s13
	s_add_u32 s12, s12, s13
	s_addc_u32 s13, 0, s14
	v_add_co_u32_e32 v1, vcc, s12, v1
	s_cmp_lg_u64 vcc, 0
	s_addc_u32 s11, s11, s13
	v_readfirstlane_b32 s13, v1
	s_mul_i32 s12, s2, s11
	s_mul_hi_u32 s14, s2, s13
	s_add_i32 s12, s14, s12
	s_mul_i32 s10, s10, s13
	s_add_i32 s12, s12, s10
	s_mul_i32 s2, s2, s13
	s_mul_hi_u32 s14, s11, s2
	s_mul_i32 s15, s11, s2
	s_mul_i32 s17, s13, s12
	s_mul_hi_u32 s2, s13, s2
	s_mul_hi_u32 s16, s13, s12
	s_add_u32 s2, s2, s17
	s_addc_u32 s13, 0, s16
	s_add_u32 s2, s2, s15
	s_mul_hi_u32 s10, s11, s12
	s_addc_u32 s2, s13, s14
	s_addc_u32 s10, s10, 0
	s_mul_i32 s12, s11, s12
	s_add_u32 s2, s2, s12
	s_addc_u32 s10, 0, s10
	v_add_co_u32_e32 v1, vcc, s2, v1
	s_cmp_lg_u64 vcc, 0
	s_addc_u32 s12, s11, s10
	s_ashr_i32 s10, s3, 31
	s_add_u32 s2, s9, s10
	s_mov_b32 s11, s10
	s_addc_u32 s3, s3, s10
	s_xor_b64 s[2:3], s[2:3], s[10:11]
	v_readfirstlane_b32 s15, v1
	s_mul_i32 s14, s2, s12
	s_mul_hi_u32 s16, s2, s15
	s_mul_hi_u32 s13, s2, s12
	s_add_u32 s14, s16, s14
	s_addc_u32 s13, 0, s13
	s_mul_hi_u32 s17, s3, s15
	s_mul_i32 s15, s3, s15
	s_add_u32 s14, s14, s15
	s_mul_hi_u32 s16, s3, s12
	s_addc_u32 s13, s13, s17
	s_addc_u32 s14, s16, 0
	s_mul_i32 s12, s3, s12
	s_add_u32 s12, s13, s12
	s_addc_u32 s13, 0, s14
	s_add_u32 s14, s12, 1
	s_addc_u32 s15, s13, 0
	s_add_u32 s16, s12, 2
	s_mul_i32 s18, s58, s13
	s_mul_hi_u32 s19, s58, s12
	s_addc_u32 s17, s13, 0
	s_add_i32 s19, s19, s18
	s_mul_i32 s18, s58, s12
	v_mov_b32_e32 v1, s18
	v_sub_co_u32_e32 v1, vcc, s2, v1
	s_cmp_lg_u64 vcc, 0
	s_subb_u32 s2, s3, s19
	v_subrev_co_u32_e32 v4, vcc, s58, v1
	s_cmp_lg_u64 vcc, 0
	s_subb_u32 s3, s2, 0
	v_readfirstlane_b32 s18, v4
	s_cmp_ge_u32 s18, s58
	s_cselect_b32 s18, -1, 0
	s_cmp_eq_u32 s3, 0
	s_cselect_b32 s3, s18, -1
	s_cmp_lg_u32 s3, 0
	s_cselect_b32 s3, s17, s15
	v_readfirstlane_b32 s15, v1
	s_cselect_b32 s14, s16, s14
	s_cmp_ge_u32 s15, s58
	s_cselect_b32 s15, -1, 0
	s_cmp_eq_u32 s2, 0
	s_cselect_b32 s2, s15, -1
	s_cmp_lg_u32 s2, 0
	s_cselect_b32 s3, s3, s13
	s_cselect_b32 s2, s14, s12
	s_xor_b64 s[2:3], s[2:3], s[10:11]
	s_sub_u32 s2, s2, s10
	s_subb_u32 s3, s3, s10
	s_cbranch_execnz .LBB140_5
.LBB140_4:
	v_cvt_f32_u32_e32 v1, s58
	s_sub_i32 s0, 0, s58
	s_mov_b32 s3, 0
	v_rcp_iflag_f32_e32 v1, v1
	v_mul_f32_e32 v1, 0x4f7ffffe, v1
	v_cvt_u32_f32_e32 v1, v1
	v_readfirstlane_b32 s1, v1
	s_mul_i32 s0, s0, s1
	s_mul_hi_u32 s0, s1, s0
	s_add_i32 s1, s1, s0
	s_mul_hi_u32 s0, s9, s1
	s_mul_i32 s2, s0, s58
	s_sub_i32 s2, s9, s2
	s_add_i32 s1, s0, 1
	s_sub_i32 s9, s2, s58
	s_cmp_ge_u32 s2, s58
	s_cselect_b32 s0, s1, s0
	s_cselect_b32 s2, s9, s2
	s_add_i32 s1, s0, 1
	s_cmp_ge_u32 s2, s58
	s_cselect_b32 s2, s1, s0
.LBB140_5:
	v_mov_b32_e32 v1, 0
	v_mov_b32_e32 v4, s6
	v_mad_u64_u32 v[14:15], s[0:1], s8, v4, v[0:1]
	s_add_u32 s0, s2, 1
	s_addc_u32 s1, s3, 0
	s_mul_hi_u32 s2, s7, s8
	s_mul_i32 s1, s33, s1
	s_mul_hi_u32 s3, s33, s0
	s_add_i32 s1, s3, s1
	s_mul_i32 s2, s2, s0
	s_add_i32 s1, s1, s2
	s_mul_i32 s0, s33, s0
	s_lshl_b64 s[26:27], s[0:1], 2
	v_cmp_gt_i64_e32 vcc, s[26:27], v[14:15]
	s_and_saveexec_b64 s[0:1], vcc
	s_cbranch_execz .LBB140_82
; %bb.6:
	s_mov_b32 s0, 0x5384540f
	v_mov_b32_e32 v0, v13
	v_add_co_u32_e32 v22, vcc, s0, v12
	s_mov_b32 s0, 0x646e171e
	v_add_co_u32_e32 v23, vcc, s0, v0
	s_mov_b32 s0, 0x1715609d
	;; [unrolled: 2-line block ×6, first 2 shown]
	v_alignbit_b32 v29, v3, v2, 2
	s_mov_b32 s60, 0xd2511f53
	v_add_co_u32_e32 v28, vcc, s0, v12
	v_mad_u64_u32 v[4:5], s[0:1], v29, s60, 0
	v_xor_b32_e32 v1, v5, v13
	v_xor_b32_e32 v1, v1, v15
	s_mov_b32 s61, 0xcd9e8d57
	v_mad_u64_u32 v[6:7], s[0:1], v1, s61, 0
	v_xor_b32_e32 v1, v28, v7
	v_mad_u64_u32 v[8:9], s[0:1], v14, s61, 0
	v_and_b32_e32 v18, 3, v2
	v_xor_b32_e32 v1, v1, v8
	v_xor_b32_e32 v2, v12, v9
	v_lshrrev_b32_e32 v30, 2, v3
	v_mad_u64_u32 v[10:11], s[0:1], v1, s60, 0
	v_xor_b32_e32 v2, v2, v30
	v_xor_b32_e32 v1, v27, v11
	v_mad_u64_u32 v[2:3], s[0:1], v2, s60, 0
	v_xor_b32_e32 v1, v1, v2
	v_mad_u64_u32 v[8:9], s[0:1], v1, s61, 0
	s_mov_b32 s0, 0xbb67ae85
	v_add_co_u32_e32 v31, vcc, s0, v0
	v_xor_b32_e32 v2, v31, v3
	v_xor_b32_e32 v2, v2, v4
	v_xor_b32_e32 v1, v26, v9
	v_mad_u64_u32 v[2:3], s[0:1], v2, s61, 0
	v_xor_b32_e32 v1, v1, v2
	v_mad_u64_u32 v[4:5], s[0:1], v1, s60, 0
	s_mov_b32 s0, 0x3c6ef372
	v_add_co_u32_e32 v32, vcc, s0, v12
	v_xor_b32_e32 v2, v32, v3
	;; [unrolled: 8-line block ×6, first 2 shown]
	v_add_co_u32_e32 v21, vcc, 0xdb3d7428, v0
	v_xor_b32_e32 v2, v2, v6
	v_xor_b32_e32 v1, v21, v5
	v_mad_u64_u32 v[2:3], s[0:1], v2, s60, 0
	v_xor_b32_e32 v1, v1, v2
	v_mad_u64_u32 v[6:7], s[0:1], v1, s61, 0
	s_mov_b32 s0, 0x1fd5c5a3
	v_add_co_u32_e32 v37, vcc, s0, v0
	v_xor_b32_e32 v0, v37, v3
	v_xor_b32_e32 v0, v0, v10
	v_mad_u64_u32 v[0:1], s[0:1], v0, s61, 0
	s_mov_b32 s0, 0xf1bbcdc8
	s_load_dwordx8 s[8:15], s[4:5], 0x30
	v_add_co_u32_e32 v38, vcc, s0, v12
	v_xor_b32_e32 v1, v38, v1
	v_xor_b32_e32 v1, v1, v8
	s_add_u32 s34, s4, 48
	v_mad_u64_u32 v[8:9], s[0:1], v1, s60, 0
	s_addc_u32 s35, s5, 0
	s_waitcnt lgkmcnt(0)
	s_add_i32 s0, s8, -1
	s_cmp_gt_u32 s0, 1
	s_cselect_b64 s[40:41], -1, 0
	s_cmp_lg_u32 s8, 0
	s_cselect_b64 s[42:43], -1, 0
	s_add_u32 s44, s4, 0xf4
	s_addc_u32 s45, s5, 0
	s_load_dwordx2 s[46:47], s[4:5], 0xf4
	s_load_dwordx4 s[28:31], s[4:5], 0x138
	s_min_u32 s1, s0, 15
	s_cmp_gt_u32 s8, 1
	s_cselect_b64 s[48:49], -1, 0
	s_add_i32 s1, s1, 1
	s_mov_b32 s8, s13
	s_lshl_b32 s13, s33, 1
	s_and_b32 s64, s1, 3
	s_cmp_lg_u32 s0, 2
	s_waitcnt lgkmcnt(0)
	v_cvt_f32_f64_e32 v39, s[30:31]
	s_cselect_b64 s[30:31], -1, 0
	s_and_b32 s65, s1, 28
	s_mov_b32 s59, 0
	v_add_u32_e32 v19, 0x8ff34781, v12
	v_add_u32_e32 v20, 0x96a522ad, v13
	v_xor_b32_e32 v0, v7, v0
	v_xor_b32_e32 v1, v9, v4
	s_cmp_lg_u32 s64, 0
	v_xor_b32_e32 v0, v19, v0
	v_xor_b32_e32 v2, v20, v1
	v_mov_b32_e32 v1, v6
	v_mov_b32_e32 v3, v8
	s_mov_b32 s15, s59
	s_mul_i32 s62, s33, 3
	s_mov_b32 s63, s59
	s_mov_b64 s[50:51], 0
	s_cselect_b64 s[52:53], -1, 0
	v_mov_b32_e32 v40, v14
	v_mov_b32_e32 v41, v15
	s_branch .LBB140_9
.LBB140_7:                              ;   in Loop: Header=BB140_9 Depth=1
	v_cvt_f32_u32_e32 v0, v3
	v_mov_b32_e32 v1, 0x2f800000
	v_fmac_f32_e32 v1, 0x2f800000, v0
	v_cmp_lt_f32_e32 vcc, v1, v39
	v_cndmask_b32_e64 v0, 0, 1, vcc
	global_store_short v8, v0, s[28:29]
.LBB140_8:                              ;   in Loop: Header=BB140_9 Depth=1
	s_or_b64 exec, exec, s[36:37]
	v_add_co_u32_e32 v14, vcc, s58, v14
	v_addc_co_u32_e32 v15, vcc, 0, v15, vcc
	v_mov_b32_e32 v7, v16
	v_cmp_le_i64_e32 vcc, s[26:27], v[14:15]
	v_pk_mov_b32 v[0:1], v[4:5], v[4:5] op_sel:[0,1]
	s_or_b64 s[50:51], vcc, s[50:51]
	v_pk_mov_b32 v[2:3], v[6:7], v[6:7] op_sel:[0,1]
	s_barrier
	s_andn2_b64 exec, exec, s[50:51]
	s_cbranch_execz .LBB140_82
.LBB140_9:                              ; =>This Loop Header: Depth=1
                                        ;     Child Loop BB140_24 Depth 2
                                        ;     Child Loop BB140_30 Depth 2
	;; [unrolled: 1-line block ×8, first 2 shown]
	v_add_co_u32_e32 v29, vcc, 1, v29
	v_cndmask_b32_e64 v4, 0, 1, vcc
	v_addc_co_u32_e32 v30, vcc, 0, v30, vcc
	v_cmp_eq_u32_e32 vcc, 0, v30
	v_cndmask_b32_e32 v4, 0, v4, vcc
	v_add_u32_e32 v40, v4, v40
	v_cmp_eq_u32_e32 vcc, 0, v40
	v_cndmask_b32_e32 v4, 0, v4, vcc
	v_add_u32_e32 v41, v4, v41
	v_mad_u64_u32 v[4:5], s[0:1], v29, s60, 0
	v_mad_u64_u32 v[6:7], s[0:1], v40, s61, 0
	v_xor_b32_e32 v5, v5, v13
	v_xor_b32_e32 v7, v7, v12
	v_xor_b32_e32 v5, v41, v5
	v_xor_b32_e32 v7, v30, v7
	v_mad_u64_u32 v[10:11], s[0:1], v5, s61, 0
	v_mad_u64_u32 v[8:9], s[0:1], v7, s60, 0
	v_xor_b32_e32 v5, v28, v11
	v_xor_b32_e32 v5, v5, v6
	v_xor_b32_e32 v6, v31, v9
	v_xor_b32_e32 v6, v6, v4
	;; [unrolled: 6-line block ×10, first 2 shown]
	v_mov_b32_e32 v5, v10
	v_mov_b32_e32 v6, v11
	v_cmp_lt_i32_e32 vcc, 1, v18
	s_and_saveexec_b64 s[0:1], vcc
	s_xor_b64 s[0:1], exec, s[0:1]
	s_cbranch_execz .LBB140_15
; %bb.10:                               ;   in Loop: Header=BB140_9 Depth=1
	v_cmp_lt_i32_e32 vcc, 2, v18
	s_and_saveexec_b64 s[2:3], vcc
	s_xor_b64 s[2:3], exec, s[2:3]
; %bb.11:                               ;   in Loop: Header=BB140_9 Depth=1
	v_mov_b32_e32 v8, v3
	v_mov_b32_e32 v9, v4
	v_pk_mov_b32 v[0:1], v[8:9], v[8:9] op_sel:[0,1]
	v_pk_mov_b32 v[2:3], v[10:11], v[10:11] op_sel:[0,1]
                                        ; implicit-def: $vgpr10_vgpr11
; %bb.12:                               ;   in Loop: Header=BB140_9 Depth=1
	s_andn2_saveexec_b64 s[2:3], s[2:3]
; %bb.13:                               ;   in Loop: Header=BB140_9 Depth=1
	v_mov_b32_e32 v0, v2
	v_mov_b32_e32 v1, v3
	;; [unrolled: 1-line block ×4, first 2 shown]
; %bb.14:                               ;   in Loop: Header=BB140_9 Depth=1
	s_or_b64 exec, exec, s[2:3]
.LBB140_15:                             ;   in Loop: Header=BB140_9 Depth=1
	s_andn2_saveexec_b64 s[0:1], s[0:1]
	s_cbranch_execz .LBB140_19
; %bb.16:                               ;   in Loop: Header=BB140_9 Depth=1
	v_cmp_eq_u32_e32 vcc, 1, v18
	s_and_saveexec_b64 s[2:3], vcc
; %bb.17:                               ;   in Loop: Header=BB140_9 Depth=1
	v_mov_b32_e32 v0, v1
	v_mov_b32_e32 v1, v2
	;; [unrolled: 1-line block ×4, first 2 shown]
; %bb.18:                               ;   in Loop: Header=BB140_9 Depth=1
	s_or_b64 exec, exec, s[2:3]
.LBB140_19:                             ;   in Loop: Header=BB140_9 Depth=1
	s_or_b64 exec, exec, s[0:1]
	v_cndmask_b32_e64 v7, 0, 1, s[40:41]
	v_cmp_gt_i64_e32 vcc, s[24:25], v[14:15]
	v_cmp_ne_u32_e64 s[0:1], 1, v7
	s_and_saveexec_b64 s[2:3], vcc
	s_cbranch_execz .LBB140_35
; %bb.20:                               ;   in Loop: Header=BB140_9 Depth=1
	s_and_b64 vcc, exec, s[0:1]
	s_cbranch_vccnz .LBB140_26
; %bb.21:                               ;   in Loop: Header=BB140_9 Depth=1
	s_andn2_b64 vcc, exec, s[42:43]
	s_cbranch_vccnz .LBB140_27
; %bb.22:                               ;   in Loop: Header=BB140_9 Depth=1
	s_mov_b32 s6, 0
	s_andn2_b64 vcc, exec, s[30:31]
	v_mov_b32_e32 v8, 0
	s_cbranch_vccnz .LBB140_28
; %bb.23:                               ;   in Loop: Header=BB140_9 Depth=1
	s_mov_b32 s66, 0
	v_mov_b32_e32 v8, 0
	s_mov_b64 s[54:55], s[34:35]
	s_mov_b64 s[56:57], s[44:45]
	v_mov_b32_e32 v7, v14
.LBB140_24:                             ;   Parent Loop BB140_9 Depth=1
                                        ; =>  This Inner Loop Header: Depth=2
	s_load_dwordx8 s[16:23], s[54:55], 0x4
	s_load_dwordx4 s[4:7], s[54:55], 0x24
	s_load_dwordx4 s[36:39], s[56:57], 0x0
	s_add_u32 s54, s54, 48
	s_addc_u32 s55, s55, 0
	s_waitcnt lgkmcnt(0)
	v_mul_hi_u32 v9, s17, v7
	v_add_u32_e32 v9, v7, v9
	v_lshrrev_b32_e32 v9, s18, v9
	v_mul_lo_u32 v10, v9, s16
	v_mul_hi_u32 v11, s20, v9
	v_sub_u32_e32 v7, v7, v10
	v_add_u32_e32 v10, v9, v11
	v_lshrrev_b32_e32 v10, s21, v10
	v_mul_lo_u32 v11, v10, s19
	v_mul_hi_u32 v17, s23, v10
	v_sub_u32_e32 v9, v9, v11
	v_add_u32_e32 v11, v10, v17
	v_mul_lo_u32 v7, v7, s36
	v_mul_lo_u32 v9, v9, s37
	v_lshrrev_b32_e32 v11, s4, v11
	v_add3_u32 v8, v7, v8, v9
	v_mul_lo_u32 v7, v11, s22
	v_mul_hi_u32 v9, s6, v11
	v_sub_u32_e32 v7, v10, v7
	v_add_u32_e32 v9, v11, v9
	v_mul_lo_u32 v10, v7, s38
	v_lshrrev_b32_e32 v7, s7, v9
	s_add_i32 s66, s66, 4
	v_mul_lo_u32 v9, v7, s5
	s_add_u32 s56, s56, 16
	v_sub_u32_e32 v9, v11, v9
	s_addc_u32 s57, s57, 0
	v_mul_lo_u32 v9, v9, s39
	s_cmp_lg_u32 s65, s66
	v_add3_u32 v8, v10, v8, v9
	s_cbranch_scc1 .LBB140_24
; %bb.25:                               ;   in Loop: Header=BB140_9 Depth=1
	s_mov_b32 s6, s65
	s_andn2_b64 vcc, exec, s[52:53]
	s_cbranch_vccz .LBB140_29
	s_branch .LBB140_31
.LBB140_26:                             ;   in Loop: Header=BB140_9 Depth=1
                                        ; implicit-def: $vgpr8
	s_branch .LBB140_32
.LBB140_27:                             ;   in Loop: Header=BB140_9 Depth=1
	v_mov_b32_e32 v8, 0
	s_branch .LBB140_31
.LBB140_28:                             ;   in Loop: Header=BB140_9 Depth=1
	v_mov_b32_e32 v7, v14
	s_andn2_b64 vcc, exec, s[52:53]
	s_cbranch_vccnz .LBB140_31
.LBB140_29:                             ;   in Loop: Header=BB140_9 Depth=1
	s_lshl_b32 s4, s6, 2
	s_add_u32 s4, s44, s4
	s_addc_u32 s5, s45, 0
	s_mul_i32 s6, s6, 12
	s_add_u32 s6, s34, s6
	s_addc_u32 s7, s35, 0
	s_mov_b32 s16, s64
.LBB140_30:                             ;   Parent Loop BB140_9 Depth=1
                                        ; =>  This Inner Loop Header: Depth=2
	s_load_dwordx2 s[18:19], s[6:7], 0x4
	s_load_dword s17, s[6:7], 0xc
	s_load_dword s20, s[4:5], 0x0
	s_add_u32 s6, s6, 12
	s_addc_u32 s7, s7, 0
	s_waitcnt lgkmcnt(0)
	v_mul_hi_u32 v9, s19, v7
	v_add_u32_e32 v9, v7, v9
	v_lshrrev_b32_e32 v9, s17, v9
	s_add_u32 s4, s4, 4
	v_mul_lo_u32 v10, v9, s18
	s_addc_u32 s5, s5, 0
	s_add_i32 s16, s16, -1
	v_sub_u32_e32 v10, v7, v10
	s_cmp_lg_u32 s16, 0
	v_mov_b32_e32 v7, v9
	v_mad_u64_u32 v[8:9], s[18:19], v10, s20, v[8:9]
	s_cbranch_scc1 .LBB140_30
.LBB140_31:                             ;   in Loop: Header=BB140_9 Depth=1
	s_cbranch_execnz .LBB140_34
.LBB140_32:                             ;   in Loop: Header=BB140_9 Depth=1
	v_mul_hi_u32 v7, v14, s10
	v_add_u32_e32 v7, v7, v14
	v_lshrrev_b32_e32 v7, s11, v7
	v_mul_lo_u32 v8, v7, s9
	v_sub_u32_e32 v8, v14, v8
	s_andn2_b64 vcc, exec, s[48:49]
	v_mul_lo_u32 v8, v8, s46
	s_cbranch_vccnz .LBB140_34
; %bb.33:                               ;   in Loop: Header=BB140_9 Depth=1
	v_mul_hi_u32 v9, s8, v7
	v_add_u32_e32 v9, v7, v9
	v_lshrrev_b32_e32 v9, s14, v9
	v_mul_lo_u32 v9, v9, s12
	v_sub_u32_e32 v7, v7, v9
	v_mad_u64_u32 v[8:9], s[4:5], v7, s47, v[8:9]
.LBB140_34:                             ;   in Loop: Header=BB140_9 Depth=1
	v_cvt_f32_u32_e32 v0, v0
	v_mov_b32_e32 v7, 0x2f800000
	v_fmac_f32_e32 v7, 0x2f800000, v0
	v_cmp_lt_f32_e32 vcc, v7, v39
	v_cndmask_b32_e64 v0, 0, 1, vcc
	global_store_short v8, v0, s[28:29]
.LBB140_35:                             ;   in Loop: Header=BB140_9 Depth=1
	s_or_b64 exec, exec, s[2:3]
	v_mov_b32_e32 v0, s59
	v_add_co_u32_e32 v8, vcc, s33, v14
	v_addc_co_u32_e32 v9, vcc, v15, v0, vcc
	v_cmp_gt_i64_e32 vcc, s[24:25], v[8:9]
	s_and_saveexec_b64 s[2:3], vcc
	s_cbranch_execz .LBB140_51
; %bb.36:                               ;   in Loop: Header=BB140_9 Depth=1
	s_and_b64 vcc, exec, s[0:1]
	s_cbranch_vccnz .LBB140_42
; %bb.37:                               ;   in Loop: Header=BB140_9 Depth=1
	s_andn2_b64 vcc, exec, s[42:43]
	s_cbranch_vccnz .LBB140_43
; %bb.38:                               ;   in Loop: Header=BB140_9 Depth=1
	s_mov_b32 s6, 0
	s_andn2_b64 vcc, exec, s[30:31]
	v_mov_b32_e32 v10, 0
	s_cbranch_vccnz .LBB140_44
; %bb.39:                               ;   in Loop: Header=BB140_9 Depth=1
	s_mov_b32 s66, 0
	v_mov_b32_e32 v10, 0
	s_mov_b64 s[54:55], s[34:35]
	s_mov_b64 s[56:57], s[44:45]
	v_mov_b32_e32 v0, v8
.LBB140_40:                             ;   Parent Loop BB140_9 Depth=1
                                        ; =>  This Inner Loop Header: Depth=2
	s_load_dwordx8 s[16:23], s[54:55], 0x4
	s_load_dwordx4 s[4:7], s[54:55], 0x24
	s_load_dwordx4 s[36:39], s[56:57], 0x0
	s_add_u32 s54, s54, 48
	s_addc_u32 s55, s55, 0
	s_waitcnt lgkmcnt(0)
	v_mul_hi_u32 v7, s17, v0
	v_add_u32_e32 v7, v0, v7
	v_lshrrev_b32_e32 v7, s18, v7
	v_mul_lo_u32 v9, v7, s16
	v_mul_hi_u32 v11, s20, v7
	v_sub_u32_e32 v0, v0, v9
	v_add_u32_e32 v9, v7, v11
	v_lshrrev_b32_e32 v9, s21, v9
	v_mul_lo_u32 v11, v9, s19
	v_mul_hi_u32 v17, s23, v9
	v_sub_u32_e32 v7, v7, v11
	v_add_u32_e32 v11, v9, v17
	v_mul_lo_u32 v0, v0, s36
	v_mul_lo_u32 v7, v7, s37
	v_lshrrev_b32_e32 v11, s4, v11
	v_add3_u32 v7, v0, v10, v7
	v_mul_lo_u32 v0, v11, s22
	v_mul_hi_u32 v10, s6, v11
	v_sub_u32_e32 v0, v9, v0
	v_add_u32_e32 v9, v11, v10
	v_mul_lo_u32 v10, v0, s38
	v_lshrrev_b32_e32 v0, s7, v9
	s_add_i32 s66, s66, 4
	v_mul_lo_u32 v9, v0, s5
	s_add_u32 s56, s56, 16
	v_sub_u32_e32 v9, v11, v9
	s_addc_u32 s57, s57, 0
	v_mul_lo_u32 v9, v9, s39
	s_cmp_eq_u32 s65, s66
	v_add3_u32 v10, v10, v7, v9
	s_cbranch_scc0 .LBB140_40
; %bb.41:                               ;   in Loop: Header=BB140_9 Depth=1
	s_mov_b32 s6, s65
	s_andn2_b64 vcc, exec, s[52:53]
	s_cbranch_vccz .LBB140_45
	s_branch .LBB140_47
.LBB140_42:                             ;   in Loop: Header=BB140_9 Depth=1
                                        ; implicit-def: $vgpr10
	s_branch .LBB140_48
.LBB140_43:                             ;   in Loop: Header=BB140_9 Depth=1
	v_mov_b32_e32 v10, 0
	s_branch .LBB140_47
.LBB140_44:                             ;   in Loop: Header=BB140_9 Depth=1
	v_mov_b32_e32 v0, v8
	s_andn2_b64 vcc, exec, s[52:53]
	s_cbranch_vccnz .LBB140_47
.LBB140_45:                             ;   in Loop: Header=BB140_9 Depth=1
	s_lshl_b32 s4, s6, 2
	s_add_u32 s4, s44, s4
	s_addc_u32 s5, s45, 0
	s_mul_i32 s6, s6, 12
	s_add_u32 s6, s34, s6
	s_addc_u32 s7, s35, 0
	s_mov_b32 s16, s64
.LBB140_46:                             ;   Parent Loop BB140_9 Depth=1
                                        ; =>  This Inner Loop Header: Depth=2
	s_load_dwordx2 s[18:19], s[6:7], 0x4
	s_load_dword s17, s[6:7], 0xc
	s_load_dword s20, s[4:5], 0x0
	s_add_u32 s6, s6, 12
	s_addc_u32 s7, s7, 0
	s_waitcnt lgkmcnt(0)
	v_mul_hi_u32 v7, s19, v0
	v_add_u32_e32 v7, v0, v7
	v_lshrrev_b32_e32 v7, s17, v7
	s_add_u32 s4, s4, 4
	v_mul_lo_u32 v9, v7, s18
	s_addc_u32 s5, s5, 0
	s_add_i32 s16, s16, -1
	v_sub_u32_e32 v9, v0, v9
	s_cmp_lg_u32 s16, 0
	v_mov_b32_e32 v0, v7
	v_mad_u64_u32 v[10:11], s[18:19], v9, s20, v[10:11]
	s_cbranch_scc1 .LBB140_46
.LBB140_47:                             ;   in Loop: Header=BB140_9 Depth=1
	s_cbranch_execnz .LBB140_50
.LBB140_48:                             ;   in Loop: Header=BB140_9 Depth=1
	v_mul_hi_u32 v0, v8, s10
	v_add_u32_e32 v0, v0, v8
	v_lshrrev_b32_e32 v0, s11, v0
	v_mul_lo_u32 v7, v0, s9
	v_sub_u32_e32 v7, v8, v7
	s_andn2_b64 vcc, exec, s[48:49]
	v_mul_lo_u32 v10, v7, s46
	s_cbranch_vccnz .LBB140_50
; %bb.49:                               ;   in Loop: Header=BB140_9 Depth=1
	v_mul_hi_u32 v7, s8, v0
	v_add_u32_e32 v7, v0, v7
	v_lshrrev_b32_e32 v7, s14, v7
	v_mul_lo_u32 v7, v7, s12
	v_sub_u32_e32 v0, v0, v7
	v_mad_u64_u32 v[10:11], s[4:5], v0, s47, v[10:11]
.LBB140_50:                             ;   in Loop: Header=BB140_9 Depth=1
	v_cvt_f32_u32_e32 v0, v1
	v_mov_b32_e32 v1, 0x2f800000
	v_fmac_f32_e32 v1, 0x2f800000, v0
	v_cmp_lt_f32_e32 vcc, v1, v39
	v_cndmask_b32_e64 v0, 0, 1, vcc
	global_store_short v10, v0, s[28:29]
.LBB140_51:                             ;   in Loop: Header=BB140_9 Depth=1
	s_or_b64 exec, exec, s[2:3]
	v_mov_b32_e32 v1, s15
	v_add_co_u32_e32 v0, vcc, s13, v14
	v_addc_co_u32_e32 v1, vcc, v15, v1, vcc
	v_cmp_gt_i64_e32 vcc, s[24:25], v[0:1]
	s_and_saveexec_b64 s[2:3], vcc
	s_cbranch_execz .LBB140_67
; %bb.52:                               ;   in Loop: Header=BB140_9 Depth=1
	s_and_b64 vcc, exec, s[0:1]
	s_cbranch_vccnz .LBB140_58
; %bb.53:                               ;   in Loop: Header=BB140_9 Depth=1
	s_andn2_b64 vcc, exec, s[42:43]
	s_cbranch_vccnz .LBB140_59
; %bb.54:                               ;   in Loop: Header=BB140_9 Depth=1
	s_mov_b32 s6, 0
	s_andn2_b64 vcc, exec, s[30:31]
	v_mov_b32_e32 v8, 0
	s_cbranch_vccnz .LBB140_60
; %bb.55:                               ;   in Loop: Header=BB140_9 Depth=1
	s_mov_b32 s66, 0
	v_mov_b32_e32 v8, 0
	s_mov_b64 s[54:55], s[34:35]
	s_mov_b64 s[56:57], s[44:45]
	v_mov_b32_e32 v1, v0
.LBB140_56:                             ;   Parent Loop BB140_9 Depth=1
                                        ; =>  This Inner Loop Header: Depth=2
	s_load_dwordx8 s[16:23], s[54:55], 0x4
	s_load_dwordx4 s[4:7], s[54:55], 0x24
	s_load_dwordx4 s[36:39], s[56:57], 0x0
	s_add_u32 s54, s54, 48
	s_addc_u32 s55, s55, 0
	s_waitcnt lgkmcnt(0)
	v_mul_hi_u32 v7, s17, v1
	v_add_u32_e32 v7, v1, v7
	v_lshrrev_b32_e32 v7, s18, v7
	v_mul_lo_u32 v9, v7, s16
	v_mul_hi_u32 v10, s20, v7
	v_sub_u32_e32 v1, v1, v9
	v_add_u32_e32 v9, v7, v10
	v_lshrrev_b32_e32 v9, s21, v9
	v_mul_lo_u32 v10, v9, s19
	v_mul_hi_u32 v11, s23, v9
	v_sub_u32_e32 v7, v7, v10
	v_add_u32_e32 v10, v9, v11
	v_mul_lo_u32 v1, v1, s36
	v_mul_lo_u32 v7, v7, s37
	v_lshrrev_b32_e32 v10, s4, v10
	v_add3_u32 v7, v1, v8, v7
	v_mul_lo_u32 v1, v10, s22
	v_mul_hi_u32 v8, s6, v10
	v_sub_u32_e32 v1, v9, v1
	v_add_u32_e32 v8, v10, v8
	v_mul_lo_u32 v9, v1, s38
	v_lshrrev_b32_e32 v1, s7, v8
	s_add_i32 s66, s66, 4
	v_mul_lo_u32 v8, v1, s5
	s_add_u32 s56, s56, 16
	v_sub_u32_e32 v8, v10, v8
	s_addc_u32 s57, s57, 0
	v_mul_lo_u32 v8, v8, s39
	s_cmp_eq_u32 s65, s66
	v_add3_u32 v8, v9, v7, v8
	s_cbranch_scc0 .LBB140_56
; %bb.57:                               ;   in Loop: Header=BB140_9 Depth=1
	s_mov_b32 s6, s65
	s_andn2_b64 vcc, exec, s[52:53]
	s_cbranch_vccz .LBB140_61
	s_branch .LBB140_63
.LBB140_58:                             ;   in Loop: Header=BB140_9 Depth=1
                                        ; implicit-def: $vgpr8
	s_branch .LBB140_64
.LBB140_59:                             ;   in Loop: Header=BB140_9 Depth=1
	v_mov_b32_e32 v8, 0
	s_branch .LBB140_63
.LBB140_60:                             ;   in Loop: Header=BB140_9 Depth=1
	v_mov_b32_e32 v1, v0
	s_andn2_b64 vcc, exec, s[52:53]
	s_cbranch_vccnz .LBB140_63
.LBB140_61:                             ;   in Loop: Header=BB140_9 Depth=1
	s_lshl_b32 s4, s6, 2
	s_add_u32 s4, s44, s4
	s_addc_u32 s5, s45, 0
	s_mul_i32 s6, s6, 12
	s_add_u32 s6, s34, s6
	s_addc_u32 s7, s35, 0
	s_mov_b32 s16, s64
.LBB140_62:                             ;   Parent Loop BB140_9 Depth=1
                                        ; =>  This Inner Loop Header: Depth=2
	s_load_dwordx2 s[18:19], s[6:7], 0x4
	s_load_dword s17, s[6:7], 0xc
	s_load_dword s20, s[4:5], 0x0
	s_add_u32 s6, s6, 12
	s_addc_u32 s7, s7, 0
	s_waitcnt lgkmcnt(0)
	v_mul_hi_u32 v7, s19, v1
	v_add_u32_e32 v7, v1, v7
	v_lshrrev_b32_e32 v7, s17, v7
	s_add_u32 s4, s4, 4
	v_mul_lo_u32 v9, v7, s18
	s_addc_u32 s5, s5, 0
	s_add_i32 s16, s16, -1
	v_sub_u32_e32 v9, v1, v9
	s_cmp_lg_u32 s16, 0
	v_mov_b32_e32 v1, v7
	v_mad_u64_u32 v[8:9], s[18:19], v9, s20, v[8:9]
	s_cbranch_scc1 .LBB140_62
.LBB140_63:                             ;   in Loop: Header=BB140_9 Depth=1
	s_cbranch_execnz .LBB140_66
.LBB140_64:                             ;   in Loop: Header=BB140_9 Depth=1
	v_mul_hi_u32 v1, v0, s10
	v_add_u32_e32 v1, v1, v0
	v_lshrrev_b32_e32 v1, s11, v1
	v_mul_lo_u32 v7, v1, s9
	v_sub_u32_e32 v0, v0, v7
	s_andn2_b64 vcc, exec, s[48:49]
	v_mul_lo_u32 v8, v0, s46
	s_cbranch_vccnz .LBB140_66
; %bb.65:                               ;   in Loop: Header=BB140_9 Depth=1
	v_mul_hi_u32 v0, s8, v1
	v_add_u32_e32 v0, v1, v0
	v_lshrrev_b32_e32 v0, s14, v0
	v_mul_lo_u32 v0, v0, s12
	v_sub_u32_e32 v0, v1, v0
	v_mad_u64_u32 v[8:9], s[4:5], v0, s47, v[8:9]
.LBB140_66:                             ;   in Loop: Header=BB140_9 Depth=1
	v_cvt_f32_u32_e32 v0, v2
	v_mov_b32_e32 v1, 0x2f800000
	v_fmac_f32_e32 v1, 0x2f800000, v0
	v_cmp_lt_f32_e32 vcc, v1, v39
	v_cndmask_b32_e64 v0, 0, 1, vcc
	global_store_short v8, v0, s[28:29]
.LBB140_67:                             ;   in Loop: Header=BB140_9 Depth=1
	s_or_b64 exec, exec, s[2:3]
	v_mov_b32_e32 v1, s63
	v_add_co_u32_e32 v0, vcc, s62, v14
	v_addc_co_u32_e32 v1, vcc, v15, v1, vcc
	v_cmp_gt_i64_e32 vcc, s[24:25], v[0:1]
	s_and_saveexec_b64 s[36:37], vcc
	s_cbranch_execz .LBB140_8
; %bb.68:                               ;   in Loop: Header=BB140_9 Depth=1
	s_and_b64 vcc, exec, s[0:1]
	s_cbranch_vccnz .LBB140_74
; %bb.69:                               ;   in Loop: Header=BB140_9 Depth=1
	s_andn2_b64 vcc, exec, s[42:43]
	s_cbranch_vccnz .LBB140_75
; %bb.70:                               ;   in Loop: Header=BB140_9 Depth=1
	s_mov_b32 s2, 0
	s_andn2_b64 vcc, exec, s[30:31]
	v_mov_b32_e32 v8, 0
	s_cbranch_vccnz .LBB140_76
; %bb.71:                               ;   in Loop: Header=BB140_9 Depth=1
	s_mov_b32 s56, 0
	v_mov_b32_e32 v8, 0
	s_mov_b64 s[38:39], s[34:35]
	s_mov_b64 s[54:55], s[44:45]
	v_mov_b32_e32 v1, v0
.LBB140_72:                             ;   Parent Loop BB140_9 Depth=1
                                        ; =>  This Inner Loop Header: Depth=2
	s_load_dwordx8 s[0:7], s[38:39], 0x4
	s_load_dwordx4 s[16:19], s[38:39], 0x24
	s_load_dwordx4 s[20:23], s[54:55], 0x0
	s_add_u32 s38, s38, 48
	s_addc_u32 s39, s39, 0
	s_waitcnt lgkmcnt(0)
	v_mul_hi_u32 v2, s1, v1
	v_add_u32_e32 v2, v1, v2
	v_lshrrev_b32_e32 v2, s2, v2
	v_mul_lo_u32 v7, v2, s0
	v_mul_hi_u32 v9, s4, v2
	v_sub_u32_e32 v1, v1, v7
	v_add_u32_e32 v7, v2, v9
	v_lshrrev_b32_e32 v7, s5, v7
	v_mul_lo_u32 v9, v7, s3
	v_mul_hi_u32 v10, s7, v7
	v_sub_u32_e32 v2, v2, v9
	v_add_u32_e32 v9, v7, v10
	v_mul_lo_u32 v1, v1, s20
	v_mul_lo_u32 v2, v2, s21
	v_lshrrev_b32_e32 v9, s16, v9
	v_add3_u32 v2, v1, v8, v2
	v_mul_lo_u32 v1, v9, s6
	v_mul_hi_u32 v8, s18, v9
	v_sub_u32_e32 v1, v7, v1
	v_add_u32_e32 v7, v9, v8
	v_mul_lo_u32 v8, v1, s22
	v_lshrrev_b32_e32 v1, s19, v7
	s_add_i32 s56, s56, 4
	v_mul_lo_u32 v7, v1, s17
	s_add_u32 s54, s54, 16
	v_sub_u32_e32 v7, v9, v7
	s_addc_u32 s55, s55, 0
	v_mul_lo_u32 v7, v7, s23
	s_cmp_eq_u32 s65, s56
	v_add3_u32 v8, v8, v2, v7
	s_cbranch_scc0 .LBB140_72
; %bb.73:                               ;   in Loop: Header=BB140_9 Depth=1
	s_mov_b32 s2, s65
	s_andn2_b64 vcc, exec, s[52:53]
	s_cbranch_vccz .LBB140_77
	s_branch .LBB140_79
.LBB140_74:                             ;   in Loop: Header=BB140_9 Depth=1
                                        ; implicit-def: $vgpr8
	s_branch .LBB140_80
.LBB140_75:                             ;   in Loop: Header=BB140_9 Depth=1
	v_mov_b32_e32 v8, 0
	s_branch .LBB140_79
.LBB140_76:                             ;   in Loop: Header=BB140_9 Depth=1
	v_mov_b32_e32 v1, v0
	s_andn2_b64 vcc, exec, s[52:53]
	s_cbranch_vccnz .LBB140_79
.LBB140_77:                             ;   in Loop: Header=BB140_9 Depth=1
	s_lshl_b32 s0, s2, 2
	s_add_u32 s0, s44, s0
	s_addc_u32 s1, s45, 0
	s_mul_i32 s2, s2, 12
	s_add_u32 s2, s34, s2
	s_addc_u32 s3, s35, 0
	s_mov_b32 s4, s64
.LBB140_78:                             ;   Parent Loop BB140_9 Depth=1
                                        ; =>  This Inner Loop Header: Depth=2
	s_load_dwordx2 s[6:7], s[2:3], 0x4
	s_load_dword s5, s[2:3], 0xc
	s_load_dword s16, s[0:1], 0x0
	s_add_u32 s2, s2, 12
	s_addc_u32 s3, s3, 0
	s_waitcnt lgkmcnt(0)
	v_mul_hi_u32 v2, s7, v1
	v_add_u32_e32 v2, v1, v2
	v_lshrrev_b32_e32 v2, s5, v2
	s_add_u32 s0, s0, 4
	v_mul_lo_u32 v7, v2, s6
	s_addc_u32 s1, s1, 0
	s_add_i32 s4, s4, -1
	v_sub_u32_e32 v7, v1, v7
	s_cmp_lg_u32 s4, 0
	v_mov_b32_e32 v1, v2
	v_mad_u64_u32 v[8:9], s[6:7], v7, s16, v[8:9]
	s_cbranch_scc1 .LBB140_78
.LBB140_79:                             ;   in Loop: Header=BB140_9 Depth=1
	s_cbranch_execnz .LBB140_7
.LBB140_80:                             ;   in Loop: Header=BB140_9 Depth=1
	v_mul_hi_u32 v1, v0, s10
	v_add_u32_e32 v1, v1, v0
	v_lshrrev_b32_e32 v1, s11, v1
	v_mul_lo_u32 v2, v1, s9
	v_sub_u32_e32 v0, v0, v2
	s_andn2_b64 vcc, exec, s[48:49]
	v_mul_lo_u32 v8, v0, s46
	s_cbranch_vccnz .LBB140_7
; %bb.81:                               ;   in Loop: Header=BB140_9 Depth=1
	v_mul_hi_u32 v0, s8, v1
	v_add_u32_e32 v0, v1, v0
	v_lshrrev_b32_e32 v0, s14, v0
	v_mul_lo_u32 v0, v0, s12
	v_sub_u32_e32 v0, v1, v0
	v_mad_u64_u32 v[8:9], s[0:1], v0, s47, v[8:9]
	s_branch .LBB140_7
.LBB140_82:
	s_endpgm
.LBB140_83:
                                        ; implicit-def: $sgpr2_sgpr3
	s_andn2_b64 vcc, exec, s[0:1]
	s_cbranch_vccz .LBB140_4
	s_branch .LBB140_5
	.section	.rodata,"a",@progbits
	.p2align	6, 0x0
	.amdhsa_kernel _ZN2at6native12_GLOBAL__N_143distribution_elementwise_grid_stride_kernelIfLi4EZNS0_9templates4cuda21uniform_and_transformIsfPNS_17CUDAGeneratorImplEZZZNS4_16bernoulli_kernelIS7_EEvRNS_18TensorIteratorBaseEdT_ENKUlvE_clEvENKUlvE3_clEvEUlfE_EEvSA_T1_T2_EUlP25hiprandStatePhilox4_32_10E0_ZNS1_27distribution_nullary_kernelIsf15HIP_vector_typeIfLj4EES7_SJ_SE_EEvSA_SG_RKT3_T4_EUlifE0_EEvlNS_15PhiloxCudaStateESF_SG_
		.amdhsa_group_segment_fixed_size 0
		.amdhsa_private_segment_fixed_size 0
		.amdhsa_kernarg_size 584
		.amdhsa_user_sgpr_count 6
		.amdhsa_user_sgpr_private_segment_buffer 1
		.amdhsa_user_sgpr_dispatch_ptr 0
		.amdhsa_user_sgpr_queue_ptr 0
		.amdhsa_user_sgpr_kernarg_segment_ptr 1
		.amdhsa_user_sgpr_dispatch_id 0
		.amdhsa_user_sgpr_flat_scratch_init 0
		.amdhsa_user_sgpr_kernarg_preload_length 0
		.amdhsa_user_sgpr_kernarg_preload_offset 0
		.amdhsa_user_sgpr_private_segment_size 0
		.amdhsa_uses_dynamic_stack 0
		.amdhsa_system_sgpr_private_segment_wavefront_offset 0
		.amdhsa_system_sgpr_workgroup_id_x 1
		.amdhsa_system_sgpr_workgroup_id_y 0
		.amdhsa_system_sgpr_workgroup_id_z 0
		.amdhsa_system_sgpr_workgroup_info 0
		.amdhsa_system_vgpr_workitem_id 0
		.amdhsa_next_free_vgpr 42
		.amdhsa_next_free_sgpr 67
		.amdhsa_accum_offset 44
		.amdhsa_reserve_vcc 1
		.amdhsa_reserve_flat_scratch 0
		.amdhsa_float_round_mode_32 0
		.amdhsa_float_round_mode_16_64 0
		.amdhsa_float_denorm_mode_32 3
		.amdhsa_float_denorm_mode_16_64 3
		.amdhsa_dx10_clamp 1
		.amdhsa_ieee_mode 1
		.amdhsa_fp16_overflow 0
		.amdhsa_tg_split 0
		.amdhsa_exception_fp_ieee_invalid_op 0
		.amdhsa_exception_fp_denorm_src 0
		.amdhsa_exception_fp_ieee_div_zero 0
		.amdhsa_exception_fp_ieee_overflow 0
		.amdhsa_exception_fp_ieee_underflow 0
		.amdhsa_exception_fp_ieee_inexact 0
		.amdhsa_exception_int_div_zero 0
	.end_amdhsa_kernel
	.section	.text._ZN2at6native12_GLOBAL__N_143distribution_elementwise_grid_stride_kernelIfLi4EZNS0_9templates4cuda21uniform_and_transformIsfPNS_17CUDAGeneratorImplEZZZNS4_16bernoulli_kernelIS7_EEvRNS_18TensorIteratorBaseEdT_ENKUlvE_clEvENKUlvE3_clEvEUlfE_EEvSA_T1_T2_EUlP25hiprandStatePhilox4_32_10E0_ZNS1_27distribution_nullary_kernelIsf15HIP_vector_typeIfLj4EES7_SJ_SE_EEvSA_SG_RKT3_T4_EUlifE0_EEvlNS_15PhiloxCudaStateESF_SG_,"axG",@progbits,_ZN2at6native12_GLOBAL__N_143distribution_elementwise_grid_stride_kernelIfLi4EZNS0_9templates4cuda21uniform_and_transformIsfPNS_17CUDAGeneratorImplEZZZNS4_16bernoulli_kernelIS7_EEvRNS_18TensorIteratorBaseEdT_ENKUlvE_clEvENKUlvE3_clEvEUlfE_EEvSA_T1_T2_EUlP25hiprandStatePhilox4_32_10E0_ZNS1_27distribution_nullary_kernelIsf15HIP_vector_typeIfLj4EES7_SJ_SE_EEvSA_SG_RKT3_T4_EUlifE0_EEvlNS_15PhiloxCudaStateESF_SG_,comdat
.Lfunc_end140:
	.size	_ZN2at6native12_GLOBAL__N_143distribution_elementwise_grid_stride_kernelIfLi4EZNS0_9templates4cuda21uniform_and_transformIsfPNS_17CUDAGeneratorImplEZZZNS4_16bernoulli_kernelIS7_EEvRNS_18TensorIteratorBaseEdT_ENKUlvE_clEvENKUlvE3_clEvEUlfE_EEvSA_T1_T2_EUlP25hiprandStatePhilox4_32_10E0_ZNS1_27distribution_nullary_kernelIsf15HIP_vector_typeIfLj4EES7_SJ_SE_EEvSA_SG_RKT3_T4_EUlifE0_EEvlNS_15PhiloxCudaStateESF_SG_, .Lfunc_end140-_ZN2at6native12_GLOBAL__N_143distribution_elementwise_grid_stride_kernelIfLi4EZNS0_9templates4cuda21uniform_and_transformIsfPNS_17CUDAGeneratorImplEZZZNS4_16bernoulli_kernelIS7_EEvRNS_18TensorIteratorBaseEdT_ENKUlvE_clEvENKUlvE3_clEvEUlfE_EEvSA_T1_T2_EUlP25hiprandStatePhilox4_32_10E0_ZNS1_27distribution_nullary_kernelIsf15HIP_vector_typeIfLj4EES7_SJ_SE_EEvSA_SG_RKT3_T4_EUlifE0_EEvlNS_15PhiloxCudaStateESF_SG_
                                        ; -- End function
	.section	.AMDGPU.csdata,"",@progbits
; Kernel info:
; codeLenInByte = 4432
; NumSgprs: 71
; NumVgprs: 42
; NumAgprs: 0
; TotalNumVgprs: 42
; ScratchSize: 0
; MemoryBound: 0
; FloatMode: 240
; IeeeMode: 1
; LDSByteSize: 0 bytes/workgroup (compile time only)
; SGPRBlocks: 8
; VGPRBlocks: 5
; NumSGPRsForWavesPerEU: 71
; NumVGPRsForWavesPerEU: 42
; AccumOffset: 44
; Occupancy: 8
; WaveLimiterHint : 1
; COMPUTE_PGM_RSRC2:SCRATCH_EN: 0
; COMPUTE_PGM_RSRC2:USER_SGPR: 6
; COMPUTE_PGM_RSRC2:TRAP_HANDLER: 0
; COMPUTE_PGM_RSRC2:TGID_X_EN: 1
; COMPUTE_PGM_RSRC2:TGID_Y_EN: 0
; COMPUTE_PGM_RSRC2:TGID_Z_EN: 0
; COMPUTE_PGM_RSRC2:TIDIG_COMP_CNT: 0
; COMPUTE_PGM_RSRC3_GFX90A:ACCUM_OFFSET: 10
; COMPUTE_PGM_RSRC3_GFX90A:TG_SPLIT: 0
	.section	.text._ZN2at6native12_GLOBAL__N_143distribution_elementwise_grid_stride_kernelIdLi2EZNS0_9templates4cuda21uniform_and_transformIddPNS_17CUDAGeneratorImplEZZZNS4_16bernoulli_kernelIS7_EEvRNS_18TensorIteratorBaseEdT_ENKUlvE_clEvENKUlvE4_clEvEUldE_EEvSA_T1_T2_EUlP25hiprandStatePhilox4_32_10E_ZNS1_27distribution_nullary_kernelIdd15HIP_vector_typeIdLj2EES7_SJ_SE_EEvSA_SG_RKT3_T4_EUlidE_EEvlNS_15PhiloxCudaStateESF_SG_,"axG",@progbits,_ZN2at6native12_GLOBAL__N_143distribution_elementwise_grid_stride_kernelIdLi2EZNS0_9templates4cuda21uniform_and_transformIddPNS_17CUDAGeneratorImplEZZZNS4_16bernoulli_kernelIS7_EEvRNS_18TensorIteratorBaseEdT_ENKUlvE_clEvENKUlvE4_clEvEUldE_EEvSA_T1_T2_EUlP25hiprandStatePhilox4_32_10E_ZNS1_27distribution_nullary_kernelIdd15HIP_vector_typeIdLj2EES7_SJ_SE_EEvSA_SG_RKT3_T4_EUlidE_EEvlNS_15PhiloxCudaStateESF_SG_,comdat
	.globl	_ZN2at6native12_GLOBAL__N_143distribution_elementwise_grid_stride_kernelIdLi2EZNS0_9templates4cuda21uniform_and_transformIddPNS_17CUDAGeneratorImplEZZZNS4_16bernoulli_kernelIS7_EEvRNS_18TensorIteratorBaseEdT_ENKUlvE_clEvENKUlvE4_clEvEUldE_EEvSA_T1_T2_EUlP25hiprandStatePhilox4_32_10E_ZNS1_27distribution_nullary_kernelIdd15HIP_vector_typeIdLj2EES7_SJ_SE_EEvSA_SG_RKT3_T4_EUlidE_EEvlNS_15PhiloxCudaStateESF_SG_ ; -- Begin function _ZN2at6native12_GLOBAL__N_143distribution_elementwise_grid_stride_kernelIdLi2EZNS0_9templates4cuda21uniform_and_transformIddPNS_17CUDAGeneratorImplEZZZNS4_16bernoulli_kernelIS7_EEvRNS_18TensorIteratorBaseEdT_ENKUlvE_clEvENKUlvE4_clEvEUldE_EEvSA_T1_T2_EUlP25hiprandStatePhilox4_32_10E_ZNS1_27distribution_nullary_kernelIdd15HIP_vector_typeIdLj2EES7_SJ_SE_EEvSA_SG_RKT3_T4_EUlidE_EEvlNS_15PhiloxCudaStateESF_SG_
	.p2align	8
	.type	_ZN2at6native12_GLOBAL__N_143distribution_elementwise_grid_stride_kernelIdLi2EZNS0_9templates4cuda21uniform_and_transformIddPNS_17CUDAGeneratorImplEZZZNS4_16bernoulli_kernelIS7_EEvRNS_18TensorIteratorBaseEdT_ENKUlvE_clEvENKUlvE4_clEvEUldE_EEvSA_T1_T2_EUlP25hiprandStatePhilox4_32_10E_ZNS1_27distribution_nullary_kernelIdd15HIP_vector_typeIdLj2EES7_SJ_SE_EEvSA_SG_RKT3_T4_EUlidE_EEvlNS_15PhiloxCudaStateESF_SG_,@function
_ZN2at6native12_GLOBAL__N_143distribution_elementwise_grid_stride_kernelIdLi2EZNS0_9templates4cuda21uniform_and_transformIddPNS_17CUDAGeneratorImplEZZZNS4_16bernoulli_kernelIS7_EEvRNS_18TensorIteratorBaseEdT_ENKUlvE_clEvENKUlvE4_clEvEUldE_EEvSA_T1_T2_EUlP25hiprandStatePhilox4_32_10E_ZNS1_27distribution_nullary_kernelIdd15HIP_vector_typeIdLj2EES7_SJ_SE_EEvSA_SG_RKT3_T4_EUlidE_EEvlNS_15PhiloxCudaStateESF_SG_: ; @_ZN2at6native12_GLOBAL__N_143distribution_elementwise_grid_stride_kernelIdLi2EZNS0_9templates4cuda21uniform_and_transformIddPNS_17CUDAGeneratorImplEZZZNS4_16bernoulli_kernelIS7_EEvRNS_18TensorIteratorBaseEdT_ENKUlvE_clEvENKUlvE4_clEvEUldE_EEvSA_T1_T2_EUlP25hiprandStatePhilox4_32_10E_ZNS1_27distribution_nullary_kernelIdd15HIP_vector_typeIdLj2EES7_SJ_SE_EEvSA_SG_RKT3_T4_EUlidE_EEvlNS_15PhiloxCudaStateESF_SG_
; %bb.0:
	s_load_dword s7, s[4:5], 0x20
	s_load_dwordx2 s[10:11], s[4:5], 0x10
	s_load_dwordx4 s[0:3], s[4:5], 0x0
	s_mov_b32 s8, 0
	s_waitcnt lgkmcnt(0)
	s_bitcmp0_b32 s7, 0
	v_pk_mov_b32 v[2:3], s[10:11], s[10:11] op_sel:[0,1]
	v_pk_mov_b32 v[14:15], s[2:3], s[2:3] op_sel:[0,1]
	s_cbranch_scc1 .LBB141_2
; %bb.1:
	v_pk_mov_b32 v[2:3], s[10:11], s[10:11] op_sel:[0,1]
	flat_load_dwordx2 v[2:3], v[2:3]
	v_pk_mov_b32 v[4:5], s[2:3], s[2:3] op_sel:[0,1]
	flat_load_dwordx2 v[14:15], v[4:5]
	s_load_dwordx2 s[2:3], s[4:5], 0x18
	s_waitcnt lgkmcnt(0)
	v_mov_b32_e32 v1, s3
	s_waitcnt vmcnt(0)
	v_add_co_u32_e32 v2, vcc, s2, v2
	v_addc_co_u32_e32 v3, vcc, v3, v1, vcc
.LBB141_2:
	s_load_dword s2, s[4:5], 0x54
	s_load_dword s12, s[4:5], 0x48
	s_waitcnt lgkmcnt(0)
	s_and_b32 s7, s2, 0xffff
	s_add_u32 s10, s0, -1
	s_mul_i32 s14, s12, s7
	s_addc_u32 s9, s1, -1
	s_lshl_b32 s15, s14, 1
	s_cmp_lg_u64 s[8:9], 0
	s_mov_b64 s[2:3], -1
	s_cbranch_scc0 .LBB141_23
; %bb.3:
	v_cvt_f32_u32_e32 v1, s15
	v_cvt_f32_ubyte0_e32 v4, 0
	s_sub_u32 s8, 0, s15
	s_subb_u32 s11, 0, 0
	v_madmk_f32 v1, v4, 0x4f800000, v1
	v_rcp_f32_e32 v1, v1
	v_mul_f32_e32 v1, 0x5f7ffffc, v1
	v_mul_f32_e32 v4, 0x2f800000, v1
	v_trunc_f32_e32 v4, v4
	v_madmk_f32 v1, v4, 0xcf800000, v1
	v_cvt_u32_f32_e32 v4, v4
	v_cvt_u32_f32_e32 v1, v1
	v_readfirstlane_b32 s13, v4
	v_readfirstlane_b32 s16, v1
	s_mul_i32 s17, s8, s13
	s_mul_hi_u32 s19, s8, s16
	s_mul_i32 s18, s11, s16
	s_add_i32 s17, s19, s17
	s_add_i32 s17, s17, s18
	s_mul_i32 s20, s8, s16
	s_mul_hi_u32 s18, s16, s17
	s_mul_i32 s19, s16, s17
	s_mul_hi_u32 s16, s16, s20
	s_add_u32 s16, s16, s19
	s_addc_u32 s18, 0, s18
	s_mul_hi_u32 s21, s13, s20
	s_mul_i32 s20, s13, s20
	s_add_u32 s16, s16, s20
	s_mul_hi_u32 s19, s13, s17
	s_addc_u32 s16, s18, s21
	s_addc_u32 s18, s19, 0
	s_mul_i32 s17, s13, s17
	s_add_u32 s16, s16, s17
	s_addc_u32 s17, 0, s18
	v_add_co_u32_e32 v1, vcc, s16, v1
	s_cmp_lg_u64 vcc, 0
	s_addc_u32 s13, s13, s17
	v_readfirstlane_b32 s17, v1
	s_mul_i32 s16, s8, s13
	s_mul_hi_u32 s18, s8, s17
	s_add_i32 s16, s18, s16
	s_mul_i32 s11, s11, s17
	s_add_i32 s16, s16, s11
	s_mul_i32 s8, s8, s17
	s_mul_hi_u32 s18, s13, s8
	s_mul_i32 s19, s13, s8
	s_mul_i32 s21, s17, s16
	s_mul_hi_u32 s8, s17, s8
	s_mul_hi_u32 s20, s17, s16
	s_add_u32 s8, s8, s21
	s_addc_u32 s17, 0, s20
	s_add_u32 s8, s8, s19
	s_mul_hi_u32 s11, s13, s16
	s_addc_u32 s8, s17, s18
	s_addc_u32 s11, s11, 0
	s_mul_i32 s16, s13, s16
	s_add_u32 s8, s8, s16
	s_addc_u32 s11, 0, s11
	v_add_co_u32_e32 v1, vcc, s8, v1
	s_cmp_lg_u64 vcc, 0
	s_addc_u32 s11, s13, s11
	s_ashr_i32 s16, s9, 31
	s_add_u32 s8, s10, s16
	s_mov_b32 s17, s16
	s_addc_u32 s9, s9, s16
	s_xor_b64 s[8:9], s[8:9], s[16:17]
	v_readfirstlane_b32 s19, v1
	s_mul_i32 s18, s8, s11
	s_mul_hi_u32 s20, s8, s19
	s_mul_hi_u32 s13, s8, s11
	s_add_u32 s18, s20, s18
	s_addc_u32 s13, 0, s13
	s_mul_hi_u32 s21, s9, s19
	s_mul_i32 s19, s9, s19
	s_add_u32 s18, s18, s19
	s_mul_hi_u32 s20, s9, s11
	s_addc_u32 s13, s13, s21
	s_addc_u32 s18, s20, 0
	s_mul_i32 s11, s9, s11
	s_add_u32 s11, s13, s11
	s_addc_u32 s13, 0, s18
	s_add_u32 s18, s11, 1
	s_addc_u32 s19, s13, 0
	s_add_u32 s20, s11, 2
	s_mul_i32 s22, s15, s13
	s_mul_hi_u32 s23, s15, s11
	s_addc_u32 s21, s13, 0
	s_add_i32 s23, s23, s22
	s_mul_i32 s22, s15, s11
	v_mov_b32_e32 v1, s22
	v_sub_co_u32_e32 v1, vcc, s8, v1
	s_cmp_lg_u64 vcc, 0
	s_subb_u32 s8, s9, s23
	v_subrev_co_u32_e32 v4, vcc, s15, v1
	s_cmp_lg_u64 vcc, 0
	s_subb_u32 s9, s8, 0
	v_readfirstlane_b32 s22, v4
	s_cmp_ge_u32 s22, s15
	s_cselect_b32 s22, -1, 0
	s_cmp_eq_u32 s9, 0
	s_cselect_b32 s9, s22, -1
	s_cmp_lg_u32 s9, 0
	s_cselect_b32 s9, s21, s19
	v_readfirstlane_b32 s19, v1
	s_cselect_b32 s18, s20, s18
	s_cmp_ge_u32 s19, s15
	s_cselect_b32 s19, -1, 0
	s_cmp_eq_u32 s8, 0
	s_cselect_b32 s8, s19, -1
	s_cmp_lg_u32 s8, 0
	s_cselect_b32 s9, s9, s13
	s_cselect_b32 s8, s18, s11
	s_xor_b64 s[8:9], s[8:9], s[16:17]
	s_sub_u32 s8, s8, s16
	s_subb_u32 s9, s9, s16
	s_cbranch_execnz .LBB141_5
.LBB141_4:
	v_cvt_f32_u32_e32 v1, s15
	s_sub_i32 s2, 0, s15
	s_mov_b32 s9, 0
	v_rcp_iflag_f32_e32 v1, v1
	v_mul_f32_e32 v1, 0x4f7ffffe, v1
	v_cvt_u32_f32_e32 v1, v1
	v_readfirstlane_b32 s3, v1
	s_mul_i32 s2, s2, s3
	s_mul_hi_u32 s2, s3, s2
	s_add_i32 s3, s3, s2
	s_mul_hi_u32 s2, s10, s3
	s_mul_i32 s8, s2, s15
	s_sub_i32 s8, s10, s8
	s_add_i32 s3, s2, 1
	s_sub_i32 s10, s8, s15
	s_cmp_ge_u32 s8, s15
	s_cselect_b32 s2, s3, s2
	s_cselect_b32 s8, s10, s8
	s_add_i32 s3, s2, 1
	s_cmp_ge_u32 s8, s15
	s_cselect_b32 s8, s3, s2
.LBB141_5:
	v_mov_b32_e32 v16, 0
	v_mov_b32_e32 v1, v16
	;; [unrolled: 1-line block ×3, first 2 shown]
	v_mad_u64_u32 v[18:19], s[2:3], s7, v4, v[0:1]
	s_add_u32 s2, s8, 1
	s_addc_u32 s3, s9, 0
	s_mul_hi_u32 s8, s12, s7
	s_mul_i32 s3, s14, s3
	s_mul_hi_u32 s9, s14, s2
	s_add_i32 s3, s9, s3
	s_mul_i32 s8, s8, s2
	s_add_i32 s3, s3, s8
	s_mul_i32 s2, s14, s2
	s_lshl_b64 s[2:3], s[2:3], 1
	v_cmp_gt_i64_e32 vcc, s[2:3], v[18:19]
	s_and_saveexec_b64 s[8:9], vcc
	s_cbranch_execz .LBB141_22
; %bb.6:
	s_load_dwordx2 s[8:9], s[4:5], 0x30
	s_load_dword s13, s[4:5], 0x38
	s_load_dwordx2 s[10:11], s[4:5], 0x40
	s_mov_b32 s4, 0x5384540f
	v_mov_b32_e32 v4, v15
	v_add_co_u32_e32 v24, vcc, s4, v14
	s_mov_b32 s4, 0x646e171e
	v_add_co_u32_e32 v25, vcc, s4, v4
	s_mov_b32 s4, 0x1715609d
	;; [unrolled: 2-line block ×6, first 2 shown]
	v_alignbit_b32 v31, v3, v2, 2
	s_mov_b32 s17, 0xd2511f53
	v_add_co_u32_e32 v30, vcc, s4, v14
	v_mad_u64_u32 v[6:7], s[4:5], v31, s17, 0
	v_xor_b32_e32 v1, v7, v15
	v_xor_b32_e32 v1, v1, v19
	s_mov_b32 s18, 0xcd9e8d57
	v_mad_u64_u32 v[8:9], s[4:5], v1, s18, 0
	v_xor_b32_e32 v1, v30, v9
	v_mad_u64_u32 v[10:11], s[4:5], v18, s18, 0
	v_and_b32_e32 v20, 3, v2
	v_xor_b32_e32 v1, v1, v10
	v_xor_b32_e32 v2, v14, v11
	v_lshrrev_b32_e32 v32, 2, v3
	v_mad_u64_u32 v[12:13], s[4:5], v1, s17, 0
	v_xor_b32_e32 v2, v2, v32
	v_xor_b32_e32 v1, v29, v13
	v_mad_u64_u32 v[2:3], s[4:5], v2, s17, 0
	v_xor_b32_e32 v1, v1, v2
	v_mad_u64_u32 v[10:11], s[4:5], v1, s18, 0
	s_mov_b32 s4, 0xbb67ae85
	v_add_co_u32_e32 v33, vcc, s4, v4
	v_xor_b32_e32 v2, v33, v3
	v_xor_b32_e32 v2, v2, v6
	v_xor_b32_e32 v1, v28, v11
	v_mad_u64_u32 v[2:3], s[4:5], v2, s18, 0
	v_xor_b32_e32 v1, v1, v2
	v_mad_u64_u32 v[6:7], s[4:5], v1, s17, 0
	s_mov_b32 s4, 0x3c6ef372
	v_add_co_u32_e32 v34, vcc, s4, v14
	v_xor_b32_e32 v2, v34, v3
	;; [unrolled: 8-line block ×6, first 2 shown]
	v_add_co_u32_e32 v23, vcc, 0xdb3d7428, v4
	v_xor_b32_e32 v2, v2, v8
	v_xor_b32_e32 v1, v23, v7
	v_mad_u64_u32 v[2:3], s[4:5], v2, s17, 0
	v_xor_b32_e32 v1, v1, v2
	v_mad_u64_u32 v[8:9], s[4:5], v1, s18, 0
	s_mov_b32 s4, 0x1fd5c5a3
	v_add_co_u32_e32 v39, vcc, s4, v4
	v_xor_b32_e32 v1, v39, v3
	v_xor_b32_e32 v1, v1, v12
	v_mad_u64_u32 v[2:3], s[4:5], v1, s18, 0
	s_mov_b32 s4, 0xf1bbcdc8
	v_add_u32_e32 v21, 0x8ff34781, v14
	v_xor_b32_e32 v1, v9, v2
	v_add_co_u32_e32 v40, vcc, s4, v14
	v_xor_b32_e32 v2, v21, v1
	v_xor_b32_e32 v1, v40, v3
	;; [unrolled: 1-line block ×3, first 2 shown]
	v_mad_u64_u32 v[10:11], s[4:5], v1, s17, 0
	v_add_u32_e32 v22, 0x96a522ad, v15
	v_xor_b32_e32 v1, v11, v6
	s_mul_i32 s4, s6, s7
	v_xor_b32_e32 v4, v22, v1
	v_add_u32_e32 v1, s4, v0
	s_waitcnt lgkmcnt(0)
	s_mul_i32 s4, s12, s13
	s_mul_i32 s4, s4, s7
	s_lshl_b32 s19, s4, 1
	s_add_i32 s4, s6, s12
	s_mul_i32 s4, s4, s7
	s_mov_b32 s16, 0
	v_add_u32_e32 v0, s4, v0
	v_mov_b32_e32 v3, v8
	v_mov_b32_e32 v5, v10
	v_mul_lo_u32 v41, s13, v1
	v_mul_lo_u32 v42, s13, v0
	s_mov_b64 s[4:5], 0
	v_mov_b32_e32 v43, 0x3ff00000
	s_mov_b32 s20, s16
	v_mov_b32_e32 v44, v18
	v_mov_b32_e32 v45, v19
	s_branch .LBB141_8
.LBB141_7:                              ;   in Loop: Header=BB141_8 Depth=1
	s_or_b64 exec, exec, s[6:7]
	v_add_co_u32_e32 v18, vcc, s15, v18
	v_addc_co_u32_e32 v19, vcc, 0, v19, vcc
	v_mov_b32_e32 v9, v0
	s_add_i32 s20, s20, s19
	v_cmp_le_i64_e32 vcc, s[2:3], v[18:19]
	v_pk_mov_b32 v[2:3], v[6:7], v[6:7] op_sel:[0,1]
	s_or_b64 s[4:5], vcc, s[4:5]
	v_pk_mov_b32 v[4:5], v[8:9], v[8:9] op_sel:[0,1]
	s_barrier
	s_andn2_b64 exec, exec, s[4:5]
	s_cbranch_execz .LBB141_22
.LBB141_8:                              ; =>This Inner Loop Header: Depth=1
	v_add_co_u32_e32 v31, vcc, 1, v31
	v_cndmask_b32_e64 v0, 0, 1, vcc
	v_addc_co_u32_e32 v32, vcc, 0, v32, vcc
	v_cmp_eq_u32_e32 vcc, 0, v32
	v_cndmask_b32_e32 v0, 0, v0, vcc
	v_add_u32_e32 v44, v0, v44
	v_cmp_eq_u32_e32 vcc, 0, v44
	v_cndmask_b32_e32 v0, 0, v0, vcc
	v_add_u32_e32 v45, v0, v45
	v_mad_u64_u32 v[0:1], s[6:7], v31, s17, 0
	v_mad_u64_u32 v[6:7], s[6:7], v44, s18, 0
	v_xor_b32_e32 v1, v1, v15
	v_xor_b32_e32 v7, v7, v14
	v_xor_b32_e32 v1, v45, v1
	v_xor_b32_e32 v7, v32, v7
	v_mad_u64_u32 v[10:11], s[6:7], v1, s18, 0
	v_mad_u64_u32 v[8:9], s[6:7], v7, s17, 0
	v_xor_b32_e32 v1, v30, v11
	v_xor_b32_e32 v1, v1, v6
	v_xor_b32_e32 v6, v33, v9
	v_xor_b32_e32 v6, v6, v0
	;; [unrolled: 6-line block ×10, first 2 shown]
	v_mov_b32_e32 v7, v12
	v_mov_b32_e32 v8, v13
	v_cmp_lt_i32_e32 vcc, 1, v20
	s_and_saveexec_b64 s[6:7], vcc
	s_xor_b64 s[6:7], exec, s[6:7]
	s_cbranch_execnz .LBB141_14
; %bb.9:                                ;   in Loop: Header=BB141_8 Depth=1
	s_andn2_saveexec_b64 s[6:7], s[6:7]
	s_cbranch_execnz .LBB141_19
.LBB141_10:                             ;   in Loop: Header=BB141_8 Depth=1
	s_or_b64 exec, exec, s[6:7]
	v_cmp_gt_i64_e32 vcc, s[0:1], v[18:19]
	s_and_saveexec_b64 s[6:7], vcc
	s_cbranch_execz .LBB141_12
.LBB141_11:                             ;   in Loop: Header=BB141_8 Depth=1
	v_lshrrev_b32_e32 v1, 11, v3
	v_cvt_f64_u32_e32 v[10:11], v1
	v_ldexp_f64 v[10:11], v[10:11], 32
	v_cvt_f64_u32_e32 v[2:3], v2
	v_add_f64 v[2:3], v[10:11], v[2:3]
	v_mov_b32_e32 v10, 0
	v_mov_b32_e32 v11, 0x3ca00000
	v_add_u32_e32 v1, s20, v41
	v_fmac_f64_e32 v[10:11], 0x3ca00000, v[2:3]
	v_ashrrev_i32_e32 v3, 31, v1
	v_mov_b32_e32 v9, s9
	v_add_co_u32_e32 v2, vcc, s8, v1
	v_addc_co_u32_e32 v3, vcc, v9, v3, vcc
	v_cmp_gt_f64_e32 vcc, s[10:11], v[10:11]
	v_cndmask_b32_e32 v17, 0, v43, vcc
	global_store_dwordx2 v[2:3], v[16:17], off
.LBB141_12:                             ;   in Loop: Header=BB141_8 Depth=1
	s_or_b64 exec, exec, s[6:7]
	v_mov_b32_e32 v1, s16
	v_add_co_u32_e32 v2, vcc, s14, v18
	v_addc_co_u32_e32 v3, vcc, v1, v19, vcc
	v_cmp_gt_i64_e32 vcc, s[0:1], v[2:3]
	s_and_saveexec_b64 s[6:7], vcc
	s_cbranch_execz .LBB141_7
; %bb.13:                               ;   in Loop: Header=BB141_8 Depth=1
	v_lshrrev_b32_e32 v1, 11, v5
	v_cvt_f64_u32_e32 v[2:3], v1
	v_ldexp_f64 v[2:3], v[2:3], 32
	v_cvt_f64_u32_e32 v[4:5], v4
	v_add_f64 v[2:3], v[2:3], v[4:5]
	v_mov_b32_e32 v4, 0
	v_mov_b32_e32 v5, 0x3ca00000
	v_add_u32_e32 v1, s20, v42
	v_fmac_f64_e32 v[4:5], 0x3ca00000, v[2:3]
	v_ashrrev_i32_e32 v3, 31, v1
	v_mov_b32_e32 v9, s9
	v_add_co_u32_e32 v2, vcc, s8, v1
	v_addc_co_u32_e32 v3, vcc, v9, v3, vcc
	v_cmp_gt_f64_e32 vcc, s[10:11], v[4:5]
	v_cndmask_b32_e32 v17, 0, v43, vcc
	global_store_dwordx2 v[2:3], v[16:17], off
	s_branch .LBB141_7
.LBB141_14:                             ;   in Loop: Header=BB141_8 Depth=1
	v_cmp_lt_i32_e32 vcc, 2, v20
	s_and_saveexec_b64 s[12:13], vcc
	s_xor_b64 s[12:13], exec, s[12:13]
; %bb.15:                               ;   in Loop: Header=BB141_8 Depth=1
	v_mov_b32_e32 v10, v5
	v_mov_b32_e32 v11, v6
	v_pk_mov_b32 v[2:3], v[10:11], v[10:11] op_sel:[0,1]
	v_pk_mov_b32 v[4:5], v[12:13], v[12:13] op_sel:[0,1]
                                        ; implicit-def: $vgpr12_vgpr13
; %bb.16:                               ;   in Loop: Header=BB141_8 Depth=1
	s_andn2_saveexec_b64 s[12:13], s[12:13]
; %bb.17:                               ;   in Loop: Header=BB141_8 Depth=1
	v_mov_b32_e32 v2, v4
	v_mov_b32_e32 v3, v5
	;; [unrolled: 1-line block ×4, first 2 shown]
; %bb.18:                               ;   in Loop: Header=BB141_8 Depth=1
	s_or_b64 exec, exec, s[12:13]
	s_andn2_saveexec_b64 s[6:7], s[6:7]
	s_cbranch_execz .LBB141_10
.LBB141_19:                             ;   in Loop: Header=BB141_8 Depth=1
	v_cmp_eq_u32_e32 vcc, 1, v20
	s_and_saveexec_b64 s[12:13], vcc
; %bb.20:                               ;   in Loop: Header=BB141_8 Depth=1
	v_mov_b32_e32 v2, v3
	v_mov_b32_e32 v3, v4
	;; [unrolled: 1-line block ×4, first 2 shown]
; %bb.21:                               ;   in Loop: Header=BB141_8 Depth=1
	s_or_b64 exec, exec, s[12:13]
	s_or_b64 exec, exec, s[6:7]
	v_cmp_gt_i64_e32 vcc, s[0:1], v[18:19]
	s_and_saveexec_b64 s[6:7], vcc
	s_cbranch_execnz .LBB141_11
	s_branch .LBB141_12
.LBB141_22:
	s_endpgm
.LBB141_23:
                                        ; implicit-def: $sgpr8_sgpr9
	s_andn2_b64 vcc, exec, s[2:3]
	s_cbranch_vccz .LBB141_4
	s_branch .LBB141_5
	.section	.rodata,"a",@progbits
	.p2align	6, 0x0
	.amdhsa_kernel _ZN2at6native12_GLOBAL__N_143distribution_elementwise_grid_stride_kernelIdLi2EZNS0_9templates4cuda21uniform_and_transformIddPNS_17CUDAGeneratorImplEZZZNS4_16bernoulli_kernelIS7_EEvRNS_18TensorIteratorBaseEdT_ENKUlvE_clEvENKUlvE4_clEvEUldE_EEvSA_T1_T2_EUlP25hiprandStatePhilox4_32_10E_ZNS1_27distribution_nullary_kernelIdd15HIP_vector_typeIdLj2EES7_SJ_SE_EEvSA_SG_RKT3_T4_EUlidE_EEvlNS_15PhiloxCudaStateESF_SG_
		.amdhsa_group_segment_fixed_size 0
		.amdhsa_private_segment_fixed_size 0
		.amdhsa_kernarg_size 328
		.amdhsa_user_sgpr_count 6
		.amdhsa_user_sgpr_private_segment_buffer 1
		.amdhsa_user_sgpr_dispatch_ptr 0
		.amdhsa_user_sgpr_queue_ptr 0
		.amdhsa_user_sgpr_kernarg_segment_ptr 1
		.amdhsa_user_sgpr_dispatch_id 0
		.amdhsa_user_sgpr_flat_scratch_init 0
		.amdhsa_user_sgpr_kernarg_preload_length 0
		.amdhsa_user_sgpr_kernarg_preload_offset 0
		.amdhsa_user_sgpr_private_segment_size 0
		.amdhsa_uses_dynamic_stack 0
		.amdhsa_system_sgpr_private_segment_wavefront_offset 0
		.amdhsa_system_sgpr_workgroup_id_x 1
		.amdhsa_system_sgpr_workgroup_id_y 0
		.amdhsa_system_sgpr_workgroup_id_z 0
		.amdhsa_system_sgpr_workgroup_info 0
		.amdhsa_system_vgpr_workitem_id 0
		.amdhsa_next_free_vgpr 48
		.amdhsa_next_free_sgpr 24
		.amdhsa_accum_offset 48
		.amdhsa_reserve_vcc 1
		.amdhsa_reserve_flat_scratch 0
		.amdhsa_float_round_mode_32 0
		.amdhsa_float_round_mode_16_64 0
		.amdhsa_float_denorm_mode_32 3
		.amdhsa_float_denorm_mode_16_64 3
		.amdhsa_dx10_clamp 1
		.amdhsa_ieee_mode 1
		.amdhsa_fp16_overflow 0
		.amdhsa_tg_split 0
		.amdhsa_exception_fp_ieee_invalid_op 0
		.amdhsa_exception_fp_denorm_src 0
		.amdhsa_exception_fp_ieee_div_zero 0
		.amdhsa_exception_fp_ieee_overflow 0
		.amdhsa_exception_fp_ieee_underflow 0
		.amdhsa_exception_fp_ieee_inexact 0
		.amdhsa_exception_int_div_zero 0
	.end_amdhsa_kernel
	.section	.text._ZN2at6native12_GLOBAL__N_143distribution_elementwise_grid_stride_kernelIdLi2EZNS0_9templates4cuda21uniform_and_transformIddPNS_17CUDAGeneratorImplEZZZNS4_16bernoulli_kernelIS7_EEvRNS_18TensorIteratorBaseEdT_ENKUlvE_clEvENKUlvE4_clEvEUldE_EEvSA_T1_T2_EUlP25hiprandStatePhilox4_32_10E_ZNS1_27distribution_nullary_kernelIdd15HIP_vector_typeIdLj2EES7_SJ_SE_EEvSA_SG_RKT3_T4_EUlidE_EEvlNS_15PhiloxCudaStateESF_SG_,"axG",@progbits,_ZN2at6native12_GLOBAL__N_143distribution_elementwise_grid_stride_kernelIdLi2EZNS0_9templates4cuda21uniform_and_transformIddPNS_17CUDAGeneratorImplEZZZNS4_16bernoulli_kernelIS7_EEvRNS_18TensorIteratorBaseEdT_ENKUlvE_clEvENKUlvE4_clEvEUldE_EEvSA_T1_T2_EUlP25hiprandStatePhilox4_32_10E_ZNS1_27distribution_nullary_kernelIdd15HIP_vector_typeIdLj2EES7_SJ_SE_EEvSA_SG_RKT3_T4_EUlidE_EEvlNS_15PhiloxCudaStateESF_SG_,comdat
.Lfunc_end141:
	.size	_ZN2at6native12_GLOBAL__N_143distribution_elementwise_grid_stride_kernelIdLi2EZNS0_9templates4cuda21uniform_and_transformIddPNS_17CUDAGeneratorImplEZZZNS4_16bernoulli_kernelIS7_EEvRNS_18TensorIteratorBaseEdT_ENKUlvE_clEvENKUlvE4_clEvEUldE_EEvSA_T1_T2_EUlP25hiprandStatePhilox4_32_10E_ZNS1_27distribution_nullary_kernelIdd15HIP_vector_typeIdLj2EES7_SJ_SE_EEvSA_SG_RKT3_T4_EUlidE_EEvlNS_15PhiloxCudaStateESF_SG_, .Lfunc_end141-_ZN2at6native12_GLOBAL__N_143distribution_elementwise_grid_stride_kernelIdLi2EZNS0_9templates4cuda21uniform_and_transformIddPNS_17CUDAGeneratorImplEZZZNS4_16bernoulli_kernelIS7_EEvRNS_18TensorIteratorBaseEdT_ENKUlvE_clEvENKUlvE4_clEvEUldE_EEvSA_T1_T2_EUlP25hiprandStatePhilox4_32_10E_ZNS1_27distribution_nullary_kernelIdd15HIP_vector_typeIdLj2EES7_SJ_SE_EEvSA_SG_RKT3_T4_EUlidE_EEvlNS_15PhiloxCudaStateESF_SG_
                                        ; -- End function
	.section	.AMDGPU.csdata,"",@progbits
; Kernel info:
; codeLenInByte = 2292
; NumSgprs: 28
; NumVgprs: 48
; NumAgprs: 0
; TotalNumVgprs: 48
; ScratchSize: 0
; MemoryBound: 0
; FloatMode: 240
; IeeeMode: 1
; LDSByteSize: 0 bytes/workgroup (compile time only)
; SGPRBlocks: 3
; VGPRBlocks: 5
; NumSGPRsForWavesPerEU: 28
; NumVGPRsForWavesPerEU: 48
; AccumOffset: 48
; Occupancy: 8
; WaveLimiterHint : 0
; COMPUTE_PGM_RSRC2:SCRATCH_EN: 0
; COMPUTE_PGM_RSRC2:USER_SGPR: 6
; COMPUTE_PGM_RSRC2:TRAP_HANDLER: 0
; COMPUTE_PGM_RSRC2:TGID_X_EN: 1
; COMPUTE_PGM_RSRC2:TGID_Y_EN: 0
; COMPUTE_PGM_RSRC2:TGID_Z_EN: 0
; COMPUTE_PGM_RSRC2:TIDIG_COMP_CNT: 0
; COMPUTE_PGM_RSRC3_GFX90A:ACCUM_OFFSET: 11
; COMPUTE_PGM_RSRC3_GFX90A:TG_SPLIT: 0
	.section	.text._ZN2at6native12_GLOBAL__N_143distribution_elementwise_grid_stride_kernelIdLi2EZNS0_9templates4cuda21uniform_and_transformIddPNS_17CUDAGeneratorImplEZZZNS4_16bernoulli_kernelIS7_EEvRNS_18TensorIteratorBaseEdT_ENKUlvE_clEvENKUlvE4_clEvEUldE_EEvSA_T1_T2_EUlP25hiprandStatePhilox4_32_10E_ZNS1_27distribution_nullary_kernelIdd15HIP_vector_typeIdLj2EES7_SJ_SE_EEvSA_SG_RKT3_T4_EUlidE0_EEvlNS_15PhiloxCudaStateESF_SG_,"axG",@progbits,_ZN2at6native12_GLOBAL__N_143distribution_elementwise_grid_stride_kernelIdLi2EZNS0_9templates4cuda21uniform_and_transformIddPNS_17CUDAGeneratorImplEZZZNS4_16bernoulli_kernelIS7_EEvRNS_18TensorIteratorBaseEdT_ENKUlvE_clEvENKUlvE4_clEvEUldE_EEvSA_T1_T2_EUlP25hiprandStatePhilox4_32_10E_ZNS1_27distribution_nullary_kernelIdd15HIP_vector_typeIdLj2EES7_SJ_SE_EEvSA_SG_RKT3_T4_EUlidE0_EEvlNS_15PhiloxCudaStateESF_SG_,comdat
	.globl	_ZN2at6native12_GLOBAL__N_143distribution_elementwise_grid_stride_kernelIdLi2EZNS0_9templates4cuda21uniform_and_transformIddPNS_17CUDAGeneratorImplEZZZNS4_16bernoulli_kernelIS7_EEvRNS_18TensorIteratorBaseEdT_ENKUlvE_clEvENKUlvE4_clEvEUldE_EEvSA_T1_T2_EUlP25hiprandStatePhilox4_32_10E_ZNS1_27distribution_nullary_kernelIdd15HIP_vector_typeIdLj2EES7_SJ_SE_EEvSA_SG_RKT3_T4_EUlidE0_EEvlNS_15PhiloxCudaStateESF_SG_ ; -- Begin function _ZN2at6native12_GLOBAL__N_143distribution_elementwise_grid_stride_kernelIdLi2EZNS0_9templates4cuda21uniform_and_transformIddPNS_17CUDAGeneratorImplEZZZNS4_16bernoulli_kernelIS7_EEvRNS_18TensorIteratorBaseEdT_ENKUlvE_clEvENKUlvE4_clEvEUldE_EEvSA_T1_T2_EUlP25hiprandStatePhilox4_32_10E_ZNS1_27distribution_nullary_kernelIdd15HIP_vector_typeIdLj2EES7_SJ_SE_EEvSA_SG_RKT3_T4_EUlidE0_EEvlNS_15PhiloxCudaStateESF_SG_
	.p2align	8
	.type	_ZN2at6native12_GLOBAL__N_143distribution_elementwise_grid_stride_kernelIdLi2EZNS0_9templates4cuda21uniform_and_transformIddPNS_17CUDAGeneratorImplEZZZNS4_16bernoulli_kernelIS7_EEvRNS_18TensorIteratorBaseEdT_ENKUlvE_clEvENKUlvE4_clEvEUldE_EEvSA_T1_T2_EUlP25hiprandStatePhilox4_32_10E_ZNS1_27distribution_nullary_kernelIdd15HIP_vector_typeIdLj2EES7_SJ_SE_EEvSA_SG_RKT3_T4_EUlidE0_EEvlNS_15PhiloxCudaStateESF_SG_,@function
_ZN2at6native12_GLOBAL__N_143distribution_elementwise_grid_stride_kernelIdLi2EZNS0_9templates4cuda21uniform_and_transformIddPNS_17CUDAGeneratorImplEZZZNS4_16bernoulli_kernelIS7_EEvRNS_18TensorIteratorBaseEdT_ENKUlvE_clEvENKUlvE4_clEvEUldE_EEvSA_T1_T2_EUlP25hiprandStatePhilox4_32_10E_ZNS1_27distribution_nullary_kernelIdd15HIP_vector_typeIdLj2EES7_SJ_SE_EEvSA_SG_RKT3_T4_EUlidE0_EEvlNS_15PhiloxCudaStateESF_SG_: ; @_ZN2at6native12_GLOBAL__N_143distribution_elementwise_grid_stride_kernelIdLi2EZNS0_9templates4cuda21uniform_and_transformIddPNS_17CUDAGeneratorImplEZZZNS4_16bernoulli_kernelIS7_EEvRNS_18TensorIteratorBaseEdT_ENKUlvE_clEvENKUlvE4_clEvEUldE_EEvSA_T1_T2_EUlP25hiprandStatePhilox4_32_10E_ZNS1_27distribution_nullary_kernelIdd15HIP_vector_typeIdLj2EES7_SJ_SE_EEvSA_SG_RKT3_T4_EUlidE0_EEvlNS_15PhiloxCudaStateESF_SG_
; %bb.0:
	s_load_dword s2, s[4:5], 0x20
	s_load_dwordx2 s[0:1], s[4:5], 0x10
	s_load_dwordx4 s[24:27], s[4:5], 0x0
	s_waitcnt lgkmcnt(0)
	s_bitcmp0_b32 s2, 0
	s_mov_b32 s2, 0
	v_pk_mov_b32 v[2:3], s[0:1], s[0:1] op_sel:[0,1]
	v_pk_mov_b32 v[12:13], s[26:27], s[26:27] op_sel:[0,1]
	s_cbranch_scc1 .LBB142_2
; %bb.1:
	v_pk_mov_b32 v[2:3], s[0:1], s[0:1] op_sel:[0,1]
	flat_load_dwordx2 v[2:3], v[2:3]
	v_pk_mov_b32 v[4:5], s[26:27], s[26:27] op_sel:[0,1]
	flat_load_dwordx2 v[12:13], v[4:5]
	s_load_dwordx2 s[0:1], s[4:5], 0x18
	s_waitcnt lgkmcnt(0)
	v_mov_b32_e32 v1, s1
	s_waitcnt vmcnt(0)
	v_add_co_u32_e32 v2, vcc, s0, v2
	v_addc_co_u32_e32 v3, vcc, v3, v1, vcc
.LBB142_2:
	s_load_dword s0, s[4:5], 0x154
	s_load_dword s7, s[4:5], 0x148
	s_waitcnt lgkmcnt(0)
	s_and_b32 s8, s0, 0xffff
	s_add_u32 s9, s24, -1
	s_mul_i32 s33, s7, s8
	s_addc_u32 s3, s25, -1
	s_lshl_b32 s60, s33, 1
	s_cmp_lg_u64 s[2:3], 0
	s_mov_b64 s[0:1], -1
	s_cbranch_scc0 .LBB142_51
; %bb.3:
	v_cvt_f32_u32_e32 v1, s60
	v_cvt_f32_ubyte0_e32 v4, 0
	s_sub_u32 s2, 0, s60
	s_subb_u32 s10, 0, 0
	v_madmk_f32 v1, v4, 0x4f800000, v1
	v_rcp_f32_e32 v1, v1
	v_mul_f32_e32 v1, 0x5f7ffffc, v1
	v_mul_f32_e32 v4, 0x2f800000, v1
	v_trunc_f32_e32 v4, v4
	v_madmk_f32 v1, v4, 0xcf800000, v1
	v_cvt_u32_f32_e32 v4, v4
	v_cvt_u32_f32_e32 v1, v1
	v_readfirstlane_b32 s11, v4
	v_readfirstlane_b32 s12, v1
	s_mul_i32 s13, s2, s11
	s_mul_hi_u32 s15, s2, s12
	s_mul_i32 s14, s10, s12
	s_add_i32 s13, s15, s13
	s_add_i32 s13, s13, s14
	s_mul_i32 s16, s2, s12
	s_mul_hi_u32 s14, s12, s13
	s_mul_i32 s15, s12, s13
	s_mul_hi_u32 s12, s12, s16
	s_add_u32 s12, s12, s15
	s_addc_u32 s14, 0, s14
	s_mul_hi_u32 s17, s11, s16
	s_mul_i32 s16, s11, s16
	s_add_u32 s12, s12, s16
	s_mul_hi_u32 s15, s11, s13
	s_addc_u32 s12, s14, s17
	s_addc_u32 s14, s15, 0
	s_mul_i32 s13, s11, s13
	s_add_u32 s12, s12, s13
	s_addc_u32 s13, 0, s14
	v_add_co_u32_e32 v1, vcc, s12, v1
	s_cmp_lg_u64 vcc, 0
	s_addc_u32 s11, s11, s13
	v_readfirstlane_b32 s13, v1
	s_mul_i32 s12, s2, s11
	s_mul_hi_u32 s14, s2, s13
	s_add_i32 s12, s14, s12
	s_mul_i32 s10, s10, s13
	s_add_i32 s12, s12, s10
	s_mul_i32 s2, s2, s13
	s_mul_hi_u32 s14, s11, s2
	s_mul_i32 s15, s11, s2
	s_mul_i32 s17, s13, s12
	s_mul_hi_u32 s2, s13, s2
	s_mul_hi_u32 s16, s13, s12
	s_add_u32 s2, s2, s17
	s_addc_u32 s13, 0, s16
	s_add_u32 s2, s2, s15
	s_mul_hi_u32 s10, s11, s12
	s_addc_u32 s2, s13, s14
	s_addc_u32 s10, s10, 0
	s_mul_i32 s12, s11, s12
	s_add_u32 s2, s2, s12
	s_addc_u32 s10, 0, s10
	v_add_co_u32_e32 v1, vcc, s2, v1
	s_cmp_lg_u64 vcc, 0
	s_addc_u32 s12, s11, s10
	s_ashr_i32 s10, s3, 31
	s_add_u32 s2, s9, s10
	s_mov_b32 s11, s10
	s_addc_u32 s3, s3, s10
	s_xor_b64 s[2:3], s[2:3], s[10:11]
	v_readfirstlane_b32 s15, v1
	s_mul_i32 s14, s2, s12
	s_mul_hi_u32 s16, s2, s15
	s_mul_hi_u32 s13, s2, s12
	s_add_u32 s14, s16, s14
	s_addc_u32 s13, 0, s13
	s_mul_hi_u32 s17, s3, s15
	s_mul_i32 s15, s3, s15
	s_add_u32 s14, s14, s15
	s_mul_hi_u32 s16, s3, s12
	s_addc_u32 s13, s13, s17
	s_addc_u32 s14, s16, 0
	s_mul_i32 s12, s3, s12
	s_add_u32 s12, s13, s12
	s_addc_u32 s13, 0, s14
	s_add_u32 s14, s12, 1
	s_addc_u32 s15, s13, 0
	s_add_u32 s16, s12, 2
	s_mul_i32 s18, s60, s13
	s_mul_hi_u32 s19, s60, s12
	s_addc_u32 s17, s13, 0
	s_add_i32 s19, s19, s18
	s_mul_i32 s18, s60, s12
	v_mov_b32_e32 v1, s18
	v_sub_co_u32_e32 v1, vcc, s2, v1
	s_cmp_lg_u64 vcc, 0
	s_subb_u32 s2, s3, s19
	v_subrev_co_u32_e32 v4, vcc, s60, v1
	s_cmp_lg_u64 vcc, 0
	s_subb_u32 s3, s2, 0
	v_readfirstlane_b32 s18, v4
	s_cmp_ge_u32 s18, s60
	s_cselect_b32 s18, -1, 0
	s_cmp_eq_u32 s3, 0
	s_cselect_b32 s3, s18, -1
	s_cmp_lg_u32 s3, 0
	s_cselect_b32 s3, s17, s15
	v_readfirstlane_b32 s15, v1
	s_cselect_b32 s14, s16, s14
	s_cmp_ge_u32 s15, s60
	s_cselect_b32 s15, -1, 0
	s_cmp_eq_u32 s2, 0
	s_cselect_b32 s2, s15, -1
	s_cmp_lg_u32 s2, 0
	s_cselect_b32 s3, s3, s13
	s_cselect_b32 s2, s14, s12
	s_xor_b64 s[2:3], s[2:3], s[10:11]
	s_sub_u32 s2, s2, s10
	s_subb_u32 s3, s3, s10
	s_cbranch_execnz .LBB142_5
.LBB142_4:
	v_cvt_f32_u32_e32 v1, s60
	s_sub_i32 s0, 0, s60
	s_mov_b32 s3, 0
	v_rcp_iflag_f32_e32 v1, v1
	v_mul_f32_e32 v1, 0x4f7ffffe, v1
	v_cvt_u32_f32_e32 v1, v1
	v_readfirstlane_b32 s1, v1
	s_mul_i32 s0, s0, s1
	s_mul_hi_u32 s0, s1, s0
	s_add_i32 s1, s1, s0
	s_mul_hi_u32 s0, s9, s1
	s_mul_i32 s2, s0, s60
	s_sub_i32 s2, s9, s2
	s_add_i32 s1, s0, 1
	s_sub_i32 s9, s2, s60
	s_cmp_ge_u32 s2, s60
	s_cselect_b32 s0, s1, s0
	s_cselect_b32 s2, s9, s2
	s_add_i32 s1, s0, 1
	s_cmp_ge_u32 s2, s60
	s_cselect_b32 s2, s1, s0
.LBB142_5:
	v_mov_b32_e32 v14, 0
	v_mov_b32_e32 v1, v14
	;; [unrolled: 1-line block ×3, first 2 shown]
	v_mad_u64_u32 v[16:17], s[0:1], s8, v4, v[0:1]
	s_add_u32 s0, s2, 1
	s_addc_u32 s1, s3, 0
	s_mul_hi_u32 s2, s7, s8
	s_mul_i32 s1, s33, s1
	s_mul_hi_u32 s3, s33, s0
	s_add_i32 s1, s3, s1
	s_mul_i32 s2, s2, s0
	s_add_i32 s1, s1, s2
	s_mul_i32 s0, s33, s0
	s_lshl_b64 s[26:27], s[0:1], 1
	v_cmp_gt_i64_e32 vcc, s[26:27], v[16:17]
	s_and_saveexec_b64 s[0:1], vcc
	s_cbranch_execz .LBB142_50
; %bb.6:
	s_mov_b32 s0, 0x5384540f
	v_mov_b32_e32 v0, v13
	v_add_co_u32_e32 v24, vcc, s0, v12
	s_mov_b32 s0, 0x646e171e
	v_add_co_u32_e32 v25, vcc, s0, v0
	s_mov_b32 s0, 0x1715609d
	;; [unrolled: 2-line block ×6, first 2 shown]
	v_alignbit_b32 v31, v3, v2, 2
	s_mov_b32 s62, 0xd2511f53
	v_add_co_u32_e32 v30, vcc, s0, v12
	v_mad_u64_u32 v[4:5], s[0:1], v31, s62, 0
	v_xor_b32_e32 v1, v5, v13
	v_xor_b32_e32 v1, v1, v17
	s_mov_b32 s63, 0xcd9e8d57
	v_mad_u64_u32 v[6:7], s[0:1], v1, s63, 0
	v_xor_b32_e32 v1, v30, v7
	v_mad_u64_u32 v[8:9], s[0:1], v16, s63, 0
	v_and_b32_e32 v20, 3, v2
	v_xor_b32_e32 v1, v1, v8
	v_xor_b32_e32 v2, v12, v9
	v_lshrrev_b32_e32 v32, 2, v3
	v_mad_u64_u32 v[10:11], s[0:1], v1, s62, 0
	v_xor_b32_e32 v2, v2, v32
	v_xor_b32_e32 v1, v29, v11
	v_mad_u64_u32 v[2:3], s[0:1], v2, s62, 0
	v_xor_b32_e32 v1, v1, v2
	v_mad_u64_u32 v[8:9], s[0:1], v1, s63, 0
	s_mov_b32 s0, 0xbb67ae85
	v_add_co_u32_e32 v33, vcc, s0, v0
	v_xor_b32_e32 v2, v33, v3
	v_xor_b32_e32 v2, v2, v4
	v_xor_b32_e32 v1, v28, v9
	v_mad_u64_u32 v[2:3], s[0:1], v2, s63, 0
	v_xor_b32_e32 v1, v1, v2
	v_mad_u64_u32 v[4:5], s[0:1], v1, s62, 0
	s_mov_b32 s0, 0x3c6ef372
	v_add_co_u32_e32 v34, vcc, s0, v12
	v_xor_b32_e32 v2, v34, v3
	;; [unrolled: 8-line block ×6, first 2 shown]
	v_add_co_u32_e32 v23, vcc, 0xdb3d7428, v0
	v_xor_b32_e32 v2, v2, v6
	v_xor_b32_e32 v1, v23, v5
	v_mad_u64_u32 v[2:3], s[0:1], v2, s62, 0
	v_xor_b32_e32 v1, v1, v2
	v_mad_u64_u32 v[6:7], s[0:1], v1, s63, 0
	s_mov_b32 s0, 0x1fd5c5a3
	v_add_co_u32_e32 v39, vcc, s0, v0
	v_xor_b32_e32 v0, v39, v3
	v_xor_b32_e32 v0, v0, v10
	v_mad_u64_u32 v[0:1], s[0:1], v0, s63, 0
	s_mov_b32 s0, 0xf1bbcdc8
	s_load_dwordx8 s[8:15], s[4:5], 0x30
	v_add_co_u32_e32 v40, vcc, s0, v12
	v_xor_b32_e32 v1, v40, v1
	v_xor_b32_e32 v1, v1, v8
	s_add_u32 s34, s4, 48
	v_mad_u64_u32 v[8:9], s[0:1], v1, s62, 0
	s_addc_u32 s35, s5, 0
	s_waitcnt lgkmcnt(0)
	s_add_i32 s0, s8, -1
	s_cmp_gt_u32 s0, 1
	s_cselect_b64 s[40:41], -1, 0
	s_cmp_lg_u32 s8, 0
	s_cselect_b64 s[42:43], -1, 0
	s_add_u32 s44, s4, 0xf4
	s_addc_u32 s45, s5, 0
	s_min_u32 s1, s0, 15
	s_cmp_gt_u32 s8, 1
	s_cselect_b64 s[46:47], -1, 0
	s_add_i32 s1, s1, 1
	s_mov_b32 s8, s13
	s_load_dwordx2 s[48:49], s[4:5], 0xf4
	s_load_dwordx4 s[28:31], s[4:5], 0x138
	s_and_b32 s13, s1, 3
	s_cmp_lg_u32 s0, 2
	s_cselect_b64 s[50:51], -1, 0
	s_and_b32 s15, s1, 28
	v_add_u32_e32 v21, 0x8ff34781, v12
	v_add_u32_e32 v22, 0x96a522ad, v13
	v_xor_b32_e32 v0, v7, v0
	v_xor_b32_e32 v1, v9, v4
	s_cmp_lg_u32 s13, 0
	s_mov_b32 s61, 0
	v_xor_b32_e32 v0, v21, v0
	v_xor_b32_e32 v2, v22, v1
	v_mov_b32_e32 v1, v6
	v_mov_b32_e32 v3, v8
	s_mov_b64 s[52:53], 0
	s_cselect_b64 s[54:55], -1, 0
	v_mov_b32_e32 v41, 0x3ff00000
	v_mov_b32_e32 v42, v16
	;; [unrolled: 1-line block ×3, first 2 shown]
	s_branch .LBB142_9
.LBB142_7:                              ;   in Loop: Header=BB142_9 Depth=1
	v_lshrrev_b32_e32 v0, 11, v3
	v_cvt_f64_u32_e32 v[0:1], v0
	v_ldexp_f64 v[0:1], v[0:1], 32
	v_cvt_f64_u32_e32 v[2:3], v2
	v_add_f64 v[0:1], v[0:1], v[2:3]
	v_mov_b32_e32 v2, 0
	v_mov_b32_e32 v3, 0x3ca00000
	v_fmac_f64_e32 v[2:3], 0x3ca00000, v[0:1]
	s_waitcnt lgkmcnt(0)
	v_cmp_gt_f64_e32 vcc, s[30:31], v[2:3]
	v_cndmask_b32_e32 v15, 0, v41, vcc
	global_store_dwordx2 v8, v[14:15], s[28:29]
.LBB142_8:                              ;   in Loop: Header=BB142_9 Depth=1
	s_or_b64 exec, exec, s[36:37]
	v_add_co_u32_e32 v16, vcc, s60, v16
	v_addc_co_u32_e32 v17, vcc, 0, v17, vcc
	v_mov_b32_e32 v7, v18
	v_cmp_le_i64_e32 vcc, s[26:27], v[16:17]
	v_pk_mov_b32 v[0:1], v[4:5], v[4:5] op_sel:[0,1]
	s_or_b64 s[52:53], vcc, s[52:53]
	v_pk_mov_b32 v[2:3], v[6:7], v[6:7] op_sel:[0,1]
	s_waitcnt lgkmcnt(0)
	s_barrier
	s_andn2_b64 exec, exec, s[52:53]
	s_cbranch_execz .LBB142_50
.LBB142_9:                              ; =>This Loop Header: Depth=1
                                        ;     Child Loop BB142_24 Depth 2
                                        ;     Child Loop BB142_30 Depth 2
                                        ;     Child Loop BB142_40 Depth 2
                                        ;     Child Loop BB142_46 Depth 2
	v_add_co_u32_e32 v31, vcc, 1, v31
	v_cndmask_b32_e64 v4, 0, 1, vcc
	v_addc_co_u32_e32 v32, vcc, 0, v32, vcc
	v_cmp_eq_u32_e32 vcc, 0, v32
	v_cndmask_b32_e32 v4, 0, v4, vcc
	v_add_u32_e32 v42, v4, v42
	v_cmp_eq_u32_e32 vcc, 0, v42
	v_cndmask_b32_e32 v4, 0, v4, vcc
	v_add_u32_e32 v43, v4, v43
	v_mad_u64_u32 v[4:5], s[0:1], v31, s62, 0
	v_mad_u64_u32 v[6:7], s[0:1], v42, s63, 0
	v_xor_b32_e32 v5, v5, v13
	v_xor_b32_e32 v7, v7, v12
	v_xor_b32_e32 v5, v43, v5
	v_xor_b32_e32 v7, v32, v7
	v_mad_u64_u32 v[10:11], s[0:1], v5, s63, 0
	v_mad_u64_u32 v[8:9], s[0:1], v7, s62, 0
	v_xor_b32_e32 v5, v30, v11
	v_xor_b32_e32 v5, v5, v6
	v_xor_b32_e32 v6, v33, v9
	v_xor_b32_e32 v6, v6, v4
	;; [unrolled: 6-line block ×10, first 2 shown]
	v_mov_b32_e32 v5, v10
	v_mov_b32_e32 v6, v11
	v_cmp_lt_i32_e32 vcc, 1, v20
	s_and_saveexec_b64 s[0:1], vcc
	s_xor_b64 s[0:1], exec, s[0:1]
	s_cbranch_execz .LBB142_15
; %bb.10:                               ;   in Loop: Header=BB142_9 Depth=1
	v_cmp_lt_i32_e32 vcc, 2, v20
	s_and_saveexec_b64 s[2:3], vcc
	s_xor_b64 s[2:3], exec, s[2:3]
; %bb.11:                               ;   in Loop: Header=BB142_9 Depth=1
	v_mov_b32_e32 v8, v3
	v_mov_b32_e32 v9, v4
	v_pk_mov_b32 v[0:1], v[8:9], v[8:9] op_sel:[0,1]
	v_pk_mov_b32 v[2:3], v[10:11], v[10:11] op_sel:[0,1]
                                        ; implicit-def: $vgpr10_vgpr11
; %bb.12:                               ;   in Loop: Header=BB142_9 Depth=1
	s_andn2_saveexec_b64 s[2:3], s[2:3]
; %bb.13:                               ;   in Loop: Header=BB142_9 Depth=1
	v_mov_b32_e32 v0, v2
	v_mov_b32_e32 v1, v3
	;; [unrolled: 1-line block ×4, first 2 shown]
; %bb.14:                               ;   in Loop: Header=BB142_9 Depth=1
	s_or_b64 exec, exec, s[2:3]
.LBB142_15:                             ;   in Loop: Header=BB142_9 Depth=1
	s_andn2_saveexec_b64 s[0:1], s[0:1]
	s_cbranch_execz .LBB142_19
; %bb.16:                               ;   in Loop: Header=BB142_9 Depth=1
	v_cmp_eq_u32_e32 vcc, 1, v20
	s_and_saveexec_b64 s[2:3], vcc
; %bb.17:                               ;   in Loop: Header=BB142_9 Depth=1
	v_mov_b32_e32 v0, v1
	v_mov_b32_e32 v1, v2
	;; [unrolled: 1-line block ×4, first 2 shown]
; %bb.18:                               ;   in Loop: Header=BB142_9 Depth=1
	s_or_b64 exec, exec, s[2:3]
.LBB142_19:                             ;   in Loop: Header=BB142_9 Depth=1
	s_or_b64 exec, exec, s[0:1]
	v_cndmask_b32_e64 v7, 0, 1, s[40:41]
	v_cmp_gt_i64_e32 vcc, s[24:25], v[16:17]
	v_cmp_ne_u32_e64 s[0:1], 1, v7
	s_and_saveexec_b64 s[2:3], vcc
	s_cbranch_execz .LBB142_35
; %bb.20:                               ;   in Loop: Header=BB142_9 Depth=1
	s_and_b64 vcc, exec, s[0:1]
	s_cbranch_vccnz .LBB142_26
; %bb.21:                               ;   in Loop: Header=BB142_9 Depth=1
	s_andn2_b64 vcc, exec, s[42:43]
	s_cbranch_vccnz .LBB142_27
; %bb.22:                               ;   in Loop: Header=BB142_9 Depth=1
	s_mov_b32 s6, 0
	s_andn2_b64 vcc, exec, s[50:51]
	v_mov_b32_e32 v8, 0
	s_cbranch_vccnz .LBB142_28
; %bb.23:                               ;   in Loop: Header=BB142_9 Depth=1
	s_mov_b32 s64, 0
	v_mov_b32_e32 v8, 0
	s_mov_b64 s[56:57], s[34:35]
	s_mov_b64 s[58:59], s[44:45]
	v_mov_b32_e32 v7, v16
.LBB142_24:                             ;   Parent Loop BB142_9 Depth=1
                                        ; =>  This Inner Loop Header: Depth=2
	s_load_dwordx8 s[16:23], s[56:57], 0x4
	s_load_dwordx4 s[4:7], s[56:57], 0x24
	s_load_dwordx4 s[36:39], s[58:59], 0x0
	s_add_u32 s56, s56, 48
	s_addc_u32 s57, s57, 0
	s_waitcnt lgkmcnt(0)
	v_mul_hi_u32 v9, s17, v7
	v_add_u32_e32 v9, v7, v9
	v_lshrrev_b32_e32 v9, s18, v9
	v_mul_lo_u32 v10, v9, s16
	v_mul_hi_u32 v11, s20, v9
	v_sub_u32_e32 v7, v7, v10
	v_add_u32_e32 v10, v9, v11
	v_lshrrev_b32_e32 v10, s21, v10
	v_mul_lo_u32 v11, v10, s19
	v_mul_hi_u32 v15, s23, v10
	v_sub_u32_e32 v9, v9, v11
	v_add_u32_e32 v11, v10, v15
	v_mul_lo_u32 v7, v7, s36
	v_mul_lo_u32 v9, v9, s37
	v_lshrrev_b32_e32 v11, s4, v11
	v_add3_u32 v8, v7, v8, v9
	v_mul_lo_u32 v7, v11, s22
	v_mul_hi_u32 v9, s6, v11
	v_sub_u32_e32 v7, v10, v7
	v_add_u32_e32 v9, v11, v9
	v_mul_lo_u32 v10, v7, s38
	v_lshrrev_b32_e32 v7, s7, v9
	s_add_i32 s64, s64, 4
	v_mul_lo_u32 v9, v7, s5
	s_add_u32 s58, s58, 16
	v_sub_u32_e32 v9, v11, v9
	s_addc_u32 s59, s59, 0
	v_mul_lo_u32 v9, v9, s39
	s_cmp_lg_u32 s15, s64
	v_add3_u32 v8, v10, v8, v9
	s_cbranch_scc1 .LBB142_24
; %bb.25:                               ;   in Loop: Header=BB142_9 Depth=1
	s_mov_b32 s6, s15
	s_andn2_b64 vcc, exec, s[54:55]
	s_cbranch_vccz .LBB142_29
	s_branch .LBB142_31
.LBB142_26:                             ;   in Loop: Header=BB142_9 Depth=1
                                        ; implicit-def: $vgpr8
	s_branch .LBB142_32
.LBB142_27:                             ;   in Loop: Header=BB142_9 Depth=1
	v_mov_b32_e32 v8, 0
	s_branch .LBB142_31
.LBB142_28:                             ;   in Loop: Header=BB142_9 Depth=1
	v_mov_b32_e32 v7, v16
	s_andn2_b64 vcc, exec, s[54:55]
	s_cbranch_vccnz .LBB142_31
.LBB142_29:                             ;   in Loop: Header=BB142_9 Depth=1
	s_lshl_b32 s4, s6, 2
	s_add_u32 s4, s44, s4
	s_addc_u32 s5, s45, 0
	s_mul_i32 s6, s6, 12
	s_add_u32 s6, s34, s6
	s_addc_u32 s7, s35, 0
	s_mov_b32 s16, s13
.LBB142_30:                             ;   Parent Loop BB142_9 Depth=1
                                        ; =>  This Inner Loop Header: Depth=2
	s_load_dwordx2 s[18:19], s[6:7], 0x4
	s_load_dword s17, s[6:7], 0xc
	s_load_dword s20, s[4:5], 0x0
	s_add_u32 s6, s6, 12
	s_addc_u32 s7, s7, 0
	s_waitcnt lgkmcnt(0)
	v_mul_hi_u32 v9, s19, v7
	v_add_u32_e32 v9, v7, v9
	v_lshrrev_b32_e32 v9, s17, v9
	s_add_u32 s4, s4, 4
	v_mul_lo_u32 v10, v9, s18
	s_addc_u32 s5, s5, 0
	s_add_i32 s16, s16, -1
	v_sub_u32_e32 v10, v7, v10
	s_cmp_lg_u32 s16, 0
	v_mov_b32_e32 v7, v9
	v_mad_u64_u32 v[8:9], s[18:19], v10, s20, v[8:9]
	s_cbranch_scc1 .LBB142_30
.LBB142_31:                             ;   in Loop: Header=BB142_9 Depth=1
	s_cbranch_execnz .LBB142_34
.LBB142_32:                             ;   in Loop: Header=BB142_9 Depth=1
	v_mul_hi_u32 v7, v16, s10
	v_add_u32_e32 v7, v7, v16
	v_lshrrev_b32_e32 v7, s11, v7
	v_mul_lo_u32 v8, v7, s9
	v_sub_u32_e32 v8, v16, v8
	s_andn2_b64 vcc, exec, s[46:47]
	s_waitcnt lgkmcnt(0)
	v_mul_lo_u32 v8, v8, s48
	s_cbranch_vccnz .LBB142_34
; %bb.33:                               ;   in Loop: Header=BB142_9 Depth=1
	v_mul_hi_u32 v9, s8, v7
	v_add_u32_e32 v9, v7, v9
	v_lshrrev_b32_e32 v9, s14, v9
	v_mul_lo_u32 v9, v9, s12
	v_sub_u32_e32 v7, v7, v9
	v_mad_u64_u32 v[8:9], s[4:5], v7, s49, v[8:9]
.LBB142_34:                             ;   in Loop: Header=BB142_9 Depth=1
	v_lshrrev_b32_e32 v1, 11, v1
	v_cvt_f64_u32_e32 v[10:11], v1
	v_ldexp_f64 v[10:11], v[10:11], 32
	v_cvt_f64_u32_e32 v[0:1], v0
	v_add_f64 v[0:1], v[10:11], v[0:1]
	v_mov_b32_e32 v10, 0
	v_mov_b32_e32 v11, 0x3ca00000
	v_fmac_f64_e32 v[10:11], 0x3ca00000, v[0:1]
	s_waitcnt lgkmcnt(0)
	v_cmp_gt_f64_e32 vcc, s[30:31], v[10:11]
	v_cndmask_b32_e32 v15, 0, v41, vcc
	global_store_dwordx2 v8, v[14:15], s[28:29]
.LBB142_35:                             ;   in Loop: Header=BB142_9 Depth=1
	s_or_b64 exec, exec, s[2:3]
	v_mov_b32_e32 v1, s61
	v_add_co_u32_e32 v0, vcc, s33, v16
	v_addc_co_u32_e32 v1, vcc, v17, v1, vcc
	v_cmp_gt_i64_e32 vcc, s[24:25], v[0:1]
	s_and_saveexec_b64 s[36:37], vcc
	s_cbranch_execz .LBB142_8
; %bb.36:                               ;   in Loop: Header=BB142_9 Depth=1
	s_and_b64 vcc, exec, s[0:1]
	s_cbranch_vccnz .LBB142_42
; %bb.37:                               ;   in Loop: Header=BB142_9 Depth=1
	s_andn2_b64 vcc, exec, s[42:43]
	s_cbranch_vccnz .LBB142_43
; %bb.38:                               ;   in Loop: Header=BB142_9 Depth=1
	s_mov_b32 s2, 0
	s_andn2_b64 vcc, exec, s[50:51]
	v_mov_b32_e32 v8, 0
	s_cbranch_vccnz .LBB142_44
; %bb.39:                               ;   in Loop: Header=BB142_9 Depth=1
	s_mov_b32 s58, 0
	v_mov_b32_e32 v8, 0
	s_mov_b64 s[38:39], s[34:35]
	s_mov_b64 s[56:57], s[44:45]
	v_mov_b32_e32 v1, v0
.LBB142_40:                             ;   Parent Loop BB142_9 Depth=1
                                        ; =>  This Inner Loop Header: Depth=2
	s_load_dwordx8 s[0:7], s[38:39], 0x4
	s_load_dwordx4 s[16:19], s[38:39], 0x24
	s_load_dwordx4 s[20:23], s[56:57], 0x0
	s_add_u32 s38, s38, 48
	s_addc_u32 s39, s39, 0
	s_waitcnt lgkmcnt(0)
	v_mul_hi_u32 v7, s1, v1
	v_add_u32_e32 v7, v1, v7
	v_lshrrev_b32_e32 v7, s2, v7
	v_mul_lo_u32 v9, v7, s0
	v_mul_hi_u32 v10, s4, v7
	v_sub_u32_e32 v1, v1, v9
	v_add_u32_e32 v9, v7, v10
	v_lshrrev_b32_e32 v9, s5, v9
	v_mul_lo_u32 v10, v9, s3
	v_mul_hi_u32 v11, s7, v9
	v_sub_u32_e32 v7, v7, v10
	v_add_u32_e32 v10, v9, v11
	v_mul_lo_u32 v1, v1, s20
	v_mul_lo_u32 v7, v7, s21
	v_lshrrev_b32_e32 v10, s16, v10
	v_add3_u32 v7, v1, v8, v7
	v_mul_lo_u32 v1, v10, s6
	v_mul_hi_u32 v8, s18, v10
	v_sub_u32_e32 v1, v9, v1
	v_add_u32_e32 v8, v10, v8
	v_mul_lo_u32 v9, v1, s22
	v_lshrrev_b32_e32 v1, s19, v8
	s_add_i32 s58, s58, 4
	v_mul_lo_u32 v8, v1, s17
	s_add_u32 s56, s56, 16
	v_sub_u32_e32 v8, v10, v8
	s_addc_u32 s57, s57, 0
	v_mul_lo_u32 v8, v8, s23
	s_cmp_eq_u32 s15, s58
	v_add3_u32 v8, v9, v7, v8
	s_cbranch_scc0 .LBB142_40
; %bb.41:                               ;   in Loop: Header=BB142_9 Depth=1
	s_mov_b32 s2, s15
	s_andn2_b64 vcc, exec, s[54:55]
	s_cbranch_vccz .LBB142_45
	s_branch .LBB142_47
.LBB142_42:                             ;   in Loop: Header=BB142_9 Depth=1
                                        ; implicit-def: $vgpr8
	s_branch .LBB142_48
.LBB142_43:                             ;   in Loop: Header=BB142_9 Depth=1
	v_mov_b32_e32 v8, 0
	s_branch .LBB142_47
.LBB142_44:                             ;   in Loop: Header=BB142_9 Depth=1
	v_mov_b32_e32 v1, v0
	s_andn2_b64 vcc, exec, s[54:55]
	s_cbranch_vccnz .LBB142_47
.LBB142_45:                             ;   in Loop: Header=BB142_9 Depth=1
	s_lshl_b32 s0, s2, 2
	s_add_u32 s0, s44, s0
	s_addc_u32 s1, s45, 0
	s_mul_i32 s2, s2, 12
	s_add_u32 s2, s34, s2
	s_addc_u32 s3, s35, 0
	s_mov_b32 s4, s13
.LBB142_46:                             ;   Parent Loop BB142_9 Depth=1
                                        ; =>  This Inner Loop Header: Depth=2
	s_load_dwordx2 s[6:7], s[2:3], 0x4
	s_load_dword s5, s[2:3], 0xc
	s_load_dword s16, s[0:1], 0x0
	s_add_u32 s2, s2, 12
	s_addc_u32 s3, s3, 0
	s_waitcnt lgkmcnt(0)
	v_mul_hi_u32 v7, s7, v1
	v_add_u32_e32 v7, v1, v7
	v_lshrrev_b32_e32 v7, s5, v7
	s_add_u32 s0, s0, 4
	v_mul_lo_u32 v9, v7, s6
	s_addc_u32 s1, s1, 0
	s_add_i32 s4, s4, -1
	v_sub_u32_e32 v9, v1, v9
	s_cmp_lg_u32 s4, 0
	v_mov_b32_e32 v1, v7
	v_mad_u64_u32 v[8:9], s[6:7], v9, s16, v[8:9]
	s_cbranch_scc1 .LBB142_46
.LBB142_47:                             ;   in Loop: Header=BB142_9 Depth=1
	s_cbranch_execnz .LBB142_7
.LBB142_48:                             ;   in Loop: Header=BB142_9 Depth=1
	v_mul_hi_u32 v1, v0, s10
	v_add_u32_e32 v1, v1, v0
	v_lshrrev_b32_e32 v1, s11, v1
	v_mul_lo_u32 v7, v1, s9
	v_sub_u32_e32 v0, v0, v7
	s_andn2_b64 vcc, exec, s[46:47]
	s_waitcnt lgkmcnt(0)
	v_mul_lo_u32 v8, v0, s48
	s_cbranch_vccnz .LBB142_7
; %bb.49:                               ;   in Loop: Header=BB142_9 Depth=1
	v_mul_hi_u32 v0, s8, v1
	v_add_u32_e32 v0, v1, v0
	v_lshrrev_b32_e32 v0, s14, v0
	v_mul_lo_u32 v0, v0, s12
	v_sub_u32_e32 v0, v1, v0
	v_mad_u64_u32 v[8:9], s[0:1], v0, s49, v[8:9]
	s_branch .LBB142_7
.LBB142_50:
	s_endpgm
.LBB142_51:
                                        ; implicit-def: $sgpr2_sgpr3
	s_andn2_b64 vcc, exec, s[0:1]
	s_cbranch_vccz .LBB142_4
	s_branch .LBB142_5
	.section	.rodata,"a",@progbits
	.p2align	6, 0x0
	.amdhsa_kernel _ZN2at6native12_GLOBAL__N_143distribution_elementwise_grid_stride_kernelIdLi2EZNS0_9templates4cuda21uniform_and_transformIddPNS_17CUDAGeneratorImplEZZZNS4_16bernoulli_kernelIS7_EEvRNS_18TensorIteratorBaseEdT_ENKUlvE_clEvENKUlvE4_clEvEUldE_EEvSA_T1_T2_EUlP25hiprandStatePhilox4_32_10E_ZNS1_27distribution_nullary_kernelIdd15HIP_vector_typeIdLj2EES7_SJ_SE_EEvSA_SG_RKT3_T4_EUlidE0_EEvlNS_15PhiloxCudaStateESF_SG_
		.amdhsa_group_segment_fixed_size 0
		.amdhsa_private_segment_fixed_size 0
		.amdhsa_kernarg_size 584
		.amdhsa_user_sgpr_count 6
		.amdhsa_user_sgpr_private_segment_buffer 1
		.amdhsa_user_sgpr_dispatch_ptr 0
		.amdhsa_user_sgpr_queue_ptr 0
		.amdhsa_user_sgpr_kernarg_segment_ptr 1
		.amdhsa_user_sgpr_dispatch_id 0
		.amdhsa_user_sgpr_flat_scratch_init 0
		.amdhsa_user_sgpr_kernarg_preload_length 0
		.amdhsa_user_sgpr_kernarg_preload_offset 0
		.amdhsa_user_sgpr_private_segment_size 0
		.amdhsa_uses_dynamic_stack 0
		.amdhsa_system_sgpr_private_segment_wavefront_offset 0
		.amdhsa_system_sgpr_workgroup_id_x 1
		.amdhsa_system_sgpr_workgroup_id_y 0
		.amdhsa_system_sgpr_workgroup_id_z 0
		.amdhsa_system_sgpr_workgroup_info 0
		.amdhsa_system_vgpr_workitem_id 0
		.amdhsa_next_free_vgpr 44
		.amdhsa_next_free_sgpr 65
		.amdhsa_accum_offset 44
		.amdhsa_reserve_vcc 1
		.amdhsa_reserve_flat_scratch 0
		.amdhsa_float_round_mode_32 0
		.amdhsa_float_round_mode_16_64 0
		.amdhsa_float_denorm_mode_32 3
		.amdhsa_float_denorm_mode_16_64 3
		.amdhsa_dx10_clamp 1
		.amdhsa_ieee_mode 1
		.amdhsa_fp16_overflow 0
		.amdhsa_tg_split 0
		.amdhsa_exception_fp_ieee_invalid_op 0
		.amdhsa_exception_fp_denorm_src 0
		.amdhsa_exception_fp_ieee_div_zero 0
		.amdhsa_exception_fp_ieee_overflow 0
		.amdhsa_exception_fp_ieee_underflow 0
		.amdhsa_exception_fp_ieee_inexact 0
		.amdhsa_exception_int_div_zero 0
	.end_amdhsa_kernel
	.section	.text._ZN2at6native12_GLOBAL__N_143distribution_elementwise_grid_stride_kernelIdLi2EZNS0_9templates4cuda21uniform_and_transformIddPNS_17CUDAGeneratorImplEZZZNS4_16bernoulli_kernelIS7_EEvRNS_18TensorIteratorBaseEdT_ENKUlvE_clEvENKUlvE4_clEvEUldE_EEvSA_T1_T2_EUlP25hiprandStatePhilox4_32_10E_ZNS1_27distribution_nullary_kernelIdd15HIP_vector_typeIdLj2EES7_SJ_SE_EEvSA_SG_RKT3_T4_EUlidE0_EEvlNS_15PhiloxCudaStateESF_SG_,"axG",@progbits,_ZN2at6native12_GLOBAL__N_143distribution_elementwise_grid_stride_kernelIdLi2EZNS0_9templates4cuda21uniform_and_transformIddPNS_17CUDAGeneratorImplEZZZNS4_16bernoulli_kernelIS7_EEvRNS_18TensorIteratorBaseEdT_ENKUlvE_clEvENKUlvE4_clEvEUldE_EEvSA_T1_T2_EUlP25hiprandStatePhilox4_32_10E_ZNS1_27distribution_nullary_kernelIdd15HIP_vector_typeIdLj2EES7_SJ_SE_EEvSA_SG_RKT3_T4_EUlidE0_EEvlNS_15PhiloxCudaStateESF_SG_,comdat
.Lfunc_end142:
	.size	_ZN2at6native12_GLOBAL__N_143distribution_elementwise_grid_stride_kernelIdLi2EZNS0_9templates4cuda21uniform_and_transformIddPNS_17CUDAGeneratorImplEZZZNS4_16bernoulli_kernelIS7_EEvRNS_18TensorIteratorBaseEdT_ENKUlvE_clEvENKUlvE4_clEvEUldE_EEvSA_T1_T2_EUlP25hiprandStatePhilox4_32_10E_ZNS1_27distribution_nullary_kernelIdd15HIP_vector_typeIdLj2EES7_SJ_SE_EEvSA_SG_RKT3_T4_EUlidE0_EEvlNS_15PhiloxCudaStateESF_SG_, .Lfunc_end142-_ZN2at6native12_GLOBAL__N_143distribution_elementwise_grid_stride_kernelIdLi2EZNS0_9templates4cuda21uniform_and_transformIddPNS_17CUDAGeneratorImplEZZZNS4_16bernoulli_kernelIS7_EEvRNS_18TensorIteratorBaseEdT_ENKUlvE_clEvENKUlvE4_clEvEUldE_EEvSA_T1_T2_EUlP25hiprandStatePhilox4_32_10E_ZNS1_27distribution_nullary_kernelIdd15HIP_vector_typeIdLj2EES7_SJ_SE_EEvSA_SG_RKT3_T4_EUlidE0_EEvlNS_15PhiloxCudaStateESF_SG_
                                        ; -- End function
	.section	.AMDGPU.csdata,"",@progbits
; Kernel info:
; codeLenInByte = 3320
; NumSgprs: 69
; NumVgprs: 44
; NumAgprs: 0
; TotalNumVgprs: 44
; ScratchSize: 0
; MemoryBound: 0
; FloatMode: 240
; IeeeMode: 1
; LDSByteSize: 0 bytes/workgroup (compile time only)
; SGPRBlocks: 8
; VGPRBlocks: 5
; NumSGPRsForWavesPerEU: 69
; NumVGPRsForWavesPerEU: 44
; AccumOffset: 44
; Occupancy: 8
; WaveLimiterHint : 1
; COMPUTE_PGM_RSRC2:SCRATCH_EN: 0
; COMPUTE_PGM_RSRC2:USER_SGPR: 6
; COMPUTE_PGM_RSRC2:TRAP_HANDLER: 0
; COMPUTE_PGM_RSRC2:TGID_X_EN: 1
; COMPUTE_PGM_RSRC2:TGID_Y_EN: 0
; COMPUTE_PGM_RSRC2:TGID_Z_EN: 0
; COMPUTE_PGM_RSRC2:TIDIG_COMP_CNT: 0
; COMPUTE_PGM_RSRC3_GFX90A:ACCUM_OFFSET: 10
; COMPUTE_PGM_RSRC3_GFX90A:TG_SPLIT: 0
	.section	.text._ZN2at6native12_GLOBAL__N_143distribution_elementwise_grid_stride_kernelIdLi2EZNS0_9templates4cuda21uniform_and_transformIddPNS_17CUDAGeneratorImplEZZZNS4_16bernoulli_kernelIS7_EEvRNS_18TensorIteratorBaseEdT_ENKUlvE_clEvENKUlvE4_clEvEUldE_EEvSA_T1_T2_EUlP25hiprandStatePhilox4_32_10E0_ZNS1_27distribution_nullary_kernelIdd15HIP_vector_typeIfLj4EES7_SJ_SE_EEvSA_SG_RKT3_T4_EUlidE_EEvlNS_15PhiloxCudaStateESF_SG_,"axG",@progbits,_ZN2at6native12_GLOBAL__N_143distribution_elementwise_grid_stride_kernelIdLi2EZNS0_9templates4cuda21uniform_and_transformIddPNS_17CUDAGeneratorImplEZZZNS4_16bernoulli_kernelIS7_EEvRNS_18TensorIteratorBaseEdT_ENKUlvE_clEvENKUlvE4_clEvEUldE_EEvSA_T1_T2_EUlP25hiprandStatePhilox4_32_10E0_ZNS1_27distribution_nullary_kernelIdd15HIP_vector_typeIfLj4EES7_SJ_SE_EEvSA_SG_RKT3_T4_EUlidE_EEvlNS_15PhiloxCudaStateESF_SG_,comdat
	.globl	_ZN2at6native12_GLOBAL__N_143distribution_elementwise_grid_stride_kernelIdLi2EZNS0_9templates4cuda21uniform_and_transformIddPNS_17CUDAGeneratorImplEZZZNS4_16bernoulli_kernelIS7_EEvRNS_18TensorIteratorBaseEdT_ENKUlvE_clEvENKUlvE4_clEvEUldE_EEvSA_T1_T2_EUlP25hiprandStatePhilox4_32_10E0_ZNS1_27distribution_nullary_kernelIdd15HIP_vector_typeIfLj4EES7_SJ_SE_EEvSA_SG_RKT3_T4_EUlidE_EEvlNS_15PhiloxCudaStateESF_SG_ ; -- Begin function _ZN2at6native12_GLOBAL__N_143distribution_elementwise_grid_stride_kernelIdLi2EZNS0_9templates4cuda21uniform_and_transformIddPNS_17CUDAGeneratorImplEZZZNS4_16bernoulli_kernelIS7_EEvRNS_18TensorIteratorBaseEdT_ENKUlvE_clEvENKUlvE4_clEvEUldE_EEvSA_T1_T2_EUlP25hiprandStatePhilox4_32_10E0_ZNS1_27distribution_nullary_kernelIdd15HIP_vector_typeIfLj4EES7_SJ_SE_EEvSA_SG_RKT3_T4_EUlidE_EEvlNS_15PhiloxCudaStateESF_SG_
	.p2align	8
	.type	_ZN2at6native12_GLOBAL__N_143distribution_elementwise_grid_stride_kernelIdLi2EZNS0_9templates4cuda21uniform_and_transformIddPNS_17CUDAGeneratorImplEZZZNS4_16bernoulli_kernelIS7_EEvRNS_18TensorIteratorBaseEdT_ENKUlvE_clEvENKUlvE4_clEvEUldE_EEvSA_T1_T2_EUlP25hiprandStatePhilox4_32_10E0_ZNS1_27distribution_nullary_kernelIdd15HIP_vector_typeIfLj4EES7_SJ_SE_EEvSA_SG_RKT3_T4_EUlidE_EEvlNS_15PhiloxCudaStateESF_SG_,@function
_ZN2at6native12_GLOBAL__N_143distribution_elementwise_grid_stride_kernelIdLi2EZNS0_9templates4cuda21uniform_and_transformIddPNS_17CUDAGeneratorImplEZZZNS4_16bernoulli_kernelIS7_EEvRNS_18TensorIteratorBaseEdT_ENKUlvE_clEvENKUlvE4_clEvEUldE_EEvSA_T1_T2_EUlP25hiprandStatePhilox4_32_10E0_ZNS1_27distribution_nullary_kernelIdd15HIP_vector_typeIfLj4EES7_SJ_SE_EEvSA_SG_RKT3_T4_EUlidE_EEvlNS_15PhiloxCudaStateESF_SG_: ; @_ZN2at6native12_GLOBAL__N_143distribution_elementwise_grid_stride_kernelIdLi2EZNS0_9templates4cuda21uniform_and_transformIddPNS_17CUDAGeneratorImplEZZZNS4_16bernoulli_kernelIS7_EEvRNS_18TensorIteratorBaseEdT_ENKUlvE_clEvENKUlvE4_clEvEUldE_EEvSA_T1_T2_EUlP25hiprandStatePhilox4_32_10E0_ZNS1_27distribution_nullary_kernelIdd15HIP_vector_typeIfLj4EES7_SJ_SE_EEvSA_SG_RKT3_T4_EUlidE_EEvlNS_15PhiloxCudaStateESF_SG_
; %bb.0:
	s_load_dword s7, s[4:5], 0x20
	s_load_dwordx2 s[10:11], s[4:5], 0x10
	s_load_dwordx4 s[0:3], s[4:5], 0x0
	s_mov_b32 s8, 0
	s_waitcnt lgkmcnt(0)
	s_bitcmp0_b32 s7, 0
	v_pk_mov_b32 v[2:3], s[10:11], s[10:11] op_sel:[0,1]
	v_pk_mov_b32 v[10:11], s[2:3], s[2:3] op_sel:[0,1]
	s_cbranch_scc1 .LBB143_2
; %bb.1:
	v_pk_mov_b32 v[2:3], s[10:11], s[10:11] op_sel:[0,1]
	flat_load_dwordx2 v[2:3], v[2:3]
	v_pk_mov_b32 v[4:5], s[2:3], s[2:3] op_sel:[0,1]
	flat_load_dwordx2 v[10:11], v[4:5]
	s_load_dwordx2 s[2:3], s[4:5], 0x18
	s_waitcnt lgkmcnt(0)
	v_mov_b32_e32 v1, s3
	s_waitcnt vmcnt(0)
	v_add_co_u32_e32 v2, vcc, s2, v2
	v_addc_co_u32_e32 v3, vcc, v3, v1, vcc
.LBB143_2:
	s_load_dword s2, s[4:5], 0x54
	s_load_dword s12, s[4:5], 0x48
	s_waitcnt lgkmcnt(0)
	s_and_b32 s7, s2, 0xffff
	s_add_u32 s10, s0, -1
	s_mul_i32 s14, s12, s7
	s_addc_u32 s9, s1, -1
	s_lshl_b32 s15, s14, 1
	s_cmp_lg_u64 s[8:9], 0
	s_mov_b64 s[2:3], -1
	s_cbranch_scc0 .LBB143_23
; %bb.3:
	v_cvt_f32_u32_e32 v1, s15
	v_cvt_f32_ubyte0_e32 v4, 0
	s_sub_u32 s8, 0, s15
	s_subb_u32 s11, 0, 0
	v_madmk_f32 v1, v4, 0x4f800000, v1
	v_rcp_f32_e32 v1, v1
	v_mul_f32_e32 v1, 0x5f7ffffc, v1
	v_mul_f32_e32 v4, 0x2f800000, v1
	v_trunc_f32_e32 v4, v4
	v_madmk_f32 v1, v4, 0xcf800000, v1
	v_cvt_u32_f32_e32 v4, v4
	v_cvt_u32_f32_e32 v1, v1
	v_readfirstlane_b32 s13, v4
	v_readfirstlane_b32 s16, v1
	s_mul_i32 s17, s8, s13
	s_mul_hi_u32 s19, s8, s16
	s_mul_i32 s18, s11, s16
	s_add_i32 s17, s19, s17
	s_add_i32 s17, s17, s18
	s_mul_i32 s20, s8, s16
	s_mul_hi_u32 s18, s16, s17
	s_mul_i32 s19, s16, s17
	s_mul_hi_u32 s16, s16, s20
	s_add_u32 s16, s16, s19
	s_addc_u32 s18, 0, s18
	s_mul_hi_u32 s21, s13, s20
	s_mul_i32 s20, s13, s20
	s_add_u32 s16, s16, s20
	s_mul_hi_u32 s19, s13, s17
	s_addc_u32 s16, s18, s21
	s_addc_u32 s18, s19, 0
	s_mul_i32 s17, s13, s17
	s_add_u32 s16, s16, s17
	s_addc_u32 s17, 0, s18
	v_add_co_u32_e32 v1, vcc, s16, v1
	s_cmp_lg_u64 vcc, 0
	s_addc_u32 s13, s13, s17
	v_readfirstlane_b32 s17, v1
	s_mul_i32 s16, s8, s13
	s_mul_hi_u32 s18, s8, s17
	s_add_i32 s16, s18, s16
	s_mul_i32 s11, s11, s17
	s_add_i32 s16, s16, s11
	s_mul_i32 s8, s8, s17
	s_mul_hi_u32 s18, s13, s8
	s_mul_i32 s19, s13, s8
	s_mul_i32 s21, s17, s16
	s_mul_hi_u32 s8, s17, s8
	s_mul_hi_u32 s20, s17, s16
	s_add_u32 s8, s8, s21
	s_addc_u32 s17, 0, s20
	s_add_u32 s8, s8, s19
	s_mul_hi_u32 s11, s13, s16
	s_addc_u32 s8, s17, s18
	s_addc_u32 s11, s11, 0
	s_mul_i32 s16, s13, s16
	s_add_u32 s8, s8, s16
	s_addc_u32 s11, 0, s11
	v_add_co_u32_e32 v1, vcc, s8, v1
	s_cmp_lg_u64 vcc, 0
	s_addc_u32 s11, s13, s11
	s_ashr_i32 s16, s9, 31
	s_add_u32 s8, s10, s16
	s_mov_b32 s17, s16
	s_addc_u32 s9, s9, s16
	s_xor_b64 s[8:9], s[8:9], s[16:17]
	v_readfirstlane_b32 s19, v1
	s_mul_i32 s18, s8, s11
	s_mul_hi_u32 s20, s8, s19
	s_mul_hi_u32 s13, s8, s11
	s_add_u32 s18, s20, s18
	s_addc_u32 s13, 0, s13
	s_mul_hi_u32 s21, s9, s19
	s_mul_i32 s19, s9, s19
	s_add_u32 s18, s18, s19
	s_mul_hi_u32 s20, s9, s11
	s_addc_u32 s13, s13, s21
	s_addc_u32 s18, s20, 0
	s_mul_i32 s11, s9, s11
	s_add_u32 s11, s13, s11
	s_addc_u32 s13, 0, s18
	s_add_u32 s18, s11, 1
	s_addc_u32 s19, s13, 0
	s_add_u32 s20, s11, 2
	s_mul_i32 s22, s15, s13
	s_mul_hi_u32 s23, s15, s11
	s_addc_u32 s21, s13, 0
	s_add_i32 s23, s23, s22
	s_mul_i32 s22, s15, s11
	v_mov_b32_e32 v1, s22
	v_sub_co_u32_e32 v1, vcc, s8, v1
	s_cmp_lg_u64 vcc, 0
	s_subb_u32 s8, s9, s23
	v_subrev_co_u32_e32 v4, vcc, s15, v1
	s_cmp_lg_u64 vcc, 0
	s_subb_u32 s9, s8, 0
	v_readfirstlane_b32 s22, v4
	s_cmp_ge_u32 s22, s15
	s_cselect_b32 s22, -1, 0
	s_cmp_eq_u32 s9, 0
	s_cselect_b32 s9, s22, -1
	s_cmp_lg_u32 s9, 0
	s_cselect_b32 s9, s21, s19
	v_readfirstlane_b32 s19, v1
	s_cselect_b32 s18, s20, s18
	s_cmp_ge_u32 s19, s15
	s_cselect_b32 s19, -1, 0
	s_cmp_eq_u32 s8, 0
	s_cselect_b32 s8, s19, -1
	s_cmp_lg_u32 s8, 0
	s_cselect_b32 s9, s9, s13
	s_cselect_b32 s8, s18, s11
	s_xor_b64 s[8:9], s[8:9], s[16:17]
	s_sub_u32 s8, s8, s16
	s_subb_u32 s9, s9, s16
	s_cbranch_execnz .LBB143_5
.LBB143_4:
	v_cvt_f32_u32_e32 v1, s15
	s_sub_i32 s2, 0, s15
	s_mov_b32 s9, 0
	v_rcp_iflag_f32_e32 v1, v1
	v_mul_f32_e32 v1, 0x4f7ffffe, v1
	v_cvt_u32_f32_e32 v1, v1
	v_readfirstlane_b32 s3, v1
	s_mul_i32 s2, s2, s3
	s_mul_hi_u32 s2, s3, s2
	s_add_i32 s3, s3, s2
	s_mul_hi_u32 s2, s10, s3
	s_mul_i32 s8, s2, s15
	s_sub_i32 s8, s10, s8
	s_add_i32 s3, s2, 1
	s_sub_i32 s10, s8, s15
	s_cmp_ge_u32 s8, s15
	s_cselect_b32 s2, s3, s2
	s_cselect_b32 s8, s10, s8
	s_add_i32 s3, s2, 1
	s_cmp_ge_u32 s8, s15
	s_cselect_b32 s8, s3, s2
.LBB143_5:
	v_mov_b32_e32 v12, 0
	v_mov_b32_e32 v1, v12
	;; [unrolled: 1-line block ×3, first 2 shown]
	v_mad_u64_u32 v[14:15], s[2:3], s7, v4, v[0:1]
	s_add_u32 s2, s8, 1
	s_addc_u32 s3, s9, 0
	s_mul_hi_u32 s8, s12, s7
	s_mul_i32 s3, s14, s3
	s_mul_hi_u32 s9, s14, s2
	s_add_i32 s3, s9, s3
	s_mul_i32 s8, s8, s2
	s_add_i32 s3, s3, s8
	s_mul_i32 s2, s14, s2
	s_lshl_b64 s[2:3], s[2:3], 1
	v_cmp_gt_i64_e32 vcc, s[2:3], v[14:15]
	s_and_saveexec_b64 s[8:9], vcc
	s_cbranch_execz .LBB143_22
; %bb.6:
	s_load_dwordx2 s[8:9], s[4:5], 0x30
	s_load_dword s13, s[4:5], 0x38
	s_load_dwordx2 s[10:11], s[4:5], 0x40
	s_mov_b32 s4, 0x5384540f
	v_mov_b32_e32 v4, v11
	v_add_co_u32_e32 v20, vcc, s4, v10
	s_mov_b32 s4, 0x646e171e
	v_add_co_u32_e32 v21, vcc, s4, v4
	s_mov_b32 s4, 0x1715609d
	;; [unrolled: 2-line block ×6, first 2 shown]
	v_alignbit_b32 v27, v3, v2, 2
	s_mov_b32 s17, 0xd2511f53
	v_add_co_u32_e32 v26, vcc, s4, v10
	v_mad_u64_u32 v[6:7], s[4:5], v27, s17, 0
	v_xor_b32_e32 v1, v7, v11
	v_xor_b32_e32 v1, v1, v15
	s_mov_b32 s18, 0xcd9e8d57
	v_mad_u64_u32 v[8:9], s[4:5], v1, s18, 0
	v_xor_b32_e32 v1, v26, v9
	v_mad_u64_u32 v[28:29], s[4:5], v14, s18, 0
	v_and_b32_e32 v16, 3, v2
	v_xor_b32_e32 v1, v1, v28
	v_xor_b32_e32 v2, v10, v29
	v_lshrrev_b32_e32 v28, 2, v3
	v_mad_u64_u32 v[32:33], s[4:5], v1, s17, 0
	v_xor_b32_e32 v2, v2, v28
	v_xor_b32_e32 v1, v25, v33
	v_mad_u64_u32 v[2:3], s[4:5], v2, s17, 0
	v_xor_b32_e32 v1, v1, v2
	v_mad_u64_u32 v[34:35], s[4:5], v1, s18, 0
	s_mov_b32 s4, 0xbb67ae85
	v_add_co_u32_e32 v29, vcc, s4, v4
	v_xor_b32_e32 v2, v29, v3
	v_xor_b32_e32 v2, v2, v6
	v_xor_b32_e32 v1, v24, v35
	v_mad_u64_u32 v[2:3], s[4:5], v2, s18, 0
	v_xor_b32_e32 v1, v1, v2
	v_mad_u64_u32 v[6:7], s[4:5], v1, s17, 0
	s_mov_b32 s4, 0x3c6ef372
	v_add_co_u32_e32 v30, vcc, s4, v10
	v_xor_b32_e32 v2, v30, v3
	v_xor_b32_e32 v2, v2, v8
	v_xor_b32_e32 v1, v23, v7
	v_mad_u64_u32 v[2:3], s[4:5], v2, s17, 0
	v_xor_b32_e32 v1, v1, v2
	v_mad_u64_u32 v[8:9], s[4:5], v1, s18, 0
	s_mov_b32 s4, 0x32370b8f
	v_add_co_u32_e32 v31, vcc, s4, v4
	v_xor_b32_e32 v2, v31, v3
	v_xor_b32_e32 v2, v2, v32
	v_xor_b32_e32 v1, v22, v9
	v_mad_u64_u32 v[2:3], s[4:5], v2, s18, 0
	v_xor_b32_e32 v1, v1, v2
	v_mad_u64_u32 v[36:37], s[4:5], v1, s17, 0
	s_mov_b32 s4, 0x78dde6e4
	v_add_co_u32_e32 v32, vcc, s4, v10
	v_xor_b32_e32 v2, v32, v3
	v_xor_b32_e32 v2, v2, v34
	v_xor_b32_e32 v1, v21, v37
	v_mad_u64_u32 v[2:3], s[4:5], v2, s17, 0
	v_xor_b32_e32 v1, v1, v2
	v_mad_u64_u32 v[38:39], s[4:5], v1, s18, 0
	s_mov_b32 s4, 0xa9066899
	v_add_co_u32_e32 v33, vcc, s4, v4
	v_xor_b32_e32 v2, v33, v3
	v_xor_b32_e32 v2, v2, v6
	v_xor_b32_e32 v1, v20, v39
	v_mad_u64_u32 v[2:3], s[4:5], v2, s18, 0
	v_xor_b32_e32 v1, v1, v2
	v_mad_u64_u32 v[6:7], s[4:5], v1, s17, 0
	s_mov_b32 s4, 0xb54cda56
	v_add_co_u32_e32 v34, vcc, s4, v10
	v_xor_b32_e32 v2, v34, v3
	v_add_co_u32_e32 v19, vcc, 0xdb3d7428, v4
	v_xor_b32_e32 v2, v2, v8
	v_xor_b32_e32 v1, v19, v7
	v_mad_u64_u32 v[2:3], s[4:5], v2, s17, 0
	v_xor_b32_e32 v1, v1, v2
	v_mad_u64_u32 v[8:9], s[4:5], v1, s18, 0
	s_mov_b32 s4, 0x1fd5c5a3
	v_add_co_u32_e32 v35, vcc, s4, v4
	v_xor_b32_e32 v1, v35, v3
	v_xor_b32_e32 v1, v1, v36
	v_mad_u64_u32 v[2:3], s[4:5], v1, s18, 0
	s_mov_b32 s4, 0xf1bbcdc8
	v_add_u32_e32 v17, 0x8ff34781, v10
	v_xor_b32_e32 v1, v9, v2
	v_add_co_u32_e32 v36, vcc, s4, v10
	v_xor_b32_e32 v2, v17, v1
	v_xor_b32_e32 v1, v36, v3
	;; [unrolled: 1-line block ×3, first 2 shown]
	v_mad_u64_u32 v[38:39], s[4:5], v1, s17, 0
	v_add_u32_e32 v18, 0x96a522ad, v11
	v_xor_b32_e32 v1, v39, v6
	s_mul_i32 s4, s6, s7
	v_xor_b32_e32 v4, v18, v1
	v_add_u32_e32 v1, s4, v0
	s_waitcnt lgkmcnt(0)
	s_mul_i32 s4, s12, s13
	s_mul_i32 s4, s4, s7
	s_lshl_b32 s19, s4, 1
	s_add_i32 s4, s6, s12
	s_mul_i32 s4, s4, s7
	s_mov_b32 s16, 0
	v_add_u32_e32 v0, s4, v0
	v_mov_b32_e32 v3, v8
	v_mov_b32_e32 v5, v38
	v_mul_lo_u32 v37, s13, v1
	v_mul_lo_u32 v38, s13, v0
	s_mov_b64 s[4:5], 0
	v_mov_b32_e32 v39, 0x3ff00000
	s_mov_b32 s20, s16
	v_mov_b32_e32 v40, v14
	v_mov_b32_e32 v41, v15
	s_branch .LBB143_8
.LBB143_7:                              ;   in Loop: Header=BB143_8 Depth=1
	s_or_b64 exec, exec, s[6:7]
	v_add_co_u32_e32 v14, vcc, s15, v14
	v_addc_co_u32_e32 v15, vcc, 0, v15, vcc
	v_mov_b32_e32 v9, v0
	s_add_i32 s20, s20, s19
	v_cmp_le_i64_e32 vcc, s[2:3], v[14:15]
	v_pk_mov_b32 v[2:3], v[6:7], v[6:7] op_sel:[0,1]
	s_or_b64 s[4:5], vcc, s[4:5]
	v_pk_mov_b32 v[4:5], v[8:9], v[8:9] op_sel:[0,1]
	s_barrier
	s_andn2_b64 exec, exec, s[4:5]
	s_cbranch_execz .LBB143_22
.LBB143_8:                              ; =>This Inner Loop Header: Depth=1
	v_add_co_u32_e32 v27, vcc, 1, v27
	v_cndmask_b32_e64 v0, 0, 1, vcc
	v_addc_co_u32_e32 v28, vcc, 0, v28, vcc
	v_cmp_eq_u32_e32 vcc, 0, v28
	v_cndmask_b32_e32 v0, 0, v0, vcc
	v_add_u32_e32 v40, v0, v40
	v_cmp_eq_u32_e32 vcc, 0, v40
	v_cndmask_b32_e32 v0, 0, v0, vcc
	v_add_u32_e32 v41, v0, v41
	v_mad_u64_u32 v[0:1], s[6:7], v27, s17, 0
	v_mad_u64_u32 v[6:7], s[6:7], v40, s18, 0
	v_xor_b32_e32 v1, v1, v11
	v_xor_b32_e32 v7, v7, v10
	v_xor_b32_e32 v1, v41, v1
	v_xor_b32_e32 v7, v28, v7
	v_mad_u64_u32 v[42:43], s[6:7], v1, s18, 0
	v_mad_u64_u32 v[8:9], s[6:7], v7, s17, 0
	v_xor_b32_e32 v1, v26, v43
	v_xor_b32_e32 v1, v1, v6
	v_xor_b32_e32 v6, v29, v9
	v_xor_b32_e32 v6, v6, v0
	;; [unrolled: 6-line block ×10, first 2 shown]
	v_mov_b32_e32 v7, v42
	v_cmp_lt_i32_e32 vcc, 1, v16
	s_and_saveexec_b64 s[6:7], vcc
	s_xor_b64 s[6:7], exec, s[6:7]
	s_cbranch_execnz .LBB143_14
; %bb.9:                                ;   in Loop: Header=BB143_8 Depth=1
	s_andn2_saveexec_b64 s[6:7], s[6:7]
	s_cbranch_execnz .LBB143_19
.LBB143_10:                             ;   in Loop: Header=BB143_8 Depth=1
	s_or_b64 exec, exec, s[6:7]
	v_cmp_gt_i64_e32 vcc, s[0:1], v[14:15]
	s_and_saveexec_b64 s[6:7], vcc
	s_cbranch_execz .LBB143_12
.LBB143_11:                             ;   in Loop: Header=BB143_8 Depth=1
	v_cvt_f32_u32_e32 v1, v2
	v_mov_b32_e32 v2, 0x2f800000
	v_add_u32_e32 v9, s20, v37
	v_ashrrev_i32_e32 v13, 31, v9
	v_fmac_f32_e32 v2, 0x2f800000, v1
	v_mov_b32_e32 v1, s9
	v_add_co_u32_e32 v42, vcc, s8, v9
	v_cvt_f64_f32_e32 v[4:5], v2
	v_addc_co_u32_e32 v43, vcc, v1, v13, vcc
	v_cmp_gt_f64_e32 vcc, s[10:11], v[4:5]
	v_cndmask_b32_e32 v13, 0, v39, vcc
	global_store_dwordx2 v[42:43], v[12:13], off
.LBB143_12:                             ;   in Loop: Header=BB143_8 Depth=1
	s_or_b64 exec, exec, s[6:7]
	v_mov_b32_e32 v1, s16
	v_add_co_u32_e32 v4, vcc, s14, v14
	v_addc_co_u32_e32 v5, vcc, v1, v15, vcc
	v_cmp_gt_i64_e32 vcc, s[0:1], v[4:5]
	s_and_saveexec_b64 s[6:7], vcc
	s_cbranch_execz .LBB143_7
; %bb.13:                               ;   in Loop: Header=BB143_8 Depth=1
	v_cvt_f32_u32_e32 v1, v3
	v_mov_b32_e32 v2, 0x2f800000
	v_add_u32_e32 v4, s20, v38
	v_ashrrev_i32_e32 v5, 31, v4
	v_fmac_f32_e32 v2, 0x2f800000, v1
	v_mov_b32_e32 v1, s9
	v_add_co_u32_e32 v4, vcc, s8, v4
	v_cvt_f64_f32_e32 v[2:3], v2
	v_addc_co_u32_e32 v5, vcc, v1, v5, vcc
	v_cmp_gt_f64_e32 vcc, s[10:11], v[2:3]
	v_cndmask_b32_e32 v13, 0, v39, vcc
	global_store_dwordx2 v[4:5], v[12:13], off
	s_branch .LBB143_7
.LBB143_14:                             ;   in Loop: Header=BB143_8 Depth=1
	v_cmp_lt_i32_e32 vcc, 2, v16
	s_and_saveexec_b64 s[12:13], vcc
	s_xor_b64 s[12:13], exec, s[12:13]
; %bb.15:                               ;   in Loop: Header=BB143_8 Depth=1
	v_mov_b32_e32 v2, v5
	v_mov_b32_e32 v3, v6
; %bb.16:                               ;   in Loop: Header=BB143_8 Depth=1
	s_andn2_saveexec_b64 s[12:13], s[12:13]
; %bb.17:                               ;   in Loop: Header=BB143_8 Depth=1
	v_mov_b32_e32 v2, v4
	v_mov_b32_e32 v3, v5
; %bb.18:                               ;   in Loop: Header=BB143_8 Depth=1
	s_or_b64 exec, exec, s[12:13]
	s_andn2_saveexec_b64 s[6:7], s[6:7]
	s_cbranch_execz .LBB143_10
.LBB143_19:                             ;   in Loop: Header=BB143_8 Depth=1
	v_cmp_eq_u32_e32 vcc, 1, v16
	s_and_saveexec_b64 s[12:13], vcc
; %bb.20:                               ;   in Loop: Header=BB143_8 Depth=1
	v_mov_b32_e32 v2, v3
	v_mov_b32_e32 v3, v4
; %bb.21:                               ;   in Loop: Header=BB143_8 Depth=1
	s_or_b64 exec, exec, s[12:13]
	s_or_b64 exec, exec, s[6:7]
	v_cmp_gt_i64_e32 vcc, s[0:1], v[14:15]
	s_and_saveexec_b64 s[6:7], vcc
	s_cbranch_execnz .LBB143_11
	s_branch .LBB143_12
.LBB143_22:
	s_endpgm
.LBB143_23:
                                        ; implicit-def: $sgpr8_sgpr9
	s_andn2_b64 vcc, exec, s[2:3]
	s_cbranch_vccz .LBB143_4
	s_branch .LBB143_5
	.section	.rodata,"a",@progbits
	.p2align	6, 0x0
	.amdhsa_kernel _ZN2at6native12_GLOBAL__N_143distribution_elementwise_grid_stride_kernelIdLi2EZNS0_9templates4cuda21uniform_and_transformIddPNS_17CUDAGeneratorImplEZZZNS4_16bernoulli_kernelIS7_EEvRNS_18TensorIteratorBaseEdT_ENKUlvE_clEvENKUlvE4_clEvEUldE_EEvSA_T1_T2_EUlP25hiprandStatePhilox4_32_10E0_ZNS1_27distribution_nullary_kernelIdd15HIP_vector_typeIfLj4EES7_SJ_SE_EEvSA_SG_RKT3_T4_EUlidE_EEvlNS_15PhiloxCudaStateESF_SG_
		.amdhsa_group_segment_fixed_size 0
		.amdhsa_private_segment_fixed_size 0
		.amdhsa_kernarg_size 328
		.amdhsa_user_sgpr_count 6
		.amdhsa_user_sgpr_private_segment_buffer 1
		.amdhsa_user_sgpr_dispatch_ptr 0
		.amdhsa_user_sgpr_queue_ptr 0
		.amdhsa_user_sgpr_kernarg_segment_ptr 1
		.amdhsa_user_sgpr_dispatch_id 0
		.amdhsa_user_sgpr_flat_scratch_init 0
		.amdhsa_user_sgpr_kernarg_preload_length 0
		.amdhsa_user_sgpr_kernarg_preload_offset 0
		.amdhsa_user_sgpr_private_segment_size 0
		.amdhsa_uses_dynamic_stack 0
		.amdhsa_system_sgpr_private_segment_wavefront_offset 0
		.amdhsa_system_sgpr_workgroup_id_x 1
		.amdhsa_system_sgpr_workgroup_id_y 0
		.amdhsa_system_sgpr_workgroup_id_z 0
		.amdhsa_system_sgpr_workgroup_info 0
		.amdhsa_system_vgpr_workitem_id 0
		.amdhsa_next_free_vgpr 46
		.amdhsa_next_free_sgpr 24
		.amdhsa_accum_offset 48
		.amdhsa_reserve_vcc 1
		.amdhsa_reserve_flat_scratch 0
		.amdhsa_float_round_mode_32 0
		.amdhsa_float_round_mode_16_64 0
		.amdhsa_float_denorm_mode_32 3
		.amdhsa_float_denorm_mode_16_64 3
		.amdhsa_dx10_clamp 1
		.amdhsa_ieee_mode 1
		.amdhsa_fp16_overflow 0
		.amdhsa_tg_split 0
		.amdhsa_exception_fp_ieee_invalid_op 0
		.amdhsa_exception_fp_denorm_src 0
		.amdhsa_exception_fp_ieee_div_zero 0
		.amdhsa_exception_fp_ieee_overflow 0
		.amdhsa_exception_fp_ieee_underflow 0
		.amdhsa_exception_fp_ieee_inexact 0
		.amdhsa_exception_int_div_zero 0
	.end_amdhsa_kernel
	.section	.text._ZN2at6native12_GLOBAL__N_143distribution_elementwise_grid_stride_kernelIdLi2EZNS0_9templates4cuda21uniform_and_transformIddPNS_17CUDAGeneratorImplEZZZNS4_16bernoulli_kernelIS7_EEvRNS_18TensorIteratorBaseEdT_ENKUlvE_clEvENKUlvE4_clEvEUldE_EEvSA_T1_T2_EUlP25hiprandStatePhilox4_32_10E0_ZNS1_27distribution_nullary_kernelIdd15HIP_vector_typeIfLj4EES7_SJ_SE_EEvSA_SG_RKT3_T4_EUlidE_EEvlNS_15PhiloxCudaStateESF_SG_,"axG",@progbits,_ZN2at6native12_GLOBAL__N_143distribution_elementwise_grid_stride_kernelIdLi2EZNS0_9templates4cuda21uniform_and_transformIddPNS_17CUDAGeneratorImplEZZZNS4_16bernoulli_kernelIS7_EEvRNS_18TensorIteratorBaseEdT_ENKUlvE_clEvENKUlvE4_clEvEUldE_EEvSA_T1_T2_EUlP25hiprandStatePhilox4_32_10E0_ZNS1_27distribution_nullary_kernelIdd15HIP_vector_typeIfLj4EES7_SJ_SE_EEvSA_SG_RKT3_T4_EUlidE_EEvlNS_15PhiloxCudaStateESF_SG_,comdat
.Lfunc_end143:
	.size	_ZN2at6native12_GLOBAL__N_143distribution_elementwise_grid_stride_kernelIdLi2EZNS0_9templates4cuda21uniform_and_transformIddPNS_17CUDAGeneratorImplEZZZNS4_16bernoulli_kernelIS7_EEvRNS_18TensorIteratorBaseEdT_ENKUlvE_clEvENKUlvE4_clEvEUldE_EEvSA_T1_T2_EUlP25hiprandStatePhilox4_32_10E0_ZNS1_27distribution_nullary_kernelIdd15HIP_vector_typeIfLj4EES7_SJ_SE_EEvSA_SG_RKT3_T4_EUlidE_EEvlNS_15PhiloxCudaStateESF_SG_, .Lfunc_end143-_ZN2at6native12_GLOBAL__N_143distribution_elementwise_grid_stride_kernelIdLi2EZNS0_9templates4cuda21uniform_and_transformIddPNS_17CUDAGeneratorImplEZZZNS4_16bernoulli_kernelIS7_EEvRNS_18TensorIteratorBaseEdT_ENKUlvE_clEvENKUlvE4_clEvEUldE_EEvSA_T1_T2_EUlP25hiprandStatePhilox4_32_10E0_ZNS1_27distribution_nullary_kernelIdd15HIP_vector_typeIfLj4EES7_SJ_SE_EEvSA_SG_RKT3_T4_EUlidE_EEvlNS_15PhiloxCudaStateESF_SG_
                                        ; -- End function
	.section	.AMDGPU.csdata,"",@progbits
; Kernel info:
; codeLenInByte = 2208
; NumSgprs: 28
; NumVgprs: 46
; NumAgprs: 0
; TotalNumVgprs: 46
; ScratchSize: 0
; MemoryBound: 0
; FloatMode: 240
; IeeeMode: 1
; LDSByteSize: 0 bytes/workgroup (compile time only)
; SGPRBlocks: 3
; VGPRBlocks: 5
; NumSGPRsForWavesPerEU: 28
; NumVGPRsForWavesPerEU: 46
; AccumOffset: 48
; Occupancy: 8
; WaveLimiterHint : 0
; COMPUTE_PGM_RSRC2:SCRATCH_EN: 0
; COMPUTE_PGM_RSRC2:USER_SGPR: 6
; COMPUTE_PGM_RSRC2:TRAP_HANDLER: 0
; COMPUTE_PGM_RSRC2:TGID_X_EN: 1
; COMPUTE_PGM_RSRC2:TGID_Y_EN: 0
; COMPUTE_PGM_RSRC2:TGID_Z_EN: 0
; COMPUTE_PGM_RSRC2:TIDIG_COMP_CNT: 0
; COMPUTE_PGM_RSRC3_GFX90A:ACCUM_OFFSET: 11
; COMPUTE_PGM_RSRC3_GFX90A:TG_SPLIT: 0
	.section	.text._ZN2at6native12_GLOBAL__N_143distribution_elementwise_grid_stride_kernelIdLi2EZNS0_9templates4cuda21uniform_and_transformIddPNS_17CUDAGeneratorImplEZZZNS4_16bernoulli_kernelIS7_EEvRNS_18TensorIteratorBaseEdT_ENKUlvE_clEvENKUlvE4_clEvEUldE_EEvSA_T1_T2_EUlP25hiprandStatePhilox4_32_10E0_ZNS1_27distribution_nullary_kernelIdd15HIP_vector_typeIfLj4EES7_SJ_SE_EEvSA_SG_RKT3_T4_EUlidE0_EEvlNS_15PhiloxCudaStateESF_SG_,"axG",@progbits,_ZN2at6native12_GLOBAL__N_143distribution_elementwise_grid_stride_kernelIdLi2EZNS0_9templates4cuda21uniform_and_transformIddPNS_17CUDAGeneratorImplEZZZNS4_16bernoulli_kernelIS7_EEvRNS_18TensorIteratorBaseEdT_ENKUlvE_clEvENKUlvE4_clEvEUldE_EEvSA_T1_T2_EUlP25hiprandStatePhilox4_32_10E0_ZNS1_27distribution_nullary_kernelIdd15HIP_vector_typeIfLj4EES7_SJ_SE_EEvSA_SG_RKT3_T4_EUlidE0_EEvlNS_15PhiloxCudaStateESF_SG_,comdat
	.globl	_ZN2at6native12_GLOBAL__N_143distribution_elementwise_grid_stride_kernelIdLi2EZNS0_9templates4cuda21uniform_and_transformIddPNS_17CUDAGeneratorImplEZZZNS4_16bernoulli_kernelIS7_EEvRNS_18TensorIteratorBaseEdT_ENKUlvE_clEvENKUlvE4_clEvEUldE_EEvSA_T1_T2_EUlP25hiprandStatePhilox4_32_10E0_ZNS1_27distribution_nullary_kernelIdd15HIP_vector_typeIfLj4EES7_SJ_SE_EEvSA_SG_RKT3_T4_EUlidE0_EEvlNS_15PhiloxCudaStateESF_SG_ ; -- Begin function _ZN2at6native12_GLOBAL__N_143distribution_elementwise_grid_stride_kernelIdLi2EZNS0_9templates4cuda21uniform_and_transformIddPNS_17CUDAGeneratorImplEZZZNS4_16bernoulli_kernelIS7_EEvRNS_18TensorIteratorBaseEdT_ENKUlvE_clEvENKUlvE4_clEvEUldE_EEvSA_T1_T2_EUlP25hiprandStatePhilox4_32_10E0_ZNS1_27distribution_nullary_kernelIdd15HIP_vector_typeIfLj4EES7_SJ_SE_EEvSA_SG_RKT3_T4_EUlidE0_EEvlNS_15PhiloxCudaStateESF_SG_
	.p2align	8
	.type	_ZN2at6native12_GLOBAL__N_143distribution_elementwise_grid_stride_kernelIdLi2EZNS0_9templates4cuda21uniform_and_transformIddPNS_17CUDAGeneratorImplEZZZNS4_16bernoulli_kernelIS7_EEvRNS_18TensorIteratorBaseEdT_ENKUlvE_clEvENKUlvE4_clEvEUldE_EEvSA_T1_T2_EUlP25hiprandStatePhilox4_32_10E0_ZNS1_27distribution_nullary_kernelIdd15HIP_vector_typeIfLj4EES7_SJ_SE_EEvSA_SG_RKT3_T4_EUlidE0_EEvlNS_15PhiloxCudaStateESF_SG_,@function
_ZN2at6native12_GLOBAL__N_143distribution_elementwise_grid_stride_kernelIdLi2EZNS0_9templates4cuda21uniform_and_transformIddPNS_17CUDAGeneratorImplEZZZNS4_16bernoulli_kernelIS7_EEvRNS_18TensorIteratorBaseEdT_ENKUlvE_clEvENKUlvE4_clEvEUldE_EEvSA_T1_T2_EUlP25hiprandStatePhilox4_32_10E0_ZNS1_27distribution_nullary_kernelIdd15HIP_vector_typeIfLj4EES7_SJ_SE_EEvSA_SG_RKT3_T4_EUlidE0_EEvlNS_15PhiloxCudaStateESF_SG_: ; @_ZN2at6native12_GLOBAL__N_143distribution_elementwise_grid_stride_kernelIdLi2EZNS0_9templates4cuda21uniform_and_transformIddPNS_17CUDAGeneratorImplEZZZNS4_16bernoulli_kernelIS7_EEvRNS_18TensorIteratorBaseEdT_ENKUlvE_clEvENKUlvE4_clEvEUldE_EEvSA_T1_T2_EUlP25hiprandStatePhilox4_32_10E0_ZNS1_27distribution_nullary_kernelIdd15HIP_vector_typeIfLj4EES7_SJ_SE_EEvSA_SG_RKT3_T4_EUlidE0_EEvlNS_15PhiloxCudaStateESF_SG_
; %bb.0:
	s_load_dword s2, s[4:5], 0x20
	s_load_dwordx2 s[0:1], s[4:5], 0x10
	s_load_dwordx4 s[24:27], s[4:5], 0x0
	s_waitcnt lgkmcnt(0)
	s_bitcmp0_b32 s2, 0
	s_mov_b32 s2, 0
	v_pk_mov_b32 v[2:3], s[0:1], s[0:1] op_sel:[0,1]
	v_pk_mov_b32 v[8:9], s[26:27], s[26:27] op_sel:[0,1]
	s_cbranch_scc1 .LBB144_2
; %bb.1:
	v_pk_mov_b32 v[2:3], s[0:1], s[0:1] op_sel:[0,1]
	flat_load_dwordx2 v[2:3], v[2:3]
	v_pk_mov_b32 v[4:5], s[26:27], s[26:27] op_sel:[0,1]
	flat_load_dwordx2 v[8:9], v[4:5]
	s_load_dwordx2 s[0:1], s[4:5], 0x18
	s_waitcnt lgkmcnt(0)
	v_mov_b32_e32 v1, s1
	s_waitcnt vmcnt(0)
	v_add_co_u32_e32 v2, vcc, s0, v2
	v_addc_co_u32_e32 v3, vcc, v3, v1, vcc
.LBB144_2:
	s_load_dword s0, s[4:5], 0x154
	s_load_dword s7, s[4:5], 0x148
	s_waitcnt lgkmcnt(0)
	s_and_b32 s8, s0, 0xffff
	s_add_u32 s9, s24, -1
	s_mul_i32 s33, s7, s8
	s_addc_u32 s3, s25, -1
	s_lshl_b32 s60, s33, 1
	s_cmp_lg_u64 s[2:3], 0
	s_mov_b64 s[0:1], -1
	s_cbranch_scc0 .LBB144_51
; %bb.3:
	v_cvt_f32_u32_e32 v1, s60
	v_cvt_f32_ubyte0_e32 v4, 0
	s_sub_u32 s2, 0, s60
	s_subb_u32 s10, 0, 0
	v_madmk_f32 v1, v4, 0x4f800000, v1
	v_rcp_f32_e32 v1, v1
	v_mul_f32_e32 v1, 0x5f7ffffc, v1
	v_mul_f32_e32 v4, 0x2f800000, v1
	v_trunc_f32_e32 v4, v4
	v_madmk_f32 v1, v4, 0xcf800000, v1
	v_cvt_u32_f32_e32 v4, v4
	v_cvt_u32_f32_e32 v1, v1
	v_readfirstlane_b32 s11, v4
	v_readfirstlane_b32 s12, v1
	s_mul_i32 s13, s2, s11
	s_mul_hi_u32 s15, s2, s12
	s_mul_i32 s14, s10, s12
	s_add_i32 s13, s15, s13
	s_add_i32 s13, s13, s14
	s_mul_i32 s16, s2, s12
	s_mul_hi_u32 s14, s12, s13
	s_mul_i32 s15, s12, s13
	s_mul_hi_u32 s12, s12, s16
	s_add_u32 s12, s12, s15
	s_addc_u32 s14, 0, s14
	s_mul_hi_u32 s17, s11, s16
	s_mul_i32 s16, s11, s16
	s_add_u32 s12, s12, s16
	s_mul_hi_u32 s15, s11, s13
	s_addc_u32 s12, s14, s17
	s_addc_u32 s14, s15, 0
	s_mul_i32 s13, s11, s13
	s_add_u32 s12, s12, s13
	s_addc_u32 s13, 0, s14
	v_add_co_u32_e32 v1, vcc, s12, v1
	s_cmp_lg_u64 vcc, 0
	s_addc_u32 s11, s11, s13
	v_readfirstlane_b32 s13, v1
	s_mul_i32 s12, s2, s11
	s_mul_hi_u32 s14, s2, s13
	s_add_i32 s12, s14, s12
	s_mul_i32 s10, s10, s13
	s_add_i32 s12, s12, s10
	s_mul_i32 s2, s2, s13
	s_mul_hi_u32 s14, s11, s2
	s_mul_i32 s15, s11, s2
	s_mul_i32 s17, s13, s12
	s_mul_hi_u32 s2, s13, s2
	s_mul_hi_u32 s16, s13, s12
	s_add_u32 s2, s2, s17
	s_addc_u32 s13, 0, s16
	s_add_u32 s2, s2, s15
	s_mul_hi_u32 s10, s11, s12
	s_addc_u32 s2, s13, s14
	s_addc_u32 s10, s10, 0
	s_mul_i32 s12, s11, s12
	s_add_u32 s2, s2, s12
	s_addc_u32 s10, 0, s10
	v_add_co_u32_e32 v1, vcc, s2, v1
	s_cmp_lg_u64 vcc, 0
	s_addc_u32 s12, s11, s10
	s_ashr_i32 s10, s3, 31
	s_add_u32 s2, s9, s10
	s_mov_b32 s11, s10
	s_addc_u32 s3, s3, s10
	s_xor_b64 s[2:3], s[2:3], s[10:11]
	v_readfirstlane_b32 s15, v1
	s_mul_i32 s14, s2, s12
	s_mul_hi_u32 s16, s2, s15
	s_mul_hi_u32 s13, s2, s12
	s_add_u32 s14, s16, s14
	s_addc_u32 s13, 0, s13
	s_mul_hi_u32 s17, s3, s15
	s_mul_i32 s15, s3, s15
	s_add_u32 s14, s14, s15
	s_mul_hi_u32 s16, s3, s12
	s_addc_u32 s13, s13, s17
	s_addc_u32 s14, s16, 0
	s_mul_i32 s12, s3, s12
	s_add_u32 s12, s13, s12
	s_addc_u32 s13, 0, s14
	s_add_u32 s14, s12, 1
	s_addc_u32 s15, s13, 0
	s_add_u32 s16, s12, 2
	s_mul_i32 s18, s60, s13
	s_mul_hi_u32 s19, s60, s12
	s_addc_u32 s17, s13, 0
	s_add_i32 s19, s19, s18
	s_mul_i32 s18, s60, s12
	v_mov_b32_e32 v1, s18
	v_sub_co_u32_e32 v1, vcc, s2, v1
	s_cmp_lg_u64 vcc, 0
	s_subb_u32 s2, s3, s19
	v_subrev_co_u32_e32 v4, vcc, s60, v1
	s_cmp_lg_u64 vcc, 0
	s_subb_u32 s3, s2, 0
	v_readfirstlane_b32 s18, v4
	s_cmp_ge_u32 s18, s60
	s_cselect_b32 s18, -1, 0
	s_cmp_eq_u32 s3, 0
	s_cselect_b32 s3, s18, -1
	s_cmp_lg_u32 s3, 0
	s_cselect_b32 s3, s17, s15
	v_readfirstlane_b32 s15, v1
	s_cselect_b32 s14, s16, s14
	s_cmp_ge_u32 s15, s60
	s_cselect_b32 s15, -1, 0
	s_cmp_eq_u32 s2, 0
	s_cselect_b32 s2, s15, -1
	s_cmp_lg_u32 s2, 0
	s_cselect_b32 s3, s3, s13
	s_cselect_b32 s2, s14, s12
	s_xor_b64 s[2:3], s[2:3], s[10:11]
	s_sub_u32 s2, s2, s10
	s_subb_u32 s3, s3, s10
	s_cbranch_execnz .LBB144_5
.LBB144_4:
	v_cvt_f32_u32_e32 v1, s60
	s_sub_i32 s0, 0, s60
	s_mov_b32 s3, 0
	v_rcp_iflag_f32_e32 v1, v1
	v_mul_f32_e32 v1, 0x4f7ffffe, v1
	v_cvt_u32_f32_e32 v1, v1
	v_readfirstlane_b32 s1, v1
	s_mul_i32 s0, s0, s1
	s_mul_hi_u32 s0, s1, s0
	s_add_i32 s1, s1, s0
	s_mul_hi_u32 s0, s9, s1
	s_mul_i32 s2, s0, s60
	s_sub_i32 s2, s9, s2
	s_add_i32 s1, s0, 1
	s_sub_i32 s9, s2, s60
	s_cmp_ge_u32 s2, s60
	s_cselect_b32 s0, s1, s0
	s_cselect_b32 s2, s9, s2
	s_add_i32 s1, s0, 1
	s_cmp_ge_u32 s2, s60
	s_cselect_b32 s2, s1, s0
.LBB144_5:
	v_mov_b32_e32 v10, 0
	v_mov_b32_e32 v1, v10
	;; [unrolled: 1-line block ×3, first 2 shown]
	v_mad_u64_u32 v[12:13], s[0:1], s8, v4, v[0:1]
	s_add_u32 s0, s2, 1
	s_addc_u32 s1, s3, 0
	s_mul_hi_u32 s2, s7, s8
	s_mul_i32 s1, s33, s1
	s_mul_hi_u32 s3, s33, s0
	s_add_i32 s1, s3, s1
	s_mul_i32 s2, s2, s0
	s_add_i32 s1, s1, s2
	s_mul_i32 s0, s33, s0
	s_lshl_b64 s[26:27], s[0:1], 1
	v_cmp_gt_i64_e32 vcc, s[26:27], v[12:13]
	s_and_saveexec_b64 s[0:1], vcc
	s_cbranch_execz .LBB144_50
; %bb.6:
	s_mov_b32 s0, 0x5384540f
	v_mov_b32_e32 v0, v9
	v_add_co_u32_e32 v22, vcc, s0, v8
	s_mov_b32 s0, 0x646e171e
	v_add_co_u32_e32 v23, vcc, s0, v0
	s_mov_b32 s0, 0x1715609d
	;; [unrolled: 2-line block ×6, first 2 shown]
	v_alignbit_b32 v29, v3, v2, 2
	s_mov_b32 s62, 0xd2511f53
	v_add_co_u32_e32 v28, vcc, s0, v8
	v_mad_u64_u32 v[4:5], s[0:1], v29, s62, 0
	v_xor_b32_e32 v1, v5, v9
	v_xor_b32_e32 v1, v1, v13
	s_mov_b32 s63, 0xcd9e8d57
	v_mad_u64_u32 v[6:7], s[0:1], v1, s63, 0
	v_xor_b32_e32 v1, v28, v7
	v_mad_u64_u32 v[14:15], s[0:1], v12, s63, 0
	v_and_b32_e32 v18, 3, v2
	v_xor_b32_e32 v1, v1, v14
	v_xor_b32_e32 v2, v8, v15
	v_lshrrev_b32_e32 v30, 2, v3
	v_mad_u64_u32 v[16:17], s[0:1], v1, s62, 0
	v_xor_b32_e32 v2, v2, v30
	v_xor_b32_e32 v1, v27, v17
	v_mad_u64_u32 v[2:3], s[0:1], v2, s62, 0
	v_xor_b32_e32 v1, v1, v2
	v_mad_u64_u32 v[14:15], s[0:1], v1, s63, 0
	s_mov_b32 s0, 0xbb67ae85
	v_add_co_u32_e32 v31, vcc, s0, v0
	v_xor_b32_e32 v2, v31, v3
	v_xor_b32_e32 v2, v2, v4
	v_xor_b32_e32 v1, v26, v15
	v_mad_u64_u32 v[2:3], s[0:1], v2, s63, 0
	v_xor_b32_e32 v1, v1, v2
	v_mad_u64_u32 v[4:5], s[0:1], v1, s62, 0
	s_mov_b32 s0, 0x3c6ef372
	v_add_co_u32_e32 v32, vcc, s0, v8
	v_xor_b32_e32 v2, v32, v3
	;; [unrolled: 8-line block ×6, first 2 shown]
	v_add_co_u32_e32 v21, vcc, 0xdb3d7428, v0
	v_xor_b32_e32 v2, v2, v6
	v_xor_b32_e32 v1, v21, v5
	v_mad_u64_u32 v[2:3], s[0:1], v2, s62, 0
	v_xor_b32_e32 v1, v1, v2
	v_mad_u64_u32 v[6:7], s[0:1], v1, s63, 0
	s_mov_b32 s0, 0x1fd5c5a3
	v_add_co_u32_e32 v37, vcc, s0, v0
	v_xor_b32_e32 v0, v37, v3
	v_xor_b32_e32 v0, v0, v16
	v_mad_u64_u32 v[0:1], s[0:1], v0, s63, 0
	s_mov_b32 s0, 0xf1bbcdc8
	s_load_dwordx8 s[8:15], s[4:5], 0x30
	v_add_co_u32_e32 v38, vcc, s0, v8
	v_xor_b32_e32 v1, v38, v1
	v_xor_b32_e32 v1, v1, v14
	s_add_u32 s34, s4, 48
	v_mad_u64_u32 v[14:15], s[0:1], v1, s62, 0
	s_addc_u32 s35, s5, 0
	s_waitcnt lgkmcnt(0)
	s_add_i32 s0, s8, -1
	s_cmp_gt_u32 s0, 1
	s_cselect_b64 s[40:41], -1, 0
	s_cmp_lg_u32 s8, 0
	s_cselect_b64 s[42:43], -1, 0
	s_add_u32 s44, s4, 0xf4
	s_addc_u32 s45, s5, 0
	s_min_u32 s1, s0, 15
	s_cmp_gt_u32 s8, 1
	s_cselect_b64 s[46:47], -1, 0
	s_add_i32 s1, s1, 1
	s_mov_b32 s8, s13
	s_load_dwordx2 s[48:49], s[4:5], 0xf4
	s_load_dwordx4 s[28:31], s[4:5], 0x138
	s_and_b32 s13, s1, 3
	s_cmp_lg_u32 s0, 2
	s_cselect_b64 s[50:51], -1, 0
	s_and_b32 s15, s1, 28
	v_add_u32_e32 v19, 0x8ff34781, v8
	v_add_u32_e32 v20, 0x96a522ad, v9
	v_xor_b32_e32 v0, v7, v0
	v_xor_b32_e32 v1, v15, v4
	s_cmp_lg_u32 s13, 0
	s_mov_b32 s61, 0
	v_xor_b32_e32 v0, v19, v0
	v_xor_b32_e32 v2, v20, v1
	v_mov_b32_e32 v1, v6
	v_mov_b32_e32 v3, v14
	s_mov_b64 s[52:53], 0
	s_cselect_b64 s[54:55], -1, 0
	v_mov_b32_e32 v39, 0x3ff00000
	v_mov_b32_e32 v40, v12
	;; [unrolled: 1-line block ×3, first 2 shown]
	s_branch .LBB144_9
.LBB144_7:                              ;   in Loop: Header=BB144_9 Depth=1
	v_cvt_f32_u32_e32 v0, v1
	v_mov_b32_e32 v1, 0x2f800000
	v_fmac_f32_e32 v1, 0x2f800000, v0
	v_cvt_f64_f32_e32 v[0:1], v1
	s_waitcnt lgkmcnt(0)
	v_cmp_gt_f64_e32 vcc, s[30:31], v[0:1]
	v_cndmask_b32_e32 v11, 0, v39, vcc
	global_store_dwordx2 v16, v[10:11], s[28:29]
.LBB144_8:                              ;   in Loop: Header=BB144_9 Depth=1
	s_or_b64 exec, exec, s[36:37]
	v_add_co_u32_e32 v12, vcc, s60, v12
	v_addc_co_u32_e32 v13, vcc, 0, v13, vcc
	v_mov_b32_e32 v7, v14
	v_cmp_le_i64_e32 vcc, s[26:27], v[12:13]
	v_pk_mov_b32 v[0:1], v[4:5], v[4:5] op_sel:[0,1]
	s_or_b64 s[52:53], vcc, s[52:53]
	v_pk_mov_b32 v[2:3], v[6:7], v[6:7] op_sel:[0,1]
	s_waitcnt lgkmcnt(0)
	s_barrier
	s_andn2_b64 exec, exec, s[52:53]
	s_cbranch_execz .LBB144_50
.LBB144_9:                              ; =>This Loop Header: Depth=1
                                        ;     Child Loop BB144_24 Depth 2
                                        ;     Child Loop BB144_30 Depth 2
	;; [unrolled: 1-line block ×4, first 2 shown]
	v_add_co_u32_e32 v29, vcc, 1, v29
	v_cndmask_b32_e64 v4, 0, 1, vcc
	v_addc_co_u32_e32 v30, vcc, 0, v30, vcc
	v_cmp_eq_u32_e32 vcc, 0, v30
	v_cndmask_b32_e32 v4, 0, v4, vcc
	v_add_u32_e32 v40, v4, v40
	v_cmp_eq_u32_e32 vcc, 0, v40
	v_cndmask_b32_e32 v4, 0, v4, vcc
	v_add_u32_e32 v41, v4, v41
	v_mad_u64_u32 v[4:5], s[0:1], v29, s62, 0
	v_mad_u64_u32 v[6:7], s[0:1], v40, s63, 0
	v_xor_b32_e32 v5, v5, v9
	v_xor_b32_e32 v7, v7, v8
	v_xor_b32_e32 v5, v41, v5
	v_xor_b32_e32 v7, v30, v7
	v_mad_u64_u32 v[16:17], s[0:1], v5, s63, 0
	v_mad_u64_u32 v[14:15], s[0:1], v7, s62, 0
	v_xor_b32_e32 v5, v28, v17
	v_xor_b32_e32 v5, v5, v6
	v_xor_b32_e32 v6, v31, v15
	v_xor_b32_e32 v6, v6, v4
	;; [unrolled: 6-line block ×10, first 2 shown]
	v_mov_b32_e32 v5, v16
	v_cmp_lt_i32_e32 vcc, 1, v18
	s_and_saveexec_b64 s[0:1], vcc
	s_xor_b64 s[0:1], exec, s[0:1]
	s_cbranch_execz .LBB144_15
; %bb.10:                               ;   in Loop: Header=BB144_9 Depth=1
	v_cmp_lt_i32_e32 vcc, 2, v18
	s_and_saveexec_b64 s[2:3], vcc
	s_xor_b64 s[2:3], exec, s[2:3]
; %bb.11:                               ;   in Loop: Header=BB144_9 Depth=1
	v_mov_b32_e32 v0, v3
	v_mov_b32_e32 v1, v4
; %bb.12:                               ;   in Loop: Header=BB144_9 Depth=1
	s_andn2_saveexec_b64 s[2:3], s[2:3]
; %bb.13:                               ;   in Loop: Header=BB144_9 Depth=1
	v_mov_b32_e32 v0, v2
	v_mov_b32_e32 v1, v3
; %bb.14:                               ;   in Loop: Header=BB144_9 Depth=1
	s_or_b64 exec, exec, s[2:3]
.LBB144_15:                             ;   in Loop: Header=BB144_9 Depth=1
	s_andn2_saveexec_b64 s[0:1], s[0:1]
	s_cbranch_execz .LBB144_19
; %bb.16:                               ;   in Loop: Header=BB144_9 Depth=1
	v_cmp_eq_u32_e32 vcc, 1, v18
	s_and_saveexec_b64 s[2:3], vcc
; %bb.17:                               ;   in Loop: Header=BB144_9 Depth=1
	v_mov_b32_e32 v0, v1
	v_mov_b32_e32 v1, v2
; %bb.18:                               ;   in Loop: Header=BB144_9 Depth=1
	s_or_b64 exec, exec, s[2:3]
.LBB144_19:                             ;   in Loop: Header=BB144_9 Depth=1
	s_or_b64 exec, exec, s[0:1]
	v_cndmask_b32_e64 v2, 0, 1, s[40:41]
	v_cmp_gt_i64_e32 vcc, s[24:25], v[12:13]
	v_cmp_ne_u32_e64 s[0:1], 1, v2
	s_and_saveexec_b64 s[2:3], vcc
	s_cbranch_execz .LBB144_35
; %bb.20:                               ;   in Loop: Header=BB144_9 Depth=1
	s_and_b64 vcc, exec, s[0:1]
	s_cbranch_vccnz .LBB144_26
; %bb.21:                               ;   in Loop: Header=BB144_9 Depth=1
	s_andn2_b64 vcc, exec, s[42:43]
	s_cbranch_vccnz .LBB144_27
; %bb.22:                               ;   in Loop: Header=BB144_9 Depth=1
	s_mov_b32 s6, 0
	s_andn2_b64 vcc, exec, s[50:51]
	v_mov_b32_e32 v2, 0
	s_cbranch_vccnz .LBB144_28
; %bb.23:                               ;   in Loop: Header=BB144_9 Depth=1
	s_mov_b32 s64, 0
	v_mov_b32_e32 v2, 0
	s_mov_b64 s[56:57], s[34:35]
	s_mov_b64 s[58:59], s[44:45]
	v_mov_b32_e32 v7, v12
.LBB144_24:                             ;   Parent Loop BB144_9 Depth=1
                                        ; =>  This Inner Loop Header: Depth=2
	s_load_dwordx8 s[16:23], s[56:57], 0x4
	s_load_dwordx4 s[4:7], s[56:57], 0x24
	s_load_dwordx4 s[36:39], s[58:59], 0x0
	s_add_u32 s56, s56, 48
	s_addc_u32 s57, s57, 0
	s_waitcnt lgkmcnt(0)
	v_mul_hi_u32 v3, s17, v7
	v_add_u32_e32 v3, v7, v3
	v_lshrrev_b32_e32 v3, s18, v3
	v_mul_lo_u32 v11, v3, s16
	v_mul_hi_u32 v15, s20, v3
	v_sub_u32_e32 v7, v7, v11
	v_add_u32_e32 v11, v3, v15
	v_lshrrev_b32_e32 v11, s21, v11
	v_mul_lo_u32 v15, v11, s19
	v_mul_hi_u32 v16, s23, v11
	v_sub_u32_e32 v3, v3, v15
	v_add_u32_e32 v15, v11, v16
	v_mul_lo_u32 v7, v7, s36
	v_mul_lo_u32 v3, v3, s37
	v_lshrrev_b32_e32 v15, s4, v15
	v_add3_u32 v2, v7, v2, v3
	v_mul_hi_u32 v7, s6, v15
	v_add_u32_e32 v7, v15, v7
	v_mul_lo_u32 v3, v15, s22
	v_lshrrev_b32_e32 v7, s7, v7
	s_add_i32 s64, s64, 4
	v_sub_u32_e32 v3, v11, v3
	v_mul_lo_u32 v11, v7, s5
	s_add_u32 s58, s58, 16
	v_sub_u32_e32 v11, v15, v11
	s_addc_u32 s59, s59, 0
	v_mul_lo_u32 v3, v3, s38
	v_mul_lo_u32 v11, v11, s39
	s_cmp_lg_u32 s15, s64
	v_add3_u32 v2, v3, v2, v11
	s_cbranch_scc1 .LBB144_24
; %bb.25:                               ;   in Loop: Header=BB144_9 Depth=1
	s_mov_b32 s6, s15
	s_andn2_b64 vcc, exec, s[54:55]
	s_cbranch_vccz .LBB144_29
	s_branch .LBB144_31
.LBB144_26:                             ;   in Loop: Header=BB144_9 Depth=1
                                        ; implicit-def: $vgpr2
	s_branch .LBB144_32
.LBB144_27:                             ;   in Loop: Header=BB144_9 Depth=1
	v_mov_b32_e32 v2, 0
	s_branch .LBB144_31
.LBB144_28:                             ;   in Loop: Header=BB144_9 Depth=1
	v_mov_b32_e32 v7, v12
	s_andn2_b64 vcc, exec, s[54:55]
	s_cbranch_vccnz .LBB144_31
.LBB144_29:                             ;   in Loop: Header=BB144_9 Depth=1
	s_lshl_b32 s4, s6, 2
	s_add_u32 s4, s44, s4
	s_addc_u32 s5, s45, 0
	s_mul_i32 s6, s6, 12
	s_add_u32 s6, s34, s6
	s_addc_u32 s7, s35, 0
	s_mov_b32 s16, s13
.LBB144_30:                             ;   Parent Loop BB144_9 Depth=1
                                        ; =>  This Inner Loop Header: Depth=2
	s_load_dwordx2 s[18:19], s[6:7], 0x4
	s_load_dword s17, s[6:7], 0xc
	s_load_dword s20, s[4:5], 0x0
	s_add_u32 s6, s6, 12
	s_addc_u32 s7, s7, 0
	s_waitcnt lgkmcnt(0)
	v_mul_hi_u32 v3, s19, v7
	v_add_u32_e32 v3, v7, v3
	v_lshrrev_b32_e32 v3, s17, v3
	s_add_u32 s4, s4, 4
	v_mul_lo_u32 v11, v3, s18
	s_addc_u32 s5, s5, 0
	s_add_i32 s16, s16, -1
	v_sub_u32_e32 v11, v7, v11
	s_cmp_lg_u32 s16, 0
	v_mov_b32_e32 v7, v3
	v_mad_u64_u32 v[2:3], s[18:19], v11, s20, v[2:3]
	s_cbranch_scc1 .LBB144_30
.LBB144_31:                             ;   in Loop: Header=BB144_9 Depth=1
	s_cbranch_execnz .LBB144_34
.LBB144_32:                             ;   in Loop: Header=BB144_9 Depth=1
	v_mul_hi_u32 v2, v12, s10
	v_add_u32_e32 v2, v2, v12
	v_lshrrev_b32_e32 v3, s11, v2
	v_mul_lo_u32 v2, v3, s9
	v_sub_u32_e32 v2, v12, v2
	s_andn2_b64 vcc, exec, s[46:47]
	s_waitcnt lgkmcnt(0)
	v_mul_lo_u32 v2, v2, s48
	s_cbranch_vccnz .LBB144_34
; %bb.33:                               ;   in Loop: Header=BB144_9 Depth=1
	v_mul_hi_u32 v7, s8, v3
	v_add_u32_e32 v7, v3, v7
	v_lshrrev_b32_e32 v7, s14, v7
	v_mul_lo_u32 v7, v7, s12
	v_sub_u32_e32 v3, v3, v7
	v_mad_u64_u32 v[2:3], s[4:5], v3, s49, v[2:3]
.LBB144_34:                             ;   in Loop: Header=BB144_9 Depth=1
	v_cvt_f32_u32_e32 v0, v0
	v_mov_b32_e32 v3, 0x2f800000
	v_fmac_f32_e32 v3, 0x2f800000, v0
	v_cvt_f64_f32_e32 v[16:17], v3
	s_waitcnt lgkmcnt(0)
	v_cmp_gt_f64_e32 vcc, s[30:31], v[16:17]
	v_cndmask_b32_e32 v11, 0, v39, vcc
	global_store_dwordx2 v2, v[10:11], s[28:29]
.LBB144_35:                             ;   in Loop: Header=BB144_9 Depth=1
	s_or_b64 exec, exec, s[2:3]
	v_mov_b32_e32 v0, s61
	v_add_co_u32_e32 v2, vcc, s33, v12
	v_addc_co_u32_e32 v3, vcc, v13, v0, vcc
	v_cmp_gt_i64_e32 vcc, s[24:25], v[2:3]
	s_and_saveexec_b64 s[36:37], vcc
	s_cbranch_execz .LBB144_8
; %bb.36:                               ;   in Loop: Header=BB144_9 Depth=1
	s_and_b64 vcc, exec, s[0:1]
	s_cbranch_vccnz .LBB144_42
; %bb.37:                               ;   in Loop: Header=BB144_9 Depth=1
	s_andn2_b64 vcc, exec, s[42:43]
	s_cbranch_vccnz .LBB144_43
; %bb.38:                               ;   in Loop: Header=BB144_9 Depth=1
	s_mov_b32 s2, 0
	s_andn2_b64 vcc, exec, s[50:51]
	v_mov_b32_e32 v16, 0
	s_cbranch_vccnz .LBB144_44
; %bb.39:                               ;   in Loop: Header=BB144_9 Depth=1
	s_mov_b32 s58, 0
	v_mov_b32_e32 v16, 0
	s_mov_b64 s[38:39], s[34:35]
	s_mov_b64 s[56:57], s[44:45]
	v_mov_b32_e32 v0, v2
.LBB144_40:                             ;   Parent Loop BB144_9 Depth=1
                                        ; =>  This Inner Loop Header: Depth=2
	s_load_dwordx8 s[0:7], s[38:39], 0x4
	s_load_dwordx4 s[16:19], s[38:39], 0x24
	s_load_dwordx4 s[20:23], s[56:57], 0x0
	s_add_u32 s38, s38, 48
	s_addc_u32 s39, s39, 0
	s_waitcnt lgkmcnt(0)
	v_mul_hi_u32 v3, s1, v0
	v_add_u32_e32 v3, v0, v3
	v_lshrrev_b32_e32 v3, s2, v3
	v_mul_lo_u32 v7, v3, s0
	v_mul_hi_u32 v11, s4, v3
	v_sub_u32_e32 v0, v0, v7
	v_add_u32_e32 v7, v3, v11
	v_lshrrev_b32_e32 v7, s5, v7
	v_mul_lo_u32 v11, v7, s3
	v_mul_hi_u32 v15, s7, v7
	v_sub_u32_e32 v3, v3, v11
	v_add_u32_e32 v11, v7, v15
	v_mul_lo_u32 v0, v0, s20
	v_mul_lo_u32 v3, v3, s21
	v_lshrrev_b32_e32 v11, s16, v11
	v_add3_u32 v3, v0, v16, v3
	v_mul_lo_u32 v0, v11, s6
	v_mul_hi_u32 v15, s18, v11
	v_sub_u32_e32 v0, v7, v0
	v_add_u32_e32 v7, v11, v15
	v_mul_lo_u32 v15, v0, s22
	v_lshrrev_b32_e32 v0, s19, v7
	s_add_i32 s58, s58, 4
	v_mul_lo_u32 v7, v0, s17
	s_add_u32 s56, s56, 16
	v_sub_u32_e32 v7, v11, v7
	s_addc_u32 s57, s57, 0
	v_mul_lo_u32 v7, v7, s23
	s_cmp_eq_u32 s15, s58
	v_add3_u32 v16, v15, v3, v7
	s_cbranch_scc0 .LBB144_40
; %bb.41:                               ;   in Loop: Header=BB144_9 Depth=1
	s_mov_b32 s2, s15
	s_andn2_b64 vcc, exec, s[54:55]
	s_cbranch_vccz .LBB144_45
	s_branch .LBB144_47
.LBB144_42:                             ;   in Loop: Header=BB144_9 Depth=1
                                        ; implicit-def: $vgpr16
	s_branch .LBB144_48
.LBB144_43:                             ;   in Loop: Header=BB144_9 Depth=1
	v_mov_b32_e32 v16, 0
	s_branch .LBB144_47
.LBB144_44:                             ;   in Loop: Header=BB144_9 Depth=1
	v_mov_b32_e32 v0, v2
	s_andn2_b64 vcc, exec, s[54:55]
	s_cbranch_vccnz .LBB144_47
.LBB144_45:                             ;   in Loop: Header=BB144_9 Depth=1
	s_lshl_b32 s0, s2, 2
	s_add_u32 s0, s44, s0
	s_addc_u32 s1, s45, 0
	s_mul_i32 s2, s2, 12
	s_add_u32 s2, s34, s2
	s_addc_u32 s3, s35, 0
	s_mov_b32 s4, s13
.LBB144_46:                             ;   Parent Loop BB144_9 Depth=1
                                        ; =>  This Inner Loop Header: Depth=2
	s_load_dwordx2 s[6:7], s[2:3], 0x4
	s_load_dword s5, s[2:3], 0xc
	s_load_dword s16, s[0:1], 0x0
	s_add_u32 s2, s2, 12
	s_addc_u32 s3, s3, 0
	s_waitcnt lgkmcnt(0)
	v_mul_hi_u32 v3, s7, v0
	v_add_u32_e32 v3, v0, v3
	v_lshrrev_b32_e32 v3, s5, v3
	s_add_u32 s0, s0, 4
	v_mul_lo_u32 v7, v3, s6
	s_addc_u32 s1, s1, 0
	s_add_i32 s4, s4, -1
	v_sub_u32_e32 v7, v0, v7
	s_cmp_lg_u32 s4, 0
	v_mov_b32_e32 v0, v3
	v_mad_u64_u32 v[16:17], s[6:7], v7, s16, v[16:17]
	s_cbranch_scc1 .LBB144_46
.LBB144_47:                             ;   in Loop: Header=BB144_9 Depth=1
	s_cbranch_execnz .LBB144_7
.LBB144_48:                             ;   in Loop: Header=BB144_9 Depth=1
	v_mul_hi_u32 v0, v2, s10
	v_add_u32_e32 v0, v0, v2
	v_lshrrev_b32_e32 v0, s11, v0
	v_mul_lo_u32 v3, v0, s9
	v_sub_u32_e32 v2, v2, v3
	s_andn2_b64 vcc, exec, s[46:47]
	s_waitcnt lgkmcnt(0)
	v_mul_lo_u32 v16, v2, s48
	s_cbranch_vccnz .LBB144_7
; %bb.49:                               ;   in Loop: Header=BB144_9 Depth=1
	v_mul_hi_u32 v2, s8, v0
	v_add_u32_e32 v2, v0, v2
	v_lshrrev_b32_e32 v2, s14, v2
	v_mul_lo_u32 v2, v2, s12
	v_sub_u32_e32 v0, v0, v2
	v_mad_u64_u32 v[16:17], s[0:1], v0, s49, v[16:17]
	s_branch .LBB144_7
.LBB144_50:
	s_endpgm
.LBB144_51:
                                        ; implicit-def: $sgpr2_sgpr3
	s_andn2_b64 vcc, exec, s[0:1]
	s_cbranch_vccz .LBB144_4
	s_branch .LBB144_5
	.section	.rodata,"a",@progbits
	.p2align	6, 0x0
	.amdhsa_kernel _ZN2at6native12_GLOBAL__N_143distribution_elementwise_grid_stride_kernelIdLi2EZNS0_9templates4cuda21uniform_and_transformIddPNS_17CUDAGeneratorImplEZZZNS4_16bernoulli_kernelIS7_EEvRNS_18TensorIteratorBaseEdT_ENKUlvE_clEvENKUlvE4_clEvEUldE_EEvSA_T1_T2_EUlP25hiprandStatePhilox4_32_10E0_ZNS1_27distribution_nullary_kernelIdd15HIP_vector_typeIfLj4EES7_SJ_SE_EEvSA_SG_RKT3_T4_EUlidE0_EEvlNS_15PhiloxCudaStateESF_SG_
		.amdhsa_group_segment_fixed_size 0
		.amdhsa_private_segment_fixed_size 0
		.amdhsa_kernarg_size 584
		.amdhsa_user_sgpr_count 6
		.amdhsa_user_sgpr_private_segment_buffer 1
		.amdhsa_user_sgpr_dispatch_ptr 0
		.amdhsa_user_sgpr_queue_ptr 0
		.amdhsa_user_sgpr_kernarg_segment_ptr 1
		.amdhsa_user_sgpr_dispatch_id 0
		.amdhsa_user_sgpr_flat_scratch_init 0
		.amdhsa_user_sgpr_kernarg_preload_length 0
		.amdhsa_user_sgpr_kernarg_preload_offset 0
		.amdhsa_user_sgpr_private_segment_size 0
		.amdhsa_uses_dynamic_stack 0
		.amdhsa_system_sgpr_private_segment_wavefront_offset 0
		.amdhsa_system_sgpr_workgroup_id_x 1
		.amdhsa_system_sgpr_workgroup_id_y 0
		.amdhsa_system_sgpr_workgroup_id_z 0
		.amdhsa_system_sgpr_workgroup_info 0
		.amdhsa_system_vgpr_workitem_id 0
		.amdhsa_next_free_vgpr 42
		.amdhsa_next_free_sgpr 65
		.amdhsa_accum_offset 44
		.amdhsa_reserve_vcc 1
		.amdhsa_reserve_flat_scratch 0
		.amdhsa_float_round_mode_32 0
		.amdhsa_float_round_mode_16_64 0
		.amdhsa_float_denorm_mode_32 3
		.amdhsa_float_denorm_mode_16_64 3
		.amdhsa_dx10_clamp 1
		.amdhsa_ieee_mode 1
		.amdhsa_fp16_overflow 0
		.amdhsa_tg_split 0
		.amdhsa_exception_fp_ieee_invalid_op 0
		.amdhsa_exception_fp_denorm_src 0
		.amdhsa_exception_fp_ieee_div_zero 0
		.amdhsa_exception_fp_ieee_overflow 0
		.amdhsa_exception_fp_ieee_underflow 0
		.amdhsa_exception_fp_ieee_inexact 0
		.amdhsa_exception_int_div_zero 0
	.end_amdhsa_kernel
	.section	.text._ZN2at6native12_GLOBAL__N_143distribution_elementwise_grid_stride_kernelIdLi2EZNS0_9templates4cuda21uniform_and_transformIddPNS_17CUDAGeneratorImplEZZZNS4_16bernoulli_kernelIS7_EEvRNS_18TensorIteratorBaseEdT_ENKUlvE_clEvENKUlvE4_clEvEUldE_EEvSA_T1_T2_EUlP25hiprandStatePhilox4_32_10E0_ZNS1_27distribution_nullary_kernelIdd15HIP_vector_typeIfLj4EES7_SJ_SE_EEvSA_SG_RKT3_T4_EUlidE0_EEvlNS_15PhiloxCudaStateESF_SG_,"axG",@progbits,_ZN2at6native12_GLOBAL__N_143distribution_elementwise_grid_stride_kernelIdLi2EZNS0_9templates4cuda21uniform_and_transformIddPNS_17CUDAGeneratorImplEZZZNS4_16bernoulli_kernelIS7_EEvRNS_18TensorIteratorBaseEdT_ENKUlvE_clEvENKUlvE4_clEvEUldE_EEvSA_T1_T2_EUlP25hiprandStatePhilox4_32_10E0_ZNS1_27distribution_nullary_kernelIdd15HIP_vector_typeIfLj4EES7_SJ_SE_EEvSA_SG_RKT3_T4_EUlidE0_EEvlNS_15PhiloxCudaStateESF_SG_,comdat
.Lfunc_end144:
	.size	_ZN2at6native12_GLOBAL__N_143distribution_elementwise_grid_stride_kernelIdLi2EZNS0_9templates4cuda21uniform_and_transformIddPNS_17CUDAGeneratorImplEZZZNS4_16bernoulli_kernelIS7_EEvRNS_18TensorIteratorBaseEdT_ENKUlvE_clEvENKUlvE4_clEvEUldE_EEvSA_T1_T2_EUlP25hiprandStatePhilox4_32_10E0_ZNS1_27distribution_nullary_kernelIdd15HIP_vector_typeIfLj4EES7_SJ_SE_EEvSA_SG_RKT3_T4_EUlidE0_EEvlNS_15PhiloxCudaStateESF_SG_, .Lfunc_end144-_ZN2at6native12_GLOBAL__N_143distribution_elementwise_grid_stride_kernelIdLi2EZNS0_9templates4cuda21uniform_and_transformIddPNS_17CUDAGeneratorImplEZZZNS4_16bernoulli_kernelIS7_EEvRNS_18TensorIteratorBaseEdT_ENKUlvE_clEvENKUlvE4_clEvEUldE_EEvSA_T1_T2_EUlP25hiprandStatePhilox4_32_10E0_ZNS1_27distribution_nullary_kernelIdd15HIP_vector_typeIfLj4EES7_SJ_SE_EEvSA_SG_RKT3_T4_EUlidE0_EEvlNS_15PhiloxCudaStateESF_SG_
                                        ; -- End function
	.section	.AMDGPU.csdata,"",@progbits
; Kernel info:
; codeLenInByte = 3236
; NumSgprs: 69
; NumVgprs: 42
; NumAgprs: 0
; TotalNumVgprs: 42
; ScratchSize: 0
; MemoryBound: 0
; FloatMode: 240
; IeeeMode: 1
; LDSByteSize: 0 bytes/workgroup (compile time only)
; SGPRBlocks: 8
; VGPRBlocks: 5
; NumSGPRsForWavesPerEU: 69
; NumVGPRsForWavesPerEU: 42
; AccumOffset: 44
; Occupancy: 8
; WaveLimiterHint : 1
; COMPUTE_PGM_RSRC2:SCRATCH_EN: 0
; COMPUTE_PGM_RSRC2:USER_SGPR: 6
; COMPUTE_PGM_RSRC2:TRAP_HANDLER: 0
; COMPUTE_PGM_RSRC2:TGID_X_EN: 1
; COMPUTE_PGM_RSRC2:TGID_Y_EN: 0
; COMPUTE_PGM_RSRC2:TGID_Z_EN: 0
; COMPUTE_PGM_RSRC2:TIDIG_COMP_CNT: 0
; COMPUTE_PGM_RSRC3_GFX90A:ACCUM_OFFSET: 10
; COMPUTE_PGM_RSRC3_GFX90A:TG_SPLIT: 0
	.section	.text._ZN2at6native12_GLOBAL__N_143distribution_elementwise_grid_stride_kernelIfLi4EZNS0_9templates4cuda21uniform_and_transformIffPNS_17CUDAGeneratorImplEZZZNS4_16bernoulli_kernelIS7_EEvRNS_18TensorIteratorBaseEdT_ENKUlvE_clEvENKUlvE5_clEvEUlfE_EEvSA_T1_T2_EUlP25hiprandStatePhilox4_32_10E_ZNS1_27distribution_nullary_kernelIff15HIP_vector_typeIdLj2EES7_SJ_SE_EEvSA_SG_RKT3_T4_EUlifE_EEvlNS_15PhiloxCudaStateESF_SG_,"axG",@progbits,_ZN2at6native12_GLOBAL__N_143distribution_elementwise_grid_stride_kernelIfLi4EZNS0_9templates4cuda21uniform_and_transformIffPNS_17CUDAGeneratorImplEZZZNS4_16bernoulli_kernelIS7_EEvRNS_18TensorIteratorBaseEdT_ENKUlvE_clEvENKUlvE5_clEvEUlfE_EEvSA_T1_T2_EUlP25hiprandStatePhilox4_32_10E_ZNS1_27distribution_nullary_kernelIff15HIP_vector_typeIdLj2EES7_SJ_SE_EEvSA_SG_RKT3_T4_EUlifE_EEvlNS_15PhiloxCudaStateESF_SG_,comdat
	.globl	_ZN2at6native12_GLOBAL__N_143distribution_elementwise_grid_stride_kernelIfLi4EZNS0_9templates4cuda21uniform_and_transformIffPNS_17CUDAGeneratorImplEZZZNS4_16bernoulli_kernelIS7_EEvRNS_18TensorIteratorBaseEdT_ENKUlvE_clEvENKUlvE5_clEvEUlfE_EEvSA_T1_T2_EUlP25hiprandStatePhilox4_32_10E_ZNS1_27distribution_nullary_kernelIff15HIP_vector_typeIdLj2EES7_SJ_SE_EEvSA_SG_RKT3_T4_EUlifE_EEvlNS_15PhiloxCudaStateESF_SG_ ; -- Begin function _ZN2at6native12_GLOBAL__N_143distribution_elementwise_grid_stride_kernelIfLi4EZNS0_9templates4cuda21uniform_and_transformIffPNS_17CUDAGeneratorImplEZZZNS4_16bernoulli_kernelIS7_EEvRNS_18TensorIteratorBaseEdT_ENKUlvE_clEvENKUlvE5_clEvEUlfE_EEvSA_T1_T2_EUlP25hiprandStatePhilox4_32_10E_ZNS1_27distribution_nullary_kernelIff15HIP_vector_typeIdLj2EES7_SJ_SE_EEvSA_SG_RKT3_T4_EUlifE_EEvlNS_15PhiloxCudaStateESF_SG_
	.p2align	8
	.type	_ZN2at6native12_GLOBAL__N_143distribution_elementwise_grid_stride_kernelIfLi4EZNS0_9templates4cuda21uniform_and_transformIffPNS_17CUDAGeneratorImplEZZZNS4_16bernoulli_kernelIS7_EEvRNS_18TensorIteratorBaseEdT_ENKUlvE_clEvENKUlvE5_clEvEUlfE_EEvSA_T1_T2_EUlP25hiprandStatePhilox4_32_10E_ZNS1_27distribution_nullary_kernelIff15HIP_vector_typeIdLj2EES7_SJ_SE_EEvSA_SG_RKT3_T4_EUlifE_EEvlNS_15PhiloxCudaStateESF_SG_,@function
_ZN2at6native12_GLOBAL__N_143distribution_elementwise_grid_stride_kernelIfLi4EZNS0_9templates4cuda21uniform_and_transformIffPNS_17CUDAGeneratorImplEZZZNS4_16bernoulli_kernelIS7_EEvRNS_18TensorIteratorBaseEdT_ENKUlvE_clEvENKUlvE5_clEvEUlfE_EEvSA_T1_T2_EUlP25hiprandStatePhilox4_32_10E_ZNS1_27distribution_nullary_kernelIff15HIP_vector_typeIdLj2EES7_SJ_SE_EEvSA_SG_RKT3_T4_EUlifE_EEvlNS_15PhiloxCudaStateESF_SG_: ; @_ZN2at6native12_GLOBAL__N_143distribution_elementwise_grid_stride_kernelIfLi4EZNS0_9templates4cuda21uniform_and_transformIffPNS_17CUDAGeneratorImplEZZZNS4_16bernoulli_kernelIS7_EEvRNS_18TensorIteratorBaseEdT_ENKUlvE_clEvENKUlvE5_clEvEUlfE_EEvSA_T1_T2_EUlP25hiprandStatePhilox4_32_10E_ZNS1_27distribution_nullary_kernelIff15HIP_vector_typeIdLj2EES7_SJ_SE_EEvSA_SG_RKT3_T4_EUlifE_EEvlNS_15PhiloxCudaStateESF_SG_
; %bb.0:
	s_load_dword s7, s[4:5], 0x20
	s_load_dwordx2 s[10:11], s[4:5], 0x10
	s_load_dwordx4 s[0:3], s[4:5], 0x0
	s_mov_b32 s8, 0
	s_waitcnt lgkmcnt(0)
	s_bitcmp0_b32 s7, 0
	v_pk_mov_b32 v[2:3], s[10:11], s[10:11] op_sel:[0,1]
	v_pk_mov_b32 v[14:15], s[2:3], s[2:3] op_sel:[0,1]
	s_cbranch_scc1 .LBB145_2
; %bb.1:
	v_pk_mov_b32 v[2:3], s[10:11], s[10:11] op_sel:[0,1]
	flat_load_dwordx2 v[2:3], v[2:3]
	v_pk_mov_b32 v[4:5], s[2:3], s[2:3] op_sel:[0,1]
	flat_load_dwordx2 v[14:15], v[4:5]
	s_load_dwordx2 s[2:3], s[4:5], 0x18
	s_waitcnt lgkmcnt(0)
	v_mov_b32_e32 v1, s3
	s_waitcnt vmcnt(0)
	v_add_co_u32_e32 v2, vcc, s2, v2
	v_addc_co_u32_e32 v3, vcc, v3, v1, vcc
.LBB145_2:
	s_load_dword s2, s[4:5], 0x54
	s_load_dword s17, s[4:5], 0x48
	s_waitcnt lgkmcnt(0)
	s_and_b32 s7, s2, 0xffff
	s_add_u32 s10, s0, -1
	s_mul_i32 s12, s17, s7
	s_addc_u32 s9, s1, -1
	s_lshl_b32 s13, s12, 2
	s_cmp_lg_u64 s[8:9], 0
	s_mov_b64 s[2:3], -1
	s_cbranch_scc0 .LBB145_23
; %bb.3:
	v_cvt_f32_u32_e32 v1, s13
	v_cvt_f32_ubyte0_e32 v4, 0
	s_sub_u32 s8, 0, s13
	s_subb_u32 s11, 0, 0
	v_madmk_f32 v1, v4, 0x4f800000, v1
	v_rcp_f32_e32 v1, v1
	v_mul_f32_e32 v1, 0x5f7ffffc, v1
	v_mul_f32_e32 v4, 0x2f800000, v1
	v_trunc_f32_e32 v4, v4
	v_madmk_f32 v1, v4, 0xcf800000, v1
	v_cvt_u32_f32_e32 v4, v4
	v_cvt_u32_f32_e32 v1, v1
	v_readfirstlane_b32 s14, v4
	v_readfirstlane_b32 s15, v1
	s_mul_i32 s16, s8, s14
	s_mul_hi_u32 s19, s8, s15
	s_mul_i32 s18, s11, s15
	s_add_i32 s16, s19, s16
	s_add_i32 s16, s16, s18
	s_mul_i32 s20, s8, s15
	s_mul_hi_u32 s18, s15, s16
	s_mul_i32 s19, s15, s16
	s_mul_hi_u32 s15, s15, s20
	s_add_u32 s15, s15, s19
	s_addc_u32 s18, 0, s18
	s_mul_hi_u32 s21, s14, s20
	s_mul_i32 s20, s14, s20
	s_add_u32 s15, s15, s20
	s_mul_hi_u32 s19, s14, s16
	s_addc_u32 s15, s18, s21
	s_addc_u32 s18, s19, 0
	s_mul_i32 s16, s14, s16
	s_add_u32 s15, s15, s16
	s_addc_u32 s16, 0, s18
	v_add_co_u32_e32 v1, vcc, s15, v1
	s_cmp_lg_u64 vcc, 0
	s_addc_u32 s14, s14, s16
	v_readfirstlane_b32 s16, v1
	s_mul_i32 s15, s8, s14
	s_mul_hi_u32 s18, s8, s16
	s_add_i32 s15, s18, s15
	s_mul_i32 s11, s11, s16
	s_add_i32 s15, s15, s11
	s_mul_i32 s8, s8, s16
	s_mul_hi_u32 s18, s14, s8
	s_mul_i32 s19, s14, s8
	s_mul_i32 s21, s16, s15
	s_mul_hi_u32 s8, s16, s8
	s_mul_hi_u32 s20, s16, s15
	s_add_u32 s8, s8, s21
	s_addc_u32 s16, 0, s20
	s_add_u32 s8, s8, s19
	s_mul_hi_u32 s11, s14, s15
	s_addc_u32 s8, s16, s18
	s_addc_u32 s11, s11, 0
	s_mul_i32 s15, s14, s15
	s_add_u32 s8, s8, s15
	s_addc_u32 s11, 0, s11
	v_add_co_u32_e32 v1, vcc, s8, v1
	s_cmp_lg_u64 vcc, 0
	s_addc_u32 s11, s14, s11
	s_ashr_i32 s14, s9, 31
	s_add_u32 s8, s10, s14
	s_mov_b32 s15, s14
	s_addc_u32 s9, s9, s14
	s_xor_b64 s[8:9], s[8:9], s[14:15]
	v_readfirstlane_b32 s19, v1
	s_mul_i32 s18, s8, s11
	s_mul_hi_u32 s20, s8, s19
	s_mul_hi_u32 s16, s8, s11
	s_add_u32 s18, s20, s18
	s_addc_u32 s16, 0, s16
	s_mul_hi_u32 s21, s9, s19
	s_mul_i32 s19, s9, s19
	s_add_u32 s18, s18, s19
	s_mul_hi_u32 s20, s9, s11
	s_addc_u32 s16, s16, s21
	s_addc_u32 s18, s20, 0
	s_mul_i32 s11, s9, s11
	s_add_u32 s11, s16, s11
	s_addc_u32 s16, 0, s18
	s_add_u32 s18, s11, 1
	s_addc_u32 s19, s16, 0
	s_add_u32 s20, s11, 2
	s_mul_i32 s22, s13, s16
	s_mul_hi_u32 s23, s13, s11
	s_addc_u32 s21, s16, 0
	s_add_i32 s23, s23, s22
	s_mul_i32 s22, s13, s11
	v_mov_b32_e32 v1, s22
	v_sub_co_u32_e32 v1, vcc, s8, v1
	s_cmp_lg_u64 vcc, 0
	s_subb_u32 s8, s9, s23
	v_subrev_co_u32_e32 v4, vcc, s13, v1
	s_cmp_lg_u64 vcc, 0
	s_subb_u32 s9, s8, 0
	v_readfirstlane_b32 s22, v4
	s_cmp_ge_u32 s22, s13
	s_cselect_b32 s22, -1, 0
	s_cmp_eq_u32 s9, 0
	s_cselect_b32 s9, s22, -1
	s_cmp_lg_u32 s9, 0
	s_cselect_b32 s9, s21, s19
	v_readfirstlane_b32 s19, v1
	s_cselect_b32 s18, s20, s18
	s_cmp_ge_u32 s19, s13
	s_cselect_b32 s19, -1, 0
	s_cmp_eq_u32 s8, 0
	s_cselect_b32 s8, s19, -1
	s_cmp_lg_u32 s8, 0
	s_cselect_b32 s9, s9, s16
	s_cselect_b32 s8, s18, s11
	s_xor_b64 s[8:9], s[8:9], s[14:15]
	s_sub_u32 s8, s8, s14
	s_subb_u32 s9, s9, s14
	s_cbranch_execnz .LBB145_5
.LBB145_4:
	v_cvt_f32_u32_e32 v1, s13
	s_sub_i32 s2, 0, s13
	s_mov_b32 s9, 0
	v_rcp_iflag_f32_e32 v1, v1
	v_mul_f32_e32 v1, 0x4f7ffffe, v1
	v_cvt_u32_f32_e32 v1, v1
	v_readfirstlane_b32 s3, v1
	s_mul_i32 s2, s2, s3
	s_mul_hi_u32 s2, s3, s2
	s_add_i32 s3, s3, s2
	s_mul_hi_u32 s2, s10, s3
	s_mul_i32 s8, s2, s13
	s_sub_i32 s8, s10, s8
	s_add_i32 s3, s2, 1
	s_sub_i32 s10, s8, s13
	s_cmp_ge_u32 s8, s13
	s_cselect_b32 s2, s3, s2
	s_cselect_b32 s8, s10, s8
	s_add_i32 s3, s2, 1
	s_cmp_ge_u32 s8, s13
	s_cselect_b32 s8, s3, s2
.LBB145_5:
	v_mov_b32_e32 v1, 0
	v_mov_b32_e32 v4, s6
	v_mad_u64_u32 v[16:17], s[2:3], s7, v4, v[0:1]
	s_add_u32 s2, s8, 1
	s_addc_u32 s3, s9, 0
	s_mul_hi_u32 s8, s17, s7
	s_mul_i32 s3, s12, s3
	s_mul_hi_u32 s9, s12, s2
	s_add_i32 s3, s9, s3
	s_mul_i32 s8, s8, s2
	s_add_i32 s3, s3, s8
	s_mul_i32 s2, s12, s2
	s_lshl_b64 s[2:3], s[2:3], 2
	v_cmp_gt_i64_e32 vcc, s[2:3], v[16:17]
	s_and_saveexec_b64 s[8:9], vcc
	s_cbranch_execz .LBB145_22
; %bb.6:
	s_load_dwordx2 s[8:9], s[4:5], 0x30
	s_load_dword s19, s[4:5], 0x38
	s_load_dwordx2 s[10:11], s[4:5], 0x40
	s_mov_b32 s4, 0x5384540f
	v_mov_b32_e32 v4, v15
	v_add_co_u32_e32 v22, vcc, s4, v14
	s_mov_b32 s4, 0x646e171e
	v_add_co_u32_e32 v23, vcc, s4, v4
	s_mov_b32 s4, 0x1715609d
	;; [unrolled: 2-line block ×6, first 2 shown]
	v_alignbit_b32 v29, v3, v2, 2
	s_mov_b32 s15, 0xd2511f53
	v_add_co_u32_e32 v28, vcc, s4, v14
	v_mad_u64_u32 v[6:7], s[4:5], v29, s15, 0
	v_xor_b32_e32 v1, v7, v15
	v_xor_b32_e32 v1, v1, v17
	s_mov_b32 s16, 0xcd9e8d57
	v_mad_u64_u32 v[8:9], s[4:5], v1, s16, 0
	v_xor_b32_e32 v1, v28, v9
	v_mad_u64_u32 v[10:11], s[4:5], v16, s16, 0
	v_and_b32_e32 v18, 3, v2
	v_xor_b32_e32 v1, v1, v10
	v_xor_b32_e32 v2, v14, v11
	v_lshrrev_b32_e32 v30, 2, v3
	v_mad_u64_u32 v[12:13], s[4:5], v1, s15, 0
	v_xor_b32_e32 v2, v2, v30
	v_xor_b32_e32 v1, v27, v13
	v_mad_u64_u32 v[2:3], s[4:5], v2, s15, 0
	v_xor_b32_e32 v1, v1, v2
	v_mad_u64_u32 v[10:11], s[4:5], v1, s16, 0
	s_mov_b32 s4, 0xbb67ae85
	v_add_co_u32_e32 v31, vcc, s4, v4
	v_xor_b32_e32 v2, v31, v3
	v_xor_b32_e32 v2, v2, v6
	v_xor_b32_e32 v1, v26, v11
	v_mad_u64_u32 v[2:3], s[4:5], v2, s16, 0
	v_xor_b32_e32 v1, v1, v2
	v_mad_u64_u32 v[6:7], s[4:5], v1, s15, 0
	s_mov_b32 s4, 0x3c6ef372
	v_add_co_u32_e32 v32, vcc, s4, v14
	v_xor_b32_e32 v2, v32, v3
	;; [unrolled: 8-line block ×6, first 2 shown]
	v_add_co_u32_e32 v21, vcc, 0xdb3d7428, v4
	v_xor_b32_e32 v2, v2, v8
	v_xor_b32_e32 v1, v21, v7
	v_mad_u64_u32 v[2:3], s[4:5], v2, s15, 0
	v_xor_b32_e32 v1, v1, v2
	v_mad_u64_u32 v[8:9], s[4:5], v1, s16, 0
	s_mov_b32 s4, 0x1fd5c5a3
	v_add_co_u32_e32 v37, vcc, s4, v4
	v_xor_b32_e32 v1, v37, v3
	v_xor_b32_e32 v1, v1, v12
	v_mad_u64_u32 v[2:3], s[4:5], v1, s16, 0
	s_mov_b32 s4, 0xf1bbcdc8
	v_add_u32_e32 v19, 0x8ff34781, v14
	v_xor_b32_e32 v1, v9, v2
	v_add_co_u32_e32 v38, vcc, s4, v14
	v_xor_b32_e32 v2, v19, v1
	v_xor_b32_e32 v1, v38, v3
	;; [unrolled: 1-line block ×3, first 2 shown]
	v_mad_u64_u32 v[10:11], s[4:5], v1, s15, 0
	v_add_u32_e32 v20, 0x96a522ad, v15
	v_xor_b32_e32 v1, v11, v6
	s_mul_i32 s4, s6, s7
	v_xor_b32_e32 v4, v20, v1
	v_add_u32_e32 v1, s4, v0
	s_waitcnt lgkmcnt(0)
	s_mul_i32 s4, s17, s19
	s_mul_i32 s4, s4, s7
	s_lshl_b32 s18, s4, 2
	s_add_i32 s4, s6, s17
	s_mul_i32 s4, s4, s7
	s_mov_b32 s14, 0
	v_add_u32_e32 v0, s4, v0
	v_mov_b32_e32 v3, v8
	v_mov_b32_e32 v5, v10
	v_cvt_f32_f64_e32 v39, s[10:11]
	v_mul_lo_u32 v40, s19, v1
	v_mul_lo_u32 v41, s19, v0
	s_mov_b64 s[4:5], 0
	s_mov_b32 s17, s14
	v_mov_b32_e32 v42, v16
	v_mov_b32_e32 v43, v17
	s_branch .LBB145_8
.LBB145_7:                              ;   in Loop: Header=BB145_8 Depth=1
	s_or_b64 exec, exec, s[6:7]
	v_add_co_u32_e32 v16, vcc, s13, v16
	v_addc_co_u32_e32 v17, vcc, 0, v17, vcc
	v_mov_b32_e32 v9, v0
	s_add_i32 s17, s17, s18
	v_cmp_le_i64_e32 vcc, s[2:3], v[16:17]
	v_pk_mov_b32 v[2:3], v[6:7], v[6:7] op_sel:[0,1]
	s_or_b64 s[4:5], vcc, s[4:5]
	v_pk_mov_b32 v[4:5], v[8:9], v[8:9] op_sel:[0,1]
	s_barrier
	s_andn2_b64 exec, exec, s[4:5]
	s_cbranch_execz .LBB145_22
.LBB145_8:                              ; =>This Inner Loop Header: Depth=1
	v_add_co_u32_e32 v29, vcc, 1, v29
	v_cndmask_b32_e64 v0, 0, 1, vcc
	v_addc_co_u32_e32 v30, vcc, 0, v30, vcc
	v_cmp_eq_u32_e32 vcc, 0, v30
	v_cndmask_b32_e32 v0, 0, v0, vcc
	v_add_u32_e32 v42, v0, v42
	v_cmp_eq_u32_e32 vcc, 0, v42
	v_cndmask_b32_e32 v0, 0, v0, vcc
	v_add_u32_e32 v43, v0, v43
	v_mad_u64_u32 v[0:1], s[6:7], v29, s15, 0
	v_mad_u64_u32 v[6:7], s[6:7], v42, s16, 0
	v_xor_b32_e32 v1, v1, v15
	v_xor_b32_e32 v7, v7, v14
	v_xor_b32_e32 v1, v43, v1
	v_xor_b32_e32 v7, v30, v7
	v_mad_u64_u32 v[10:11], s[6:7], v1, s16, 0
	v_mad_u64_u32 v[8:9], s[6:7], v7, s15, 0
	v_xor_b32_e32 v1, v28, v11
	v_xor_b32_e32 v1, v1, v6
	v_xor_b32_e32 v6, v31, v9
	v_xor_b32_e32 v6, v6, v0
	v_mad_u64_u32 v[0:1], s[6:7], v1, s15, 0
	v_mad_u64_u32 v[6:7], s[6:7], v6, s16, 0
	v_xor_b32_e32 v1, v27, v1
	v_xor_b32_e32 v7, v32, v7
	v_xor_b32_e32 v1, v1, v8
	v_xor_b32_e32 v7, v7, v10
	v_mad_u64_u32 v[10:11], s[6:7], v1, s16, 0
	v_mad_u64_u32 v[8:9], s[6:7], v7, s15, 0
	v_xor_b32_e32 v1, v26, v11
	v_xor_b32_e32 v1, v1, v6
	v_xor_b32_e32 v6, v33, v9
	v_xor_b32_e32 v6, v6, v0
	v_mad_u64_u32 v[0:1], s[6:7], v1, s15, 0
	v_mad_u64_u32 v[6:7], s[6:7], v6, s16, 0
	v_xor_b32_e32 v1, v25, v1
	v_xor_b32_e32 v7, v34, v7
	v_xor_b32_e32 v1, v1, v8
	v_xor_b32_e32 v7, v7, v10
	v_mad_u64_u32 v[10:11], s[6:7], v1, s16, 0
	v_mad_u64_u32 v[8:9], s[6:7], v7, s15, 0
	v_xor_b32_e32 v1, v24, v11
	v_xor_b32_e32 v1, v1, v6
	v_xor_b32_e32 v6, v35, v9
	v_xor_b32_e32 v6, v6, v0
	v_mad_u64_u32 v[0:1], s[6:7], v1, s15, 0
	v_mad_u64_u32 v[6:7], s[6:7], v6, s16, 0
	v_xor_b32_e32 v1, v23, v1
	v_xor_b32_e32 v7, v36, v7
	v_xor_b32_e32 v1, v1, v8
	v_xor_b32_e32 v7, v7, v10
	v_mad_u64_u32 v[10:11], s[6:7], v1, s16, 0
	v_mad_u64_u32 v[8:9], s[6:7], v7, s15, 0
	v_xor_b32_e32 v1, v22, v11
	v_xor_b32_e32 v1, v1, v6
	v_xor_b32_e32 v6, v37, v9
	v_xor_b32_e32 v0, v6, v0
	v_mad_u64_u32 v[6:7], s[6:7], v0, s16, 0
	v_mad_u64_u32 v[44:45], s[6:7], v1, s15, 0
	v_xor_b32_e32 v0, v38, v7
	v_xor_b32_e32 v0, v0, v10
	v_xor_b32_e32 v1, v21, v45
	v_xor_b32_e32 v7, v1, v8
	v_mad_u64_u32 v[0:1], s[6:7], v0, s15, 0
	v_mad_u64_u32 v[12:13], s[6:7], v7, s16, 0
	v_xor_b32_e32 v1, v1, v44
	v_xor_b32_e32 v6, v13, v6
	v_xor_b32_e32 v13, v20, v1
	v_xor_b32_e32 v6, v19, v6
	v_mov_b32_e32 v7, v12
	v_mov_b32_e32 v8, v13
	v_cmp_lt_i32_e32 vcc, 1, v18
	s_and_saveexec_b64 s[6:7], vcc
	s_xor_b64 s[6:7], exec, s[6:7]
	s_cbranch_execnz .LBB145_14
; %bb.9:                                ;   in Loop: Header=BB145_8 Depth=1
	s_andn2_saveexec_b64 s[6:7], s[6:7]
	s_cbranch_execnz .LBB145_19
.LBB145_10:                             ;   in Loop: Header=BB145_8 Depth=1
	s_or_b64 exec, exec, s[6:7]
	v_cmp_gt_i64_e32 vcc, s[0:1], v[16:17]
	s_and_saveexec_b64 s[6:7], vcc
	s_cbranch_execz .LBB145_12
.LBB145_11:                             ;   in Loop: Header=BB145_8 Depth=1
	v_lshrrev_b32_e32 v1, 11, v3
	v_cvt_f64_u32_e32 v[10:11], v1
	v_ldexp_f64 v[10:11], v[10:11], 32
	v_cvt_f64_u32_e32 v[2:3], v2
	v_add_f64 v[2:3], v[10:11], v[2:3]
	v_mov_b32_e32 v10, 0
	v_mov_b32_e32 v11, 0x3ca00000
	v_fmac_f64_e32 v[10:11], 0x3ca00000, v[2:3]
	v_add_u32_e32 v2, s17, v40
	v_ashrrev_i32_e32 v3, 31, v2
	v_mov_b32_e32 v9, s9
	v_add_co_u32_e32 v2, vcc, s8, v2
	v_cvt_f32_f64_e32 v1, v[10:11]
	v_addc_co_u32_e32 v3, vcc, v9, v3, vcc
	v_cmp_gt_f32_e32 vcc, v39, v1
	v_cndmask_b32_e64 v1, 0, 1.0, vcc
	global_store_dword v[2:3], v1, off
.LBB145_12:                             ;   in Loop: Header=BB145_8 Depth=1
	s_or_b64 exec, exec, s[6:7]
	v_mov_b32_e32 v1, s14
	v_add_co_u32_e32 v2, vcc, s12, v16
	v_addc_co_u32_e32 v3, vcc, v1, v17, vcc
	v_cmp_gt_i64_e32 vcc, s[0:1], v[2:3]
	s_and_saveexec_b64 s[6:7], vcc
	s_cbranch_execz .LBB145_7
; %bb.13:                               ;   in Loop: Header=BB145_8 Depth=1
	v_lshrrev_b32_e32 v1, 11, v5
	v_cvt_f64_u32_e32 v[2:3], v1
	v_ldexp_f64 v[2:3], v[2:3], 32
	v_cvt_f64_u32_e32 v[4:5], v4
	v_add_f64 v[2:3], v[2:3], v[4:5]
	v_mov_b32_e32 v4, 0
	v_mov_b32_e32 v5, 0x3ca00000
	v_fmac_f64_e32 v[4:5], 0x3ca00000, v[2:3]
	v_add_u32_e32 v2, s17, v41
	v_cvt_f32_f64_e32 v1, v[4:5]
	v_ashrrev_i32_e32 v3, 31, v2
	v_mov_b32_e32 v4, s9
	v_add_co_u32_e32 v2, vcc, s8, v2
	v_addc_co_u32_e32 v3, vcc, v4, v3, vcc
	v_cmp_gt_f32_e32 vcc, v39, v1
	v_cndmask_b32_e64 v1, 0, 1.0, vcc
	global_store_dword v[2:3], v1, off
	s_branch .LBB145_7
.LBB145_14:                             ;   in Loop: Header=BB145_8 Depth=1
	v_cmp_lt_i32_e32 vcc, 2, v18
	s_and_saveexec_b64 s[10:11], vcc
	s_xor_b64 s[10:11], exec, s[10:11]
; %bb.15:                               ;   in Loop: Header=BB145_8 Depth=1
	v_mov_b32_e32 v10, v5
	v_mov_b32_e32 v11, v6
	v_pk_mov_b32 v[2:3], v[10:11], v[10:11] op_sel:[0,1]
	v_pk_mov_b32 v[4:5], v[12:13], v[12:13] op_sel:[0,1]
                                        ; implicit-def: $vgpr12_vgpr13
; %bb.16:                               ;   in Loop: Header=BB145_8 Depth=1
	s_andn2_saveexec_b64 s[10:11], s[10:11]
; %bb.17:                               ;   in Loop: Header=BB145_8 Depth=1
	v_mov_b32_e32 v2, v4
	v_mov_b32_e32 v3, v5
	;; [unrolled: 1-line block ×4, first 2 shown]
; %bb.18:                               ;   in Loop: Header=BB145_8 Depth=1
	s_or_b64 exec, exec, s[10:11]
	s_andn2_saveexec_b64 s[6:7], s[6:7]
	s_cbranch_execz .LBB145_10
.LBB145_19:                             ;   in Loop: Header=BB145_8 Depth=1
	v_cmp_eq_u32_e32 vcc, 1, v18
	s_and_saveexec_b64 s[10:11], vcc
; %bb.20:                               ;   in Loop: Header=BB145_8 Depth=1
	v_mov_b32_e32 v2, v3
	v_mov_b32_e32 v3, v4
	;; [unrolled: 1-line block ×4, first 2 shown]
; %bb.21:                               ;   in Loop: Header=BB145_8 Depth=1
	s_or_b64 exec, exec, s[10:11]
	s_or_b64 exec, exec, s[6:7]
	v_cmp_gt_i64_e32 vcc, s[0:1], v[16:17]
	s_and_saveexec_b64 s[6:7], vcc
	s_cbranch_execnz .LBB145_11
	s_branch .LBB145_12
.LBB145_22:
	s_endpgm
.LBB145_23:
                                        ; implicit-def: $sgpr8_sgpr9
	s_andn2_b64 vcc, exec, s[2:3]
	s_cbranch_vccz .LBB145_4
	s_branch .LBB145_5
	.section	.rodata,"a",@progbits
	.p2align	6, 0x0
	.amdhsa_kernel _ZN2at6native12_GLOBAL__N_143distribution_elementwise_grid_stride_kernelIfLi4EZNS0_9templates4cuda21uniform_and_transformIffPNS_17CUDAGeneratorImplEZZZNS4_16bernoulli_kernelIS7_EEvRNS_18TensorIteratorBaseEdT_ENKUlvE_clEvENKUlvE5_clEvEUlfE_EEvSA_T1_T2_EUlP25hiprandStatePhilox4_32_10E_ZNS1_27distribution_nullary_kernelIff15HIP_vector_typeIdLj2EES7_SJ_SE_EEvSA_SG_RKT3_T4_EUlifE_EEvlNS_15PhiloxCudaStateESF_SG_
		.amdhsa_group_segment_fixed_size 0
		.amdhsa_private_segment_fixed_size 0
		.amdhsa_kernarg_size 328
		.amdhsa_user_sgpr_count 6
		.amdhsa_user_sgpr_private_segment_buffer 1
		.amdhsa_user_sgpr_dispatch_ptr 0
		.amdhsa_user_sgpr_queue_ptr 0
		.amdhsa_user_sgpr_kernarg_segment_ptr 1
		.amdhsa_user_sgpr_dispatch_id 0
		.amdhsa_user_sgpr_flat_scratch_init 0
		.amdhsa_user_sgpr_kernarg_preload_length 0
		.amdhsa_user_sgpr_kernarg_preload_offset 0
		.amdhsa_user_sgpr_private_segment_size 0
		.amdhsa_uses_dynamic_stack 0
		.amdhsa_system_sgpr_private_segment_wavefront_offset 0
		.amdhsa_system_sgpr_workgroup_id_x 1
		.amdhsa_system_sgpr_workgroup_id_y 0
		.amdhsa_system_sgpr_workgroup_id_z 0
		.amdhsa_system_sgpr_workgroup_info 0
		.amdhsa_system_vgpr_workitem_id 0
		.amdhsa_next_free_vgpr 46
		.amdhsa_next_free_sgpr 24
		.amdhsa_accum_offset 48
		.amdhsa_reserve_vcc 1
		.amdhsa_reserve_flat_scratch 0
		.amdhsa_float_round_mode_32 0
		.amdhsa_float_round_mode_16_64 0
		.amdhsa_float_denorm_mode_32 3
		.amdhsa_float_denorm_mode_16_64 3
		.amdhsa_dx10_clamp 1
		.amdhsa_ieee_mode 1
		.amdhsa_fp16_overflow 0
		.amdhsa_tg_split 0
		.amdhsa_exception_fp_ieee_invalid_op 0
		.amdhsa_exception_fp_denorm_src 0
		.amdhsa_exception_fp_ieee_div_zero 0
		.amdhsa_exception_fp_ieee_overflow 0
		.amdhsa_exception_fp_ieee_underflow 0
		.amdhsa_exception_fp_ieee_inexact 0
		.amdhsa_exception_int_div_zero 0
	.end_amdhsa_kernel
	.section	.text._ZN2at6native12_GLOBAL__N_143distribution_elementwise_grid_stride_kernelIfLi4EZNS0_9templates4cuda21uniform_and_transformIffPNS_17CUDAGeneratorImplEZZZNS4_16bernoulli_kernelIS7_EEvRNS_18TensorIteratorBaseEdT_ENKUlvE_clEvENKUlvE5_clEvEUlfE_EEvSA_T1_T2_EUlP25hiprandStatePhilox4_32_10E_ZNS1_27distribution_nullary_kernelIff15HIP_vector_typeIdLj2EES7_SJ_SE_EEvSA_SG_RKT3_T4_EUlifE_EEvlNS_15PhiloxCudaStateESF_SG_,"axG",@progbits,_ZN2at6native12_GLOBAL__N_143distribution_elementwise_grid_stride_kernelIfLi4EZNS0_9templates4cuda21uniform_and_transformIffPNS_17CUDAGeneratorImplEZZZNS4_16bernoulli_kernelIS7_EEvRNS_18TensorIteratorBaseEdT_ENKUlvE_clEvENKUlvE5_clEvEUlfE_EEvSA_T1_T2_EUlP25hiprandStatePhilox4_32_10E_ZNS1_27distribution_nullary_kernelIff15HIP_vector_typeIdLj2EES7_SJ_SE_EEvSA_SG_RKT3_T4_EUlifE_EEvlNS_15PhiloxCudaStateESF_SG_,comdat
.Lfunc_end145:
	.size	_ZN2at6native12_GLOBAL__N_143distribution_elementwise_grid_stride_kernelIfLi4EZNS0_9templates4cuda21uniform_and_transformIffPNS_17CUDAGeneratorImplEZZZNS4_16bernoulli_kernelIS7_EEvRNS_18TensorIteratorBaseEdT_ENKUlvE_clEvENKUlvE5_clEvEUlfE_EEvSA_T1_T2_EUlP25hiprandStatePhilox4_32_10E_ZNS1_27distribution_nullary_kernelIff15HIP_vector_typeIdLj2EES7_SJ_SE_EEvSA_SG_RKT3_T4_EUlifE_EEvlNS_15PhiloxCudaStateESF_SG_, .Lfunc_end145-_ZN2at6native12_GLOBAL__N_143distribution_elementwise_grid_stride_kernelIfLi4EZNS0_9templates4cuda21uniform_and_transformIffPNS_17CUDAGeneratorImplEZZZNS4_16bernoulli_kernelIS7_EEvRNS_18TensorIteratorBaseEdT_ENKUlvE_clEvENKUlvE5_clEvEUlfE_EEvSA_T1_T2_EUlP25hiprandStatePhilox4_32_10E_ZNS1_27distribution_nullary_kernelIff15HIP_vector_typeIdLj2EES7_SJ_SE_EEvSA_SG_RKT3_T4_EUlifE_EEvlNS_15PhiloxCudaStateESF_SG_
                                        ; -- End function
	.section	.AMDGPU.csdata,"",@progbits
; Kernel info:
; codeLenInByte = 2300
; NumSgprs: 28
; NumVgprs: 46
; NumAgprs: 0
; TotalNumVgprs: 46
; ScratchSize: 0
; MemoryBound: 0
; FloatMode: 240
; IeeeMode: 1
; LDSByteSize: 0 bytes/workgroup (compile time only)
; SGPRBlocks: 3
; VGPRBlocks: 5
; NumSGPRsForWavesPerEU: 28
; NumVGPRsForWavesPerEU: 46
; AccumOffset: 48
; Occupancy: 8
; WaveLimiterHint : 0
; COMPUTE_PGM_RSRC2:SCRATCH_EN: 0
; COMPUTE_PGM_RSRC2:USER_SGPR: 6
; COMPUTE_PGM_RSRC2:TRAP_HANDLER: 0
; COMPUTE_PGM_RSRC2:TGID_X_EN: 1
; COMPUTE_PGM_RSRC2:TGID_Y_EN: 0
; COMPUTE_PGM_RSRC2:TGID_Z_EN: 0
; COMPUTE_PGM_RSRC2:TIDIG_COMP_CNT: 0
; COMPUTE_PGM_RSRC3_GFX90A:ACCUM_OFFSET: 11
; COMPUTE_PGM_RSRC3_GFX90A:TG_SPLIT: 0
	.section	.text._ZN2at6native12_GLOBAL__N_143distribution_elementwise_grid_stride_kernelIfLi4EZNS0_9templates4cuda21uniform_and_transformIffPNS_17CUDAGeneratorImplEZZZNS4_16bernoulli_kernelIS7_EEvRNS_18TensorIteratorBaseEdT_ENKUlvE_clEvENKUlvE5_clEvEUlfE_EEvSA_T1_T2_EUlP25hiprandStatePhilox4_32_10E_ZNS1_27distribution_nullary_kernelIff15HIP_vector_typeIdLj2EES7_SJ_SE_EEvSA_SG_RKT3_T4_EUlifE0_EEvlNS_15PhiloxCudaStateESF_SG_,"axG",@progbits,_ZN2at6native12_GLOBAL__N_143distribution_elementwise_grid_stride_kernelIfLi4EZNS0_9templates4cuda21uniform_and_transformIffPNS_17CUDAGeneratorImplEZZZNS4_16bernoulli_kernelIS7_EEvRNS_18TensorIteratorBaseEdT_ENKUlvE_clEvENKUlvE5_clEvEUlfE_EEvSA_T1_T2_EUlP25hiprandStatePhilox4_32_10E_ZNS1_27distribution_nullary_kernelIff15HIP_vector_typeIdLj2EES7_SJ_SE_EEvSA_SG_RKT3_T4_EUlifE0_EEvlNS_15PhiloxCudaStateESF_SG_,comdat
	.globl	_ZN2at6native12_GLOBAL__N_143distribution_elementwise_grid_stride_kernelIfLi4EZNS0_9templates4cuda21uniform_and_transformIffPNS_17CUDAGeneratorImplEZZZNS4_16bernoulli_kernelIS7_EEvRNS_18TensorIteratorBaseEdT_ENKUlvE_clEvENKUlvE5_clEvEUlfE_EEvSA_T1_T2_EUlP25hiprandStatePhilox4_32_10E_ZNS1_27distribution_nullary_kernelIff15HIP_vector_typeIdLj2EES7_SJ_SE_EEvSA_SG_RKT3_T4_EUlifE0_EEvlNS_15PhiloxCudaStateESF_SG_ ; -- Begin function _ZN2at6native12_GLOBAL__N_143distribution_elementwise_grid_stride_kernelIfLi4EZNS0_9templates4cuda21uniform_and_transformIffPNS_17CUDAGeneratorImplEZZZNS4_16bernoulli_kernelIS7_EEvRNS_18TensorIteratorBaseEdT_ENKUlvE_clEvENKUlvE5_clEvEUlfE_EEvSA_T1_T2_EUlP25hiprandStatePhilox4_32_10E_ZNS1_27distribution_nullary_kernelIff15HIP_vector_typeIdLj2EES7_SJ_SE_EEvSA_SG_RKT3_T4_EUlifE0_EEvlNS_15PhiloxCudaStateESF_SG_
	.p2align	8
	.type	_ZN2at6native12_GLOBAL__N_143distribution_elementwise_grid_stride_kernelIfLi4EZNS0_9templates4cuda21uniform_and_transformIffPNS_17CUDAGeneratorImplEZZZNS4_16bernoulli_kernelIS7_EEvRNS_18TensorIteratorBaseEdT_ENKUlvE_clEvENKUlvE5_clEvEUlfE_EEvSA_T1_T2_EUlP25hiprandStatePhilox4_32_10E_ZNS1_27distribution_nullary_kernelIff15HIP_vector_typeIdLj2EES7_SJ_SE_EEvSA_SG_RKT3_T4_EUlifE0_EEvlNS_15PhiloxCudaStateESF_SG_,@function
_ZN2at6native12_GLOBAL__N_143distribution_elementwise_grid_stride_kernelIfLi4EZNS0_9templates4cuda21uniform_and_transformIffPNS_17CUDAGeneratorImplEZZZNS4_16bernoulli_kernelIS7_EEvRNS_18TensorIteratorBaseEdT_ENKUlvE_clEvENKUlvE5_clEvEUlfE_EEvSA_T1_T2_EUlP25hiprandStatePhilox4_32_10E_ZNS1_27distribution_nullary_kernelIff15HIP_vector_typeIdLj2EES7_SJ_SE_EEvSA_SG_RKT3_T4_EUlifE0_EEvlNS_15PhiloxCudaStateESF_SG_: ; @_ZN2at6native12_GLOBAL__N_143distribution_elementwise_grid_stride_kernelIfLi4EZNS0_9templates4cuda21uniform_and_transformIffPNS_17CUDAGeneratorImplEZZZNS4_16bernoulli_kernelIS7_EEvRNS_18TensorIteratorBaseEdT_ENKUlvE_clEvENKUlvE5_clEvEUlfE_EEvSA_T1_T2_EUlP25hiprandStatePhilox4_32_10E_ZNS1_27distribution_nullary_kernelIff15HIP_vector_typeIdLj2EES7_SJ_SE_EEvSA_SG_RKT3_T4_EUlifE0_EEvlNS_15PhiloxCudaStateESF_SG_
; %bb.0:
	s_load_dword s2, s[4:5], 0x20
	s_load_dwordx2 s[0:1], s[4:5], 0x10
	s_load_dwordx4 s[24:27], s[4:5], 0x0
	s_waitcnt lgkmcnt(0)
	s_bitcmp0_b32 s2, 0
	s_mov_b32 s2, 0
	v_pk_mov_b32 v[2:3], s[0:1], s[0:1] op_sel:[0,1]
	v_pk_mov_b32 v[12:13], s[26:27], s[26:27] op_sel:[0,1]
	s_cbranch_scc1 .LBB146_2
; %bb.1:
	v_pk_mov_b32 v[2:3], s[0:1], s[0:1] op_sel:[0,1]
	flat_load_dwordx2 v[2:3], v[2:3]
	v_pk_mov_b32 v[4:5], s[26:27], s[26:27] op_sel:[0,1]
	flat_load_dwordx2 v[12:13], v[4:5]
	s_load_dwordx2 s[0:1], s[4:5], 0x18
	s_waitcnt lgkmcnt(0)
	v_mov_b32_e32 v1, s1
	s_waitcnt vmcnt(0)
	v_add_co_u32_e32 v2, vcc, s0, v2
	v_addc_co_u32_e32 v3, vcc, v3, v1, vcc
.LBB146_2:
	s_load_dword s0, s[4:5], 0x154
	s_load_dword s7, s[4:5], 0x148
	s_waitcnt lgkmcnt(0)
	s_and_b32 s8, s0, 0xffff
	s_add_u32 s9, s24, -1
	s_mul_i32 s33, s7, s8
	s_addc_u32 s3, s25, -1
	s_lshl_b32 s58, s33, 2
	s_cmp_lg_u64 s[2:3], 0
	s_mov_b64 s[0:1], -1
	s_cbranch_scc0 .LBB146_51
; %bb.3:
	v_cvt_f32_u32_e32 v1, s58
	v_cvt_f32_ubyte0_e32 v4, 0
	s_sub_u32 s2, 0, s58
	s_subb_u32 s10, 0, 0
	v_madmk_f32 v1, v4, 0x4f800000, v1
	v_rcp_f32_e32 v1, v1
	v_mul_f32_e32 v1, 0x5f7ffffc, v1
	v_mul_f32_e32 v4, 0x2f800000, v1
	v_trunc_f32_e32 v4, v4
	v_madmk_f32 v1, v4, 0xcf800000, v1
	v_cvt_u32_f32_e32 v4, v4
	v_cvt_u32_f32_e32 v1, v1
	v_readfirstlane_b32 s11, v4
	v_readfirstlane_b32 s12, v1
	s_mul_i32 s13, s2, s11
	s_mul_hi_u32 s15, s2, s12
	s_mul_i32 s14, s10, s12
	s_add_i32 s13, s15, s13
	s_add_i32 s13, s13, s14
	s_mul_i32 s16, s2, s12
	s_mul_hi_u32 s14, s12, s13
	s_mul_i32 s15, s12, s13
	s_mul_hi_u32 s12, s12, s16
	s_add_u32 s12, s12, s15
	s_addc_u32 s14, 0, s14
	s_mul_hi_u32 s17, s11, s16
	s_mul_i32 s16, s11, s16
	s_add_u32 s12, s12, s16
	s_mul_hi_u32 s15, s11, s13
	s_addc_u32 s12, s14, s17
	s_addc_u32 s14, s15, 0
	s_mul_i32 s13, s11, s13
	s_add_u32 s12, s12, s13
	s_addc_u32 s13, 0, s14
	v_add_co_u32_e32 v1, vcc, s12, v1
	s_cmp_lg_u64 vcc, 0
	s_addc_u32 s11, s11, s13
	v_readfirstlane_b32 s13, v1
	s_mul_i32 s12, s2, s11
	s_mul_hi_u32 s14, s2, s13
	s_add_i32 s12, s14, s12
	s_mul_i32 s10, s10, s13
	s_add_i32 s12, s12, s10
	s_mul_i32 s2, s2, s13
	s_mul_hi_u32 s14, s11, s2
	s_mul_i32 s15, s11, s2
	s_mul_i32 s17, s13, s12
	s_mul_hi_u32 s2, s13, s2
	s_mul_hi_u32 s16, s13, s12
	s_add_u32 s2, s2, s17
	s_addc_u32 s13, 0, s16
	s_add_u32 s2, s2, s15
	s_mul_hi_u32 s10, s11, s12
	s_addc_u32 s2, s13, s14
	s_addc_u32 s10, s10, 0
	s_mul_i32 s12, s11, s12
	s_add_u32 s2, s2, s12
	s_addc_u32 s10, 0, s10
	v_add_co_u32_e32 v1, vcc, s2, v1
	s_cmp_lg_u64 vcc, 0
	s_addc_u32 s12, s11, s10
	s_ashr_i32 s10, s3, 31
	s_add_u32 s2, s9, s10
	s_mov_b32 s11, s10
	s_addc_u32 s3, s3, s10
	s_xor_b64 s[2:3], s[2:3], s[10:11]
	v_readfirstlane_b32 s15, v1
	s_mul_i32 s14, s2, s12
	s_mul_hi_u32 s16, s2, s15
	s_mul_hi_u32 s13, s2, s12
	s_add_u32 s14, s16, s14
	s_addc_u32 s13, 0, s13
	s_mul_hi_u32 s17, s3, s15
	s_mul_i32 s15, s3, s15
	s_add_u32 s14, s14, s15
	s_mul_hi_u32 s16, s3, s12
	s_addc_u32 s13, s13, s17
	s_addc_u32 s14, s16, 0
	s_mul_i32 s12, s3, s12
	s_add_u32 s12, s13, s12
	s_addc_u32 s13, 0, s14
	s_add_u32 s14, s12, 1
	s_addc_u32 s15, s13, 0
	s_add_u32 s16, s12, 2
	s_mul_i32 s18, s58, s13
	s_mul_hi_u32 s19, s58, s12
	s_addc_u32 s17, s13, 0
	s_add_i32 s19, s19, s18
	s_mul_i32 s18, s58, s12
	v_mov_b32_e32 v1, s18
	v_sub_co_u32_e32 v1, vcc, s2, v1
	s_cmp_lg_u64 vcc, 0
	s_subb_u32 s2, s3, s19
	v_subrev_co_u32_e32 v4, vcc, s58, v1
	s_cmp_lg_u64 vcc, 0
	s_subb_u32 s3, s2, 0
	v_readfirstlane_b32 s18, v4
	s_cmp_ge_u32 s18, s58
	s_cselect_b32 s18, -1, 0
	s_cmp_eq_u32 s3, 0
	s_cselect_b32 s3, s18, -1
	s_cmp_lg_u32 s3, 0
	s_cselect_b32 s3, s17, s15
	v_readfirstlane_b32 s15, v1
	s_cselect_b32 s14, s16, s14
	s_cmp_ge_u32 s15, s58
	s_cselect_b32 s15, -1, 0
	s_cmp_eq_u32 s2, 0
	s_cselect_b32 s2, s15, -1
	s_cmp_lg_u32 s2, 0
	s_cselect_b32 s3, s3, s13
	s_cselect_b32 s2, s14, s12
	s_xor_b64 s[2:3], s[2:3], s[10:11]
	s_sub_u32 s2, s2, s10
	s_subb_u32 s3, s3, s10
	s_cbranch_execnz .LBB146_5
.LBB146_4:
	v_cvt_f32_u32_e32 v1, s58
	s_sub_i32 s0, 0, s58
	s_mov_b32 s3, 0
	v_rcp_iflag_f32_e32 v1, v1
	v_mul_f32_e32 v1, 0x4f7ffffe, v1
	v_cvt_u32_f32_e32 v1, v1
	v_readfirstlane_b32 s1, v1
	s_mul_i32 s0, s0, s1
	s_mul_hi_u32 s0, s1, s0
	s_add_i32 s1, s1, s0
	s_mul_hi_u32 s0, s9, s1
	s_mul_i32 s2, s0, s58
	s_sub_i32 s2, s9, s2
	s_add_i32 s1, s0, 1
	s_sub_i32 s9, s2, s58
	s_cmp_ge_u32 s2, s58
	s_cselect_b32 s0, s1, s0
	s_cselect_b32 s2, s9, s2
	s_add_i32 s1, s0, 1
	s_cmp_ge_u32 s2, s58
	s_cselect_b32 s2, s1, s0
.LBB146_5:
	v_mov_b32_e32 v1, 0
	v_mov_b32_e32 v4, s6
	v_mad_u64_u32 v[14:15], s[0:1], s8, v4, v[0:1]
	s_add_u32 s0, s2, 1
	s_addc_u32 s1, s3, 0
	s_mul_hi_u32 s2, s7, s8
	s_mul_i32 s1, s33, s1
	s_mul_hi_u32 s3, s33, s0
	s_add_i32 s1, s3, s1
	s_mul_i32 s2, s2, s0
	s_add_i32 s1, s1, s2
	s_mul_i32 s0, s33, s0
	s_lshl_b64 s[26:27], s[0:1], 2
	v_cmp_gt_i64_e32 vcc, s[26:27], v[14:15]
	s_and_saveexec_b64 s[0:1], vcc
	s_cbranch_execz .LBB146_50
; %bb.6:
	s_mov_b32 s0, 0x5384540f
	v_mov_b32_e32 v0, v13
	v_add_co_u32_e32 v22, vcc, s0, v12
	s_mov_b32 s0, 0x646e171e
	v_add_co_u32_e32 v23, vcc, s0, v0
	s_mov_b32 s0, 0x1715609d
	;; [unrolled: 2-line block ×6, first 2 shown]
	v_alignbit_b32 v29, v3, v2, 2
	s_mov_b32 s60, 0xd2511f53
	v_add_co_u32_e32 v28, vcc, s0, v12
	v_mad_u64_u32 v[4:5], s[0:1], v29, s60, 0
	v_xor_b32_e32 v1, v5, v13
	v_xor_b32_e32 v1, v1, v15
	s_mov_b32 s61, 0xcd9e8d57
	v_mad_u64_u32 v[6:7], s[0:1], v1, s61, 0
	v_xor_b32_e32 v1, v28, v7
	v_mad_u64_u32 v[8:9], s[0:1], v14, s61, 0
	v_and_b32_e32 v18, 3, v2
	v_xor_b32_e32 v1, v1, v8
	v_xor_b32_e32 v2, v12, v9
	v_lshrrev_b32_e32 v30, 2, v3
	v_mad_u64_u32 v[10:11], s[0:1], v1, s60, 0
	v_xor_b32_e32 v2, v2, v30
	v_xor_b32_e32 v1, v27, v11
	v_mad_u64_u32 v[2:3], s[0:1], v2, s60, 0
	v_xor_b32_e32 v1, v1, v2
	v_mad_u64_u32 v[8:9], s[0:1], v1, s61, 0
	s_mov_b32 s0, 0xbb67ae85
	v_add_co_u32_e32 v31, vcc, s0, v0
	v_xor_b32_e32 v2, v31, v3
	v_xor_b32_e32 v2, v2, v4
	v_xor_b32_e32 v1, v26, v9
	v_mad_u64_u32 v[2:3], s[0:1], v2, s61, 0
	v_xor_b32_e32 v1, v1, v2
	v_mad_u64_u32 v[4:5], s[0:1], v1, s60, 0
	s_mov_b32 s0, 0x3c6ef372
	v_add_co_u32_e32 v32, vcc, s0, v12
	v_xor_b32_e32 v2, v32, v3
	;; [unrolled: 8-line block ×6, first 2 shown]
	v_add_co_u32_e32 v21, vcc, 0xdb3d7428, v0
	v_xor_b32_e32 v2, v2, v6
	v_xor_b32_e32 v1, v21, v5
	v_mad_u64_u32 v[2:3], s[0:1], v2, s60, 0
	v_xor_b32_e32 v1, v1, v2
	v_mad_u64_u32 v[6:7], s[0:1], v1, s61, 0
	s_mov_b32 s0, 0x1fd5c5a3
	v_add_co_u32_e32 v37, vcc, s0, v0
	v_xor_b32_e32 v0, v37, v3
	v_xor_b32_e32 v0, v0, v10
	v_mad_u64_u32 v[0:1], s[0:1], v0, s61, 0
	s_mov_b32 s0, 0xf1bbcdc8
	s_load_dwordx8 s[8:15], s[4:5], 0x30
	v_add_co_u32_e32 v38, vcc, s0, v12
	v_xor_b32_e32 v1, v38, v1
	v_xor_b32_e32 v1, v1, v8
	s_add_u32 s34, s4, 48
	v_mad_u64_u32 v[8:9], s[0:1], v1, s60, 0
	s_addc_u32 s35, s5, 0
	s_waitcnt lgkmcnt(0)
	s_add_i32 s0, s8, -1
	s_cmp_gt_u32 s0, 1
	s_cselect_b64 s[40:41], -1, 0
	s_cmp_lg_u32 s8, 0
	s_cselect_b64 s[42:43], -1, 0
	s_add_u32 s44, s4, 0xf4
	s_addc_u32 s45, s5, 0
	s_load_dwordx2 s[46:47], s[4:5], 0xf4
	s_load_dwordx4 s[28:31], s[4:5], 0x138
	s_min_u32 s1, s0, 15
	s_cmp_gt_u32 s8, 1
	s_cselect_b64 s[48:49], -1, 0
	s_add_i32 s1, s1, 1
	s_mov_b32 s8, s13
	s_and_b32 s13, s1, 3
	s_cmp_lg_u32 s0, 2
	s_waitcnt lgkmcnt(0)
	v_cvt_f32_f64_e32 v39, s[30:31]
	s_cselect_b64 s[30:31], -1, 0
	s_and_b32 s15, s1, 28
	v_add_u32_e32 v19, 0x8ff34781, v12
	v_add_u32_e32 v20, 0x96a522ad, v13
	v_xor_b32_e32 v0, v7, v0
	v_xor_b32_e32 v1, v9, v4
	s_cmp_lg_u32 s13, 0
	s_mov_b32 s59, 0
	v_xor_b32_e32 v0, v19, v0
	v_xor_b32_e32 v2, v20, v1
	v_mov_b32_e32 v1, v6
	v_mov_b32_e32 v3, v8
	s_mov_b64 s[50:51], 0
	s_cselect_b64 s[52:53], -1, 0
	v_mov_b32_e32 v40, v14
	v_mov_b32_e32 v41, v15
	s_branch .LBB146_9
.LBB146_7:                              ;   in Loop: Header=BB146_9 Depth=1
	v_lshrrev_b32_e32 v0, 11, v3
	v_cvt_f64_u32_e32 v[0:1], v0
	v_ldexp_f64 v[0:1], v[0:1], 32
	v_cvt_f64_u32_e32 v[2:3], v2
	v_add_f64 v[0:1], v[0:1], v[2:3]
	v_mov_b32_e32 v2, 0
	v_mov_b32_e32 v3, 0x3ca00000
	v_fmac_f64_e32 v[2:3], 0x3ca00000, v[0:1]
	v_cvt_f32_f64_e32 v0, v[2:3]
	v_cmp_gt_f32_e32 vcc, v39, v0
	v_cndmask_b32_e64 v0, 0, 1.0, vcc
	global_store_dword v8, v0, s[28:29]
.LBB146_8:                              ;   in Loop: Header=BB146_9 Depth=1
	s_or_b64 exec, exec, s[36:37]
	v_add_co_u32_e32 v14, vcc, s58, v14
	v_addc_co_u32_e32 v15, vcc, 0, v15, vcc
	v_mov_b32_e32 v7, v16
	v_cmp_le_i64_e32 vcc, s[26:27], v[14:15]
	v_pk_mov_b32 v[0:1], v[4:5], v[4:5] op_sel:[0,1]
	s_or_b64 s[50:51], vcc, s[50:51]
	v_pk_mov_b32 v[2:3], v[6:7], v[6:7] op_sel:[0,1]
	s_barrier
	s_andn2_b64 exec, exec, s[50:51]
	s_cbranch_execz .LBB146_50
.LBB146_9:                              ; =>This Loop Header: Depth=1
                                        ;     Child Loop BB146_24 Depth 2
                                        ;     Child Loop BB146_30 Depth 2
	;; [unrolled: 1-line block ×4, first 2 shown]
	v_add_co_u32_e32 v29, vcc, 1, v29
	v_cndmask_b32_e64 v4, 0, 1, vcc
	v_addc_co_u32_e32 v30, vcc, 0, v30, vcc
	v_cmp_eq_u32_e32 vcc, 0, v30
	v_cndmask_b32_e32 v4, 0, v4, vcc
	v_add_u32_e32 v40, v4, v40
	v_cmp_eq_u32_e32 vcc, 0, v40
	v_cndmask_b32_e32 v4, 0, v4, vcc
	v_add_u32_e32 v41, v4, v41
	v_mad_u64_u32 v[4:5], s[0:1], v29, s60, 0
	v_mad_u64_u32 v[6:7], s[0:1], v40, s61, 0
	v_xor_b32_e32 v5, v5, v13
	v_xor_b32_e32 v7, v7, v12
	v_xor_b32_e32 v5, v41, v5
	v_xor_b32_e32 v7, v30, v7
	v_mad_u64_u32 v[10:11], s[0:1], v5, s61, 0
	v_mad_u64_u32 v[8:9], s[0:1], v7, s60, 0
	v_xor_b32_e32 v5, v28, v11
	v_xor_b32_e32 v5, v5, v6
	v_xor_b32_e32 v6, v31, v9
	v_xor_b32_e32 v6, v6, v4
	v_mad_u64_u32 v[4:5], s[0:1], v5, s60, 0
	v_mad_u64_u32 v[6:7], s[0:1], v6, s61, 0
	v_xor_b32_e32 v5, v27, v5
	v_xor_b32_e32 v7, v32, v7
	v_xor_b32_e32 v5, v5, v8
	v_xor_b32_e32 v7, v7, v10
	v_mad_u64_u32 v[10:11], s[0:1], v5, s61, 0
	v_mad_u64_u32 v[8:9], s[0:1], v7, s60, 0
	v_xor_b32_e32 v5, v26, v11
	v_xor_b32_e32 v5, v5, v6
	v_xor_b32_e32 v6, v33, v9
	v_xor_b32_e32 v6, v6, v4
	v_mad_u64_u32 v[4:5], s[0:1], v5, s60, 0
	v_mad_u64_u32 v[6:7], s[0:1], v6, s61, 0
	v_xor_b32_e32 v5, v25, v5
	v_xor_b32_e32 v7, v34, v7
	v_xor_b32_e32 v5, v5, v8
	v_xor_b32_e32 v7, v7, v10
	v_mad_u64_u32 v[10:11], s[0:1], v5, s61, 0
	v_mad_u64_u32 v[8:9], s[0:1], v7, s60, 0
	v_xor_b32_e32 v5, v24, v11
	v_xor_b32_e32 v5, v5, v6
	v_xor_b32_e32 v6, v35, v9
	v_xor_b32_e32 v6, v6, v4
	v_mad_u64_u32 v[4:5], s[0:1], v5, s60, 0
	v_mad_u64_u32 v[6:7], s[0:1], v6, s61, 0
	v_xor_b32_e32 v5, v23, v5
	v_xor_b32_e32 v7, v36, v7
	v_xor_b32_e32 v5, v5, v8
	v_xor_b32_e32 v7, v7, v10
	v_mad_u64_u32 v[10:11], s[0:1], v5, s61, 0
	v_mad_u64_u32 v[8:9], s[0:1], v7, s60, 0
	v_xor_b32_e32 v5, v22, v11
	v_xor_b32_e32 v5, v5, v6
	v_xor_b32_e32 v6, v37, v9
	v_xor_b32_e32 v4, v6, v4
	v_mad_u64_u32 v[6:7], s[0:1], v5, s60, 0
	v_mad_u64_u32 v[4:5], s[0:1], v4, s61, 0
	v_xor_b32_e32 v5, v38, v5
	v_xor_b32_e32 v5, v5, v10
	v_xor_b32_e32 v7, v21, v7
	v_xor_b32_e32 v7, v7, v8
	v_mad_u64_u32 v[16:17], s[0:1], v5, s60, 0
	v_mad_u64_u32 v[10:11], s[0:1], v7, s61, 0
	v_xor_b32_e32 v5, v17, v6
	v_xor_b32_e32 v4, v11, v4
	v_xor_b32_e32 v11, v20, v5
	v_xor_b32_e32 v4, v19, v4
	v_mov_b32_e32 v5, v10
	v_mov_b32_e32 v6, v11
	v_cmp_lt_i32_e32 vcc, 1, v18
	s_and_saveexec_b64 s[0:1], vcc
	s_xor_b64 s[0:1], exec, s[0:1]
	s_cbranch_execz .LBB146_15
; %bb.10:                               ;   in Loop: Header=BB146_9 Depth=1
	v_cmp_lt_i32_e32 vcc, 2, v18
	s_and_saveexec_b64 s[2:3], vcc
	s_xor_b64 s[2:3], exec, s[2:3]
; %bb.11:                               ;   in Loop: Header=BB146_9 Depth=1
	v_mov_b32_e32 v8, v3
	v_mov_b32_e32 v9, v4
	v_pk_mov_b32 v[0:1], v[8:9], v[8:9] op_sel:[0,1]
	v_pk_mov_b32 v[2:3], v[10:11], v[10:11] op_sel:[0,1]
                                        ; implicit-def: $vgpr10_vgpr11
; %bb.12:                               ;   in Loop: Header=BB146_9 Depth=1
	s_andn2_saveexec_b64 s[2:3], s[2:3]
; %bb.13:                               ;   in Loop: Header=BB146_9 Depth=1
	v_mov_b32_e32 v0, v2
	v_mov_b32_e32 v1, v3
	v_mov_b32_e32 v2, v4
	v_mov_b32_e32 v3, v10
; %bb.14:                               ;   in Loop: Header=BB146_9 Depth=1
	s_or_b64 exec, exec, s[2:3]
.LBB146_15:                             ;   in Loop: Header=BB146_9 Depth=1
	s_andn2_saveexec_b64 s[0:1], s[0:1]
	s_cbranch_execz .LBB146_19
; %bb.16:                               ;   in Loop: Header=BB146_9 Depth=1
	v_cmp_eq_u32_e32 vcc, 1, v18
	s_and_saveexec_b64 s[2:3], vcc
; %bb.17:                               ;   in Loop: Header=BB146_9 Depth=1
	v_mov_b32_e32 v0, v1
	v_mov_b32_e32 v1, v2
	;; [unrolled: 1-line block ×4, first 2 shown]
; %bb.18:                               ;   in Loop: Header=BB146_9 Depth=1
	s_or_b64 exec, exec, s[2:3]
.LBB146_19:                             ;   in Loop: Header=BB146_9 Depth=1
	s_or_b64 exec, exec, s[0:1]
	v_cndmask_b32_e64 v7, 0, 1, s[40:41]
	v_cmp_gt_i64_e32 vcc, s[24:25], v[14:15]
	v_cmp_ne_u32_e64 s[0:1], 1, v7
	s_and_saveexec_b64 s[2:3], vcc
	s_cbranch_execz .LBB146_35
; %bb.20:                               ;   in Loop: Header=BB146_9 Depth=1
	s_and_b64 vcc, exec, s[0:1]
	s_cbranch_vccnz .LBB146_26
; %bb.21:                               ;   in Loop: Header=BB146_9 Depth=1
	s_andn2_b64 vcc, exec, s[42:43]
	s_cbranch_vccnz .LBB146_27
; %bb.22:                               ;   in Loop: Header=BB146_9 Depth=1
	s_mov_b32 s6, 0
	s_andn2_b64 vcc, exec, s[30:31]
	v_mov_b32_e32 v8, 0
	s_cbranch_vccnz .LBB146_28
; %bb.23:                               ;   in Loop: Header=BB146_9 Depth=1
	s_mov_b32 s62, 0
	v_mov_b32_e32 v8, 0
	s_mov_b64 s[54:55], s[34:35]
	s_mov_b64 s[56:57], s[44:45]
	v_mov_b32_e32 v7, v14
.LBB146_24:                             ;   Parent Loop BB146_9 Depth=1
                                        ; =>  This Inner Loop Header: Depth=2
	s_load_dwordx8 s[16:23], s[54:55], 0x4
	s_load_dwordx4 s[4:7], s[54:55], 0x24
	s_load_dwordx4 s[36:39], s[56:57], 0x0
	s_add_u32 s54, s54, 48
	s_addc_u32 s55, s55, 0
	s_waitcnt lgkmcnt(0)
	v_mul_hi_u32 v9, s17, v7
	v_add_u32_e32 v9, v7, v9
	v_lshrrev_b32_e32 v9, s18, v9
	v_mul_lo_u32 v10, v9, s16
	v_mul_hi_u32 v11, s20, v9
	v_sub_u32_e32 v7, v7, v10
	v_add_u32_e32 v10, v9, v11
	v_lshrrev_b32_e32 v10, s21, v10
	v_mul_lo_u32 v11, v10, s19
	v_mul_hi_u32 v17, s23, v10
	v_sub_u32_e32 v9, v9, v11
	v_add_u32_e32 v11, v10, v17
	v_mul_lo_u32 v7, v7, s36
	v_mul_lo_u32 v9, v9, s37
	v_lshrrev_b32_e32 v11, s4, v11
	v_add3_u32 v8, v7, v8, v9
	v_mul_lo_u32 v7, v11, s22
	v_mul_hi_u32 v9, s6, v11
	v_sub_u32_e32 v7, v10, v7
	v_add_u32_e32 v9, v11, v9
	v_mul_lo_u32 v10, v7, s38
	v_lshrrev_b32_e32 v7, s7, v9
	s_add_i32 s62, s62, 4
	v_mul_lo_u32 v9, v7, s5
	s_add_u32 s56, s56, 16
	v_sub_u32_e32 v9, v11, v9
	s_addc_u32 s57, s57, 0
	v_mul_lo_u32 v9, v9, s39
	s_cmp_lg_u32 s15, s62
	v_add3_u32 v8, v10, v8, v9
	s_cbranch_scc1 .LBB146_24
; %bb.25:                               ;   in Loop: Header=BB146_9 Depth=1
	s_mov_b32 s6, s15
	s_andn2_b64 vcc, exec, s[52:53]
	s_cbranch_vccz .LBB146_29
	s_branch .LBB146_31
.LBB146_26:                             ;   in Loop: Header=BB146_9 Depth=1
                                        ; implicit-def: $vgpr8
	s_branch .LBB146_32
.LBB146_27:                             ;   in Loop: Header=BB146_9 Depth=1
	v_mov_b32_e32 v8, 0
	s_branch .LBB146_31
.LBB146_28:                             ;   in Loop: Header=BB146_9 Depth=1
	v_mov_b32_e32 v7, v14
	s_andn2_b64 vcc, exec, s[52:53]
	s_cbranch_vccnz .LBB146_31
.LBB146_29:                             ;   in Loop: Header=BB146_9 Depth=1
	s_lshl_b32 s4, s6, 2
	s_add_u32 s4, s44, s4
	s_addc_u32 s5, s45, 0
	s_mul_i32 s6, s6, 12
	s_add_u32 s6, s34, s6
	s_addc_u32 s7, s35, 0
	s_mov_b32 s16, s13
.LBB146_30:                             ;   Parent Loop BB146_9 Depth=1
                                        ; =>  This Inner Loop Header: Depth=2
	s_load_dwordx2 s[18:19], s[6:7], 0x4
	s_load_dword s17, s[6:7], 0xc
	s_load_dword s20, s[4:5], 0x0
	s_add_u32 s6, s6, 12
	s_addc_u32 s7, s7, 0
	s_waitcnt lgkmcnt(0)
	v_mul_hi_u32 v9, s19, v7
	v_add_u32_e32 v9, v7, v9
	v_lshrrev_b32_e32 v9, s17, v9
	s_add_u32 s4, s4, 4
	v_mul_lo_u32 v10, v9, s18
	s_addc_u32 s5, s5, 0
	s_add_i32 s16, s16, -1
	v_sub_u32_e32 v10, v7, v10
	s_cmp_lg_u32 s16, 0
	v_mov_b32_e32 v7, v9
	v_mad_u64_u32 v[8:9], s[18:19], v10, s20, v[8:9]
	s_cbranch_scc1 .LBB146_30
.LBB146_31:                             ;   in Loop: Header=BB146_9 Depth=1
	s_cbranch_execnz .LBB146_34
.LBB146_32:                             ;   in Loop: Header=BB146_9 Depth=1
	v_mul_hi_u32 v7, v14, s10
	v_add_u32_e32 v7, v7, v14
	v_lshrrev_b32_e32 v7, s11, v7
	v_mul_lo_u32 v8, v7, s9
	v_sub_u32_e32 v8, v14, v8
	s_andn2_b64 vcc, exec, s[48:49]
	v_mul_lo_u32 v8, v8, s46
	s_cbranch_vccnz .LBB146_34
; %bb.33:                               ;   in Loop: Header=BB146_9 Depth=1
	v_mul_hi_u32 v9, s8, v7
	v_add_u32_e32 v9, v7, v9
	v_lshrrev_b32_e32 v9, s14, v9
	v_mul_lo_u32 v9, v9, s12
	v_sub_u32_e32 v7, v7, v9
	v_mad_u64_u32 v[8:9], s[4:5], v7, s47, v[8:9]
.LBB146_34:                             ;   in Loop: Header=BB146_9 Depth=1
	v_lshrrev_b32_e32 v1, 11, v1
	v_cvt_f64_u32_e32 v[10:11], v1
	v_ldexp_f64 v[10:11], v[10:11], 32
	v_cvt_f64_u32_e32 v[0:1], v0
	v_add_f64 v[0:1], v[10:11], v[0:1]
	v_mov_b32_e32 v10, 0
	v_mov_b32_e32 v11, 0x3ca00000
	v_fmac_f64_e32 v[10:11], 0x3ca00000, v[0:1]
	v_cvt_f32_f64_e32 v0, v[10:11]
	v_cmp_gt_f32_e32 vcc, v39, v0
	v_cndmask_b32_e64 v0, 0, 1.0, vcc
	global_store_dword v8, v0, s[28:29]
.LBB146_35:                             ;   in Loop: Header=BB146_9 Depth=1
	s_or_b64 exec, exec, s[2:3]
	v_mov_b32_e32 v1, s59
	v_add_co_u32_e32 v0, vcc, s33, v14
	v_addc_co_u32_e32 v1, vcc, v15, v1, vcc
	v_cmp_gt_i64_e32 vcc, s[24:25], v[0:1]
	s_and_saveexec_b64 s[36:37], vcc
	s_cbranch_execz .LBB146_8
; %bb.36:                               ;   in Loop: Header=BB146_9 Depth=1
	s_and_b64 vcc, exec, s[0:1]
	s_cbranch_vccnz .LBB146_42
; %bb.37:                               ;   in Loop: Header=BB146_9 Depth=1
	s_andn2_b64 vcc, exec, s[42:43]
	s_cbranch_vccnz .LBB146_43
; %bb.38:                               ;   in Loop: Header=BB146_9 Depth=1
	s_mov_b32 s2, 0
	s_andn2_b64 vcc, exec, s[30:31]
	v_mov_b32_e32 v8, 0
	s_cbranch_vccnz .LBB146_44
; %bb.39:                               ;   in Loop: Header=BB146_9 Depth=1
	s_mov_b32 s56, 0
	v_mov_b32_e32 v8, 0
	s_mov_b64 s[38:39], s[34:35]
	s_mov_b64 s[54:55], s[44:45]
	v_mov_b32_e32 v1, v0
.LBB146_40:                             ;   Parent Loop BB146_9 Depth=1
                                        ; =>  This Inner Loop Header: Depth=2
	s_load_dwordx8 s[0:7], s[38:39], 0x4
	s_load_dwordx4 s[16:19], s[38:39], 0x24
	s_load_dwordx4 s[20:23], s[54:55], 0x0
	s_add_u32 s38, s38, 48
	s_addc_u32 s39, s39, 0
	s_waitcnt lgkmcnt(0)
	v_mul_hi_u32 v7, s1, v1
	v_add_u32_e32 v7, v1, v7
	v_lshrrev_b32_e32 v7, s2, v7
	v_mul_lo_u32 v9, v7, s0
	v_mul_hi_u32 v10, s4, v7
	v_sub_u32_e32 v1, v1, v9
	v_add_u32_e32 v9, v7, v10
	v_lshrrev_b32_e32 v9, s5, v9
	v_mul_lo_u32 v10, v9, s3
	v_mul_hi_u32 v11, s7, v9
	v_sub_u32_e32 v7, v7, v10
	v_add_u32_e32 v10, v9, v11
	v_mul_lo_u32 v1, v1, s20
	v_mul_lo_u32 v7, v7, s21
	v_lshrrev_b32_e32 v10, s16, v10
	v_add3_u32 v7, v1, v8, v7
	v_mul_lo_u32 v1, v10, s6
	v_mul_hi_u32 v8, s18, v10
	v_sub_u32_e32 v1, v9, v1
	v_add_u32_e32 v8, v10, v8
	v_mul_lo_u32 v9, v1, s22
	v_lshrrev_b32_e32 v1, s19, v8
	s_add_i32 s56, s56, 4
	v_mul_lo_u32 v8, v1, s17
	s_add_u32 s54, s54, 16
	v_sub_u32_e32 v8, v10, v8
	s_addc_u32 s55, s55, 0
	v_mul_lo_u32 v8, v8, s23
	s_cmp_eq_u32 s15, s56
	v_add3_u32 v8, v9, v7, v8
	s_cbranch_scc0 .LBB146_40
; %bb.41:                               ;   in Loop: Header=BB146_9 Depth=1
	s_mov_b32 s2, s15
	s_andn2_b64 vcc, exec, s[52:53]
	s_cbranch_vccz .LBB146_45
	s_branch .LBB146_47
.LBB146_42:                             ;   in Loop: Header=BB146_9 Depth=1
                                        ; implicit-def: $vgpr8
	s_branch .LBB146_48
.LBB146_43:                             ;   in Loop: Header=BB146_9 Depth=1
	v_mov_b32_e32 v8, 0
	s_branch .LBB146_47
.LBB146_44:                             ;   in Loop: Header=BB146_9 Depth=1
	v_mov_b32_e32 v1, v0
	s_andn2_b64 vcc, exec, s[52:53]
	s_cbranch_vccnz .LBB146_47
.LBB146_45:                             ;   in Loop: Header=BB146_9 Depth=1
	s_lshl_b32 s0, s2, 2
	s_add_u32 s0, s44, s0
	s_addc_u32 s1, s45, 0
	s_mul_i32 s2, s2, 12
	s_add_u32 s2, s34, s2
	s_addc_u32 s3, s35, 0
	s_mov_b32 s4, s13
.LBB146_46:                             ;   Parent Loop BB146_9 Depth=1
                                        ; =>  This Inner Loop Header: Depth=2
	s_load_dwordx2 s[6:7], s[2:3], 0x4
	s_load_dword s5, s[2:3], 0xc
	s_load_dword s16, s[0:1], 0x0
	s_add_u32 s2, s2, 12
	s_addc_u32 s3, s3, 0
	s_waitcnt lgkmcnt(0)
	v_mul_hi_u32 v7, s7, v1
	v_add_u32_e32 v7, v1, v7
	v_lshrrev_b32_e32 v7, s5, v7
	s_add_u32 s0, s0, 4
	v_mul_lo_u32 v9, v7, s6
	s_addc_u32 s1, s1, 0
	s_add_i32 s4, s4, -1
	v_sub_u32_e32 v9, v1, v9
	s_cmp_lg_u32 s4, 0
	v_mov_b32_e32 v1, v7
	v_mad_u64_u32 v[8:9], s[6:7], v9, s16, v[8:9]
	s_cbranch_scc1 .LBB146_46
.LBB146_47:                             ;   in Loop: Header=BB146_9 Depth=1
	s_cbranch_execnz .LBB146_7
.LBB146_48:                             ;   in Loop: Header=BB146_9 Depth=1
	v_mul_hi_u32 v1, v0, s10
	v_add_u32_e32 v1, v1, v0
	v_lshrrev_b32_e32 v1, s11, v1
	v_mul_lo_u32 v7, v1, s9
	v_sub_u32_e32 v0, v0, v7
	s_andn2_b64 vcc, exec, s[48:49]
	v_mul_lo_u32 v8, v0, s46
	s_cbranch_vccnz .LBB146_7
; %bb.49:                               ;   in Loop: Header=BB146_9 Depth=1
	v_mul_hi_u32 v0, s8, v1
	v_add_u32_e32 v0, v1, v0
	v_lshrrev_b32_e32 v0, s14, v0
	v_mul_lo_u32 v0, v0, s12
	v_sub_u32_e32 v0, v1, v0
	v_mad_u64_u32 v[8:9], s[0:1], v0, s47, v[8:9]
	s_branch .LBB146_7
.LBB146_50:
	s_endpgm
.LBB146_51:
                                        ; implicit-def: $sgpr2_sgpr3
	s_andn2_b64 vcc, exec, s[0:1]
	s_cbranch_vccz .LBB146_4
	s_branch .LBB146_5
	.section	.rodata,"a",@progbits
	.p2align	6, 0x0
	.amdhsa_kernel _ZN2at6native12_GLOBAL__N_143distribution_elementwise_grid_stride_kernelIfLi4EZNS0_9templates4cuda21uniform_and_transformIffPNS_17CUDAGeneratorImplEZZZNS4_16bernoulli_kernelIS7_EEvRNS_18TensorIteratorBaseEdT_ENKUlvE_clEvENKUlvE5_clEvEUlfE_EEvSA_T1_T2_EUlP25hiprandStatePhilox4_32_10E_ZNS1_27distribution_nullary_kernelIff15HIP_vector_typeIdLj2EES7_SJ_SE_EEvSA_SG_RKT3_T4_EUlifE0_EEvlNS_15PhiloxCudaStateESF_SG_
		.amdhsa_group_segment_fixed_size 0
		.amdhsa_private_segment_fixed_size 0
		.amdhsa_kernarg_size 584
		.amdhsa_user_sgpr_count 6
		.amdhsa_user_sgpr_private_segment_buffer 1
		.amdhsa_user_sgpr_dispatch_ptr 0
		.amdhsa_user_sgpr_queue_ptr 0
		.amdhsa_user_sgpr_kernarg_segment_ptr 1
		.amdhsa_user_sgpr_dispatch_id 0
		.amdhsa_user_sgpr_flat_scratch_init 0
		.amdhsa_user_sgpr_kernarg_preload_length 0
		.amdhsa_user_sgpr_kernarg_preload_offset 0
		.amdhsa_user_sgpr_private_segment_size 0
		.amdhsa_uses_dynamic_stack 0
		.amdhsa_system_sgpr_private_segment_wavefront_offset 0
		.amdhsa_system_sgpr_workgroup_id_x 1
		.amdhsa_system_sgpr_workgroup_id_y 0
		.amdhsa_system_sgpr_workgroup_id_z 0
		.amdhsa_system_sgpr_workgroup_info 0
		.amdhsa_system_vgpr_workitem_id 0
		.amdhsa_next_free_vgpr 42
		.amdhsa_next_free_sgpr 63
		.amdhsa_accum_offset 44
		.amdhsa_reserve_vcc 1
		.amdhsa_reserve_flat_scratch 0
		.amdhsa_float_round_mode_32 0
		.amdhsa_float_round_mode_16_64 0
		.amdhsa_float_denorm_mode_32 3
		.amdhsa_float_denorm_mode_16_64 3
		.amdhsa_dx10_clamp 1
		.amdhsa_ieee_mode 1
		.amdhsa_fp16_overflow 0
		.amdhsa_tg_split 0
		.amdhsa_exception_fp_ieee_invalid_op 0
		.amdhsa_exception_fp_denorm_src 0
		.amdhsa_exception_fp_ieee_div_zero 0
		.amdhsa_exception_fp_ieee_overflow 0
		.amdhsa_exception_fp_ieee_underflow 0
		.amdhsa_exception_fp_ieee_inexact 0
		.amdhsa_exception_int_div_zero 0
	.end_amdhsa_kernel
	.section	.text._ZN2at6native12_GLOBAL__N_143distribution_elementwise_grid_stride_kernelIfLi4EZNS0_9templates4cuda21uniform_and_transformIffPNS_17CUDAGeneratorImplEZZZNS4_16bernoulli_kernelIS7_EEvRNS_18TensorIteratorBaseEdT_ENKUlvE_clEvENKUlvE5_clEvEUlfE_EEvSA_T1_T2_EUlP25hiprandStatePhilox4_32_10E_ZNS1_27distribution_nullary_kernelIff15HIP_vector_typeIdLj2EES7_SJ_SE_EEvSA_SG_RKT3_T4_EUlifE0_EEvlNS_15PhiloxCudaStateESF_SG_,"axG",@progbits,_ZN2at6native12_GLOBAL__N_143distribution_elementwise_grid_stride_kernelIfLi4EZNS0_9templates4cuda21uniform_and_transformIffPNS_17CUDAGeneratorImplEZZZNS4_16bernoulli_kernelIS7_EEvRNS_18TensorIteratorBaseEdT_ENKUlvE_clEvENKUlvE5_clEvEUlfE_EEvSA_T1_T2_EUlP25hiprandStatePhilox4_32_10E_ZNS1_27distribution_nullary_kernelIff15HIP_vector_typeIdLj2EES7_SJ_SE_EEvSA_SG_RKT3_T4_EUlifE0_EEvlNS_15PhiloxCudaStateESF_SG_,comdat
.Lfunc_end146:
	.size	_ZN2at6native12_GLOBAL__N_143distribution_elementwise_grid_stride_kernelIfLi4EZNS0_9templates4cuda21uniform_and_transformIffPNS_17CUDAGeneratorImplEZZZNS4_16bernoulli_kernelIS7_EEvRNS_18TensorIteratorBaseEdT_ENKUlvE_clEvENKUlvE5_clEvEUlfE_EEvSA_T1_T2_EUlP25hiprandStatePhilox4_32_10E_ZNS1_27distribution_nullary_kernelIff15HIP_vector_typeIdLj2EES7_SJ_SE_EEvSA_SG_RKT3_T4_EUlifE0_EEvlNS_15PhiloxCudaStateESF_SG_, .Lfunc_end146-_ZN2at6native12_GLOBAL__N_143distribution_elementwise_grid_stride_kernelIfLi4EZNS0_9templates4cuda21uniform_and_transformIffPNS_17CUDAGeneratorImplEZZZNS4_16bernoulli_kernelIS7_EEvRNS_18TensorIteratorBaseEdT_ENKUlvE_clEvENKUlvE5_clEvEUlfE_EEvSA_T1_T2_EUlP25hiprandStatePhilox4_32_10E_ZNS1_27distribution_nullary_kernelIff15HIP_vector_typeIdLj2EES7_SJ_SE_EEvSA_SG_RKT3_T4_EUlifE0_EEvlNS_15PhiloxCudaStateESF_SG_
                                        ; -- End function
	.section	.AMDGPU.csdata,"",@progbits
; Kernel info:
; codeLenInByte = 3312
; NumSgprs: 67
; NumVgprs: 42
; NumAgprs: 0
; TotalNumVgprs: 42
; ScratchSize: 0
; MemoryBound: 0
; FloatMode: 240
; IeeeMode: 1
; LDSByteSize: 0 bytes/workgroup (compile time only)
; SGPRBlocks: 8
; VGPRBlocks: 5
; NumSGPRsForWavesPerEU: 67
; NumVGPRsForWavesPerEU: 42
; AccumOffset: 44
; Occupancy: 8
; WaveLimiterHint : 1
; COMPUTE_PGM_RSRC2:SCRATCH_EN: 0
; COMPUTE_PGM_RSRC2:USER_SGPR: 6
; COMPUTE_PGM_RSRC2:TRAP_HANDLER: 0
; COMPUTE_PGM_RSRC2:TGID_X_EN: 1
; COMPUTE_PGM_RSRC2:TGID_Y_EN: 0
; COMPUTE_PGM_RSRC2:TGID_Z_EN: 0
; COMPUTE_PGM_RSRC2:TIDIG_COMP_CNT: 0
; COMPUTE_PGM_RSRC3_GFX90A:ACCUM_OFFSET: 10
; COMPUTE_PGM_RSRC3_GFX90A:TG_SPLIT: 0
	.section	.text._ZN2at6native12_GLOBAL__N_143distribution_elementwise_grid_stride_kernelIfLi4EZNS0_9templates4cuda21uniform_and_transformIffPNS_17CUDAGeneratorImplEZZZNS4_16bernoulli_kernelIS7_EEvRNS_18TensorIteratorBaseEdT_ENKUlvE_clEvENKUlvE5_clEvEUlfE_EEvSA_T1_T2_EUlP25hiprandStatePhilox4_32_10E0_ZNS1_27distribution_nullary_kernelIff15HIP_vector_typeIfLj4EES7_SJ_SE_EEvSA_SG_RKT3_T4_EUlifE_EEvlNS_15PhiloxCudaStateESF_SG_,"axG",@progbits,_ZN2at6native12_GLOBAL__N_143distribution_elementwise_grid_stride_kernelIfLi4EZNS0_9templates4cuda21uniform_and_transformIffPNS_17CUDAGeneratorImplEZZZNS4_16bernoulli_kernelIS7_EEvRNS_18TensorIteratorBaseEdT_ENKUlvE_clEvENKUlvE5_clEvEUlfE_EEvSA_T1_T2_EUlP25hiprandStatePhilox4_32_10E0_ZNS1_27distribution_nullary_kernelIff15HIP_vector_typeIfLj4EES7_SJ_SE_EEvSA_SG_RKT3_T4_EUlifE_EEvlNS_15PhiloxCudaStateESF_SG_,comdat
	.globl	_ZN2at6native12_GLOBAL__N_143distribution_elementwise_grid_stride_kernelIfLi4EZNS0_9templates4cuda21uniform_and_transformIffPNS_17CUDAGeneratorImplEZZZNS4_16bernoulli_kernelIS7_EEvRNS_18TensorIteratorBaseEdT_ENKUlvE_clEvENKUlvE5_clEvEUlfE_EEvSA_T1_T2_EUlP25hiprandStatePhilox4_32_10E0_ZNS1_27distribution_nullary_kernelIff15HIP_vector_typeIfLj4EES7_SJ_SE_EEvSA_SG_RKT3_T4_EUlifE_EEvlNS_15PhiloxCudaStateESF_SG_ ; -- Begin function _ZN2at6native12_GLOBAL__N_143distribution_elementwise_grid_stride_kernelIfLi4EZNS0_9templates4cuda21uniform_and_transformIffPNS_17CUDAGeneratorImplEZZZNS4_16bernoulli_kernelIS7_EEvRNS_18TensorIteratorBaseEdT_ENKUlvE_clEvENKUlvE5_clEvEUlfE_EEvSA_T1_T2_EUlP25hiprandStatePhilox4_32_10E0_ZNS1_27distribution_nullary_kernelIff15HIP_vector_typeIfLj4EES7_SJ_SE_EEvSA_SG_RKT3_T4_EUlifE_EEvlNS_15PhiloxCudaStateESF_SG_
	.p2align	8
	.type	_ZN2at6native12_GLOBAL__N_143distribution_elementwise_grid_stride_kernelIfLi4EZNS0_9templates4cuda21uniform_and_transformIffPNS_17CUDAGeneratorImplEZZZNS4_16bernoulli_kernelIS7_EEvRNS_18TensorIteratorBaseEdT_ENKUlvE_clEvENKUlvE5_clEvEUlfE_EEvSA_T1_T2_EUlP25hiprandStatePhilox4_32_10E0_ZNS1_27distribution_nullary_kernelIff15HIP_vector_typeIfLj4EES7_SJ_SE_EEvSA_SG_RKT3_T4_EUlifE_EEvlNS_15PhiloxCudaStateESF_SG_,@function
_ZN2at6native12_GLOBAL__N_143distribution_elementwise_grid_stride_kernelIfLi4EZNS0_9templates4cuda21uniform_and_transformIffPNS_17CUDAGeneratorImplEZZZNS4_16bernoulli_kernelIS7_EEvRNS_18TensorIteratorBaseEdT_ENKUlvE_clEvENKUlvE5_clEvEUlfE_EEvSA_T1_T2_EUlP25hiprandStatePhilox4_32_10E0_ZNS1_27distribution_nullary_kernelIff15HIP_vector_typeIfLj4EES7_SJ_SE_EEvSA_SG_RKT3_T4_EUlifE_EEvlNS_15PhiloxCudaStateESF_SG_: ; @_ZN2at6native12_GLOBAL__N_143distribution_elementwise_grid_stride_kernelIfLi4EZNS0_9templates4cuda21uniform_and_transformIffPNS_17CUDAGeneratorImplEZZZNS4_16bernoulli_kernelIS7_EEvRNS_18TensorIteratorBaseEdT_ENKUlvE_clEvENKUlvE5_clEvEUlfE_EEvSA_T1_T2_EUlP25hiprandStatePhilox4_32_10E0_ZNS1_27distribution_nullary_kernelIff15HIP_vector_typeIfLj4EES7_SJ_SE_EEvSA_SG_RKT3_T4_EUlifE_EEvlNS_15PhiloxCudaStateESF_SG_
; %bb.0:
	s_load_dword s7, s[4:5], 0x20
	s_load_dwordx2 s[10:11], s[4:5], 0x10
	s_load_dwordx4 s[0:3], s[4:5], 0x0
	s_mov_b32 s8, 0
	s_waitcnt lgkmcnt(0)
	s_bitcmp0_b32 s7, 0
	v_pk_mov_b32 v[2:3], s[10:11], s[10:11] op_sel:[0,1]
	v_pk_mov_b32 v[14:15], s[2:3], s[2:3] op_sel:[0,1]
	s_cbranch_scc1 .LBB147_2
; %bb.1:
	v_pk_mov_b32 v[2:3], s[10:11], s[10:11] op_sel:[0,1]
	flat_load_dwordx2 v[2:3], v[2:3]
	v_pk_mov_b32 v[4:5], s[2:3], s[2:3] op_sel:[0,1]
	flat_load_dwordx2 v[14:15], v[4:5]
	s_load_dwordx2 s[2:3], s[4:5], 0x18
	s_waitcnt lgkmcnt(0)
	v_mov_b32_e32 v1, s3
	s_waitcnt vmcnt(0)
	v_add_co_u32_e32 v2, vcc, s2, v2
	v_addc_co_u32_e32 v3, vcc, v3, v1, vcc
.LBB147_2:
	s_load_dword s2, s[4:5], 0x54
	s_load_dword s17, s[4:5], 0x48
	s_waitcnt lgkmcnt(0)
	s_and_b32 s7, s2, 0xffff
	s_add_u32 s10, s0, -1
	s_mul_i32 s12, s17, s7
	s_addc_u32 s9, s1, -1
	s_lshl_b32 s13, s12, 2
	s_cmp_lg_u64 s[8:9], 0
	s_mov_b64 s[2:3], -1
	s_cbranch_scc0 .LBB147_27
; %bb.3:
	v_cvt_f32_u32_e32 v1, s13
	v_cvt_f32_ubyte0_e32 v4, 0
	s_sub_u32 s8, 0, s13
	s_subb_u32 s11, 0, 0
	v_madmk_f32 v1, v4, 0x4f800000, v1
	v_rcp_f32_e32 v1, v1
	v_mul_f32_e32 v1, 0x5f7ffffc, v1
	v_mul_f32_e32 v4, 0x2f800000, v1
	v_trunc_f32_e32 v4, v4
	v_madmk_f32 v1, v4, 0xcf800000, v1
	v_cvt_u32_f32_e32 v4, v4
	v_cvt_u32_f32_e32 v1, v1
	v_readfirstlane_b32 s14, v4
	v_readfirstlane_b32 s15, v1
	s_mul_i32 s16, s8, s14
	s_mul_hi_u32 s19, s8, s15
	s_mul_i32 s18, s11, s15
	s_add_i32 s16, s19, s16
	s_add_i32 s16, s16, s18
	s_mul_i32 s20, s8, s15
	s_mul_hi_u32 s18, s15, s16
	s_mul_i32 s19, s15, s16
	s_mul_hi_u32 s15, s15, s20
	s_add_u32 s15, s15, s19
	s_addc_u32 s18, 0, s18
	s_mul_hi_u32 s21, s14, s20
	s_mul_i32 s20, s14, s20
	s_add_u32 s15, s15, s20
	s_mul_hi_u32 s19, s14, s16
	s_addc_u32 s15, s18, s21
	s_addc_u32 s18, s19, 0
	s_mul_i32 s16, s14, s16
	s_add_u32 s15, s15, s16
	s_addc_u32 s16, 0, s18
	v_add_co_u32_e32 v1, vcc, s15, v1
	s_cmp_lg_u64 vcc, 0
	s_addc_u32 s14, s14, s16
	v_readfirstlane_b32 s16, v1
	s_mul_i32 s15, s8, s14
	s_mul_hi_u32 s18, s8, s16
	s_add_i32 s15, s18, s15
	s_mul_i32 s11, s11, s16
	s_add_i32 s15, s15, s11
	s_mul_i32 s8, s8, s16
	s_mul_hi_u32 s18, s14, s8
	s_mul_i32 s19, s14, s8
	s_mul_i32 s21, s16, s15
	s_mul_hi_u32 s8, s16, s8
	s_mul_hi_u32 s20, s16, s15
	s_add_u32 s8, s8, s21
	s_addc_u32 s16, 0, s20
	s_add_u32 s8, s8, s19
	s_mul_hi_u32 s11, s14, s15
	s_addc_u32 s8, s16, s18
	s_addc_u32 s11, s11, 0
	s_mul_i32 s15, s14, s15
	s_add_u32 s8, s8, s15
	s_addc_u32 s11, 0, s11
	v_add_co_u32_e32 v1, vcc, s8, v1
	s_cmp_lg_u64 vcc, 0
	s_addc_u32 s11, s14, s11
	s_ashr_i32 s14, s9, 31
	s_add_u32 s8, s10, s14
	s_mov_b32 s15, s14
	s_addc_u32 s9, s9, s14
	s_xor_b64 s[8:9], s[8:9], s[14:15]
	v_readfirstlane_b32 s19, v1
	s_mul_i32 s18, s8, s11
	s_mul_hi_u32 s20, s8, s19
	s_mul_hi_u32 s16, s8, s11
	s_add_u32 s18, s20, s18
	s_addc_u32 s16, 0, s16
	s_mul_hi_u32 s21, s9, s19
	s_mul_i32 s19, s9, s19
	s_add_u32 s18, s18, s19
	s_mul_hi_u32 s20, s9, s11
	s_addc_u32 s16, s16, s21
	s_addc_u32 s18, s20, 0
	s_mul_i32 s11, s9, s11
	s_add_u32 s11, s16, s11
	s_addc_u32 s16, 0, s18
	s_add_u32 s18, s11, 1
	s_addc_u32 s19, s16, 0
	s_add_u32 s20, s11, 2
	s_mul_i32 s22, s13, s16
	s_mul_hi_u32 s23, s13, s11
	s_addc_u32 s21, s16, 0
	s_add_i32 s23, s23, s22
	s_mul_i32 s22, s13, s11
	v_mov_b32_e32 v1, s22
	v_sub_co_u32_e32 v1, vcc, s8, v1
	s_cmp_lg_u64 vcc, 0
	s_subb_u32 s8, s9, s23
	v_subrev_co_u32_e32 v4, vcc, s13, v1
	s_cmp_lg_u64 vcc, 0
	s_subb_u32 s9, s8, 0
	v_readfirstlane_b32 s22, v4
	s_cmp_ge_u32 s22, s13
	s_cselect_b32 s22, -1, 0
	s_cmp_eq_u32 s9, 0
	s_cselect_b32 s9, s22, -1
	s_cmp_lg_u32 s9, 0
	s_cselect_b32 s9, s21, s19
	v_readfirstlane_b32 s19, v1
	s_cselect_b32 s18, s20, s18
	s_cmp_ge_u32 s19, s13
	s_cselect_b32 s19, -1, 0
	s_cmp_eq_u32 s8, 0
	s_cselect_b32 s8, s19, -1
	s_cmp_lg_u32 s8, 0
	s_cselect_b32 s9, s9, s16
	s_cselect_b32 s8, s18, s11
	s_xor_b64 s[8:9], s[8:9], s[14:15]
	s_sub_u32 s8, s8, s14
	s_subb_u32 s9, s9, s14
	s_cbranch_execnz .LBB147_5
.LBB147_4:
	v_cvt_f32_u32_e32 v1, s13
	s_sub_i32 s2, 0, s13
	s_mov_b32 s9, 0
	v_rcp_iflag_f32_e32 v1, v1
	v_mul_f32_e32 v1, 0x4f7ffffe, v1
	v_cvt_u32_f32_e32 v1, v1
	v_readfirstlane_b32 s3, v1
	s_mul_i32 s2, s2, s3
	s_mul_hi_u32 s2, s3, s2
	s_add_i32 s3, s3, s2
	s_mul_hi_u32 s2, s10, s3
	s_mul_i32 s8, s2, s13
	s_sub_i32 s8, s10, s8
	s_add_i32 s3, s2, 1
	s_sub_i32 s10, s8, s13
	s_cmp_ge_u32 s8, s13
	s_cselect_b32 s2, s3, s2
	s_cselect_b32 s8, s10, s8
	s_add_i32 s3, s2, 1
	s_cmp_ge_u32 s8, s13
	s_cselect_b32 s8, s3, s2
.LBB147_5:
	v_mov_b32_e32 v1, 0
	v_mov_b32_e32 v4, s6
	v_mad_u64_u32 v[16:17], s[2:3], s7, v4, v[0:1]
	s_add_u32 s2, s8, 1
	s_addc_u32 s3, s9, 0
	s_mul_hi_u32 s8, s17, s7
	s_mul_i32 s3, s12, s3
	s_mul_hi_u32 s9, s12, s2
	s_add_i32 s3, s9, s3
	s_mul_i32 s8, s8, s2
	s_add_i32 s3, s3, s8
	s_mul_i32 s2, s12, s2
	s_lshl_b64 s[2:3], s[2:3], 2
	v_cmp_gt_i64_e32 vcc, s[2:3], v[16:17]
	s_and_saveexec_b64 s[8:9], vcc
	s_cbranch_execz .LBB147_26
; %bb.6:
	s_load_dwordx2 s[8:9], s[4:5], 0x30
	s_load_dword s23, s[4:5], 0x38
	s_load_dwordx2 s[10:11], s[4:5], 0x40
	s_mov_b32 s4, 0x5384540f
	v_mov_b32_e32 v4, v15
	v_add_co_u32_e32 v22, vcc, s4, v14
	s_mov_b32 s4, 0x646e171e
	v_add_co_u32_e32 v23, vcc, s4, v4
	s_mov_b32 s4, 0x1715609d
	;; [unrolled: 2-line block ×6, first 2 shown]
	v_alignbit_b32 v29, v3, v2, 2
	s_mov_b32 s15, 0xd2511f53
	v_add_co_u32_e32 v28, vcc, s4, v14
	v_mad_u64_u32 v[6:7], s[4:5], v29, s15, 0
	v_xor_b32_e32 v1, v7, v15
	v_xor_b32_e32 v1, v1, v17
	s_mov_b32 s16, 0xcd9e8d57
	v_mad_u64_u32 v[8:9], s[4:5], v1, s16, 0
	v_xor_b32_e32 v1, v28, v9
	v_mad_u64_u32 v[10:11], s[4:5], v16, s16, 0
	v_and_b32_e32 v18, 3, v2
	v_xor_b32_e32 v1, v1, v10
	v_xor_b32_e32 v2, v14, v11
	v_lshrrev_b32_e32 v30, 2, v3
	v_mad_u64_u32 v[12:13], s[4:5], v1, s15, 0
	v_xor_b32_e32 v2, v2, v30
	v_xor_b32_e32 v1, v27, v13
	v_mad_u64_u32 v[2:3], s[4:5], v2, s15, 0
	v_xor_b32_e32 v1, v1, v2
	v_mad_u64_u32 v[10:11], s[4:5], v1, s16, 0
	s_mov_b32 s4, 0xbb67ae85
	v_add_co_u32_e32 v31, vcc, s4, v4
	v_xor_b32_e32 v2, v31, v3
	v_xor_b32_e32 v2, v2, v6
	v_xor_b32_e32 v1, v26, v11
	v_mad_u64_u32 v[2:3], s[4:5], v2, s16, 0
	v_xor_b32_e32 v1, v1, v2
	v_mad_u64_u32 v[6:7], s[4:5], v1, s15, 0
	s_mov_b32 s4, 0x3c6ef372
	v_add_co_u32_e32 v32, vcc, s4, v14
	v_xor_b32_e32 v2, v32, v3
	;; [unrolled: 8-line block ×6, first 2 shown]
	v_add_co_u32_e32 v21, vcc, 0xdb3d7428, v4
	v_xor_b32_e32 v2, v2, v8
	v_xor_b32_e32 v1, v21, v7
	v_mad_u64_u32 v[2:3], s[4:5], v2, s15, 0
	v_xor_b32_e32 v1, v1, v2
	v_mad_u64_u32 v[8:9], s[4:5], v1, s16, 0
	s_mov_b32 s4, 0x1fd5c5a3
	v_add_co_u32_e32 v37, vcc, s4, v4
	v_xor_b32_e32 v1, v37, v3
	v_xor_b32_e32 v1, v1, v12
	v_mad_u64_u32 v[2:3], s[4:5], v1, s16, 0
	s_mov_b32 s4, 0xf1bbcdc8
	v_add_u32_e32 v19, 0x8ff34781, v14
	v_xor_b32_e32 v1, v9, v2
	v_add_co_u32_e32 v38, vcc, s4, v14
	v_xor_b32_e32 v2, v19, v1
	v_xor_b32_e32 v1, v38, v3
	;; [unrolled: 1-line block ×3, first 2 shown]
	v_mad_u64_u32 v[10:11], s[4:5], v1, s15, 0
	v_add_u32_e32 v20, 0x96a522ad, v15
	v_xor_b32_e32 v1, v11, v6
	s_mul_i32 s4, s6, s7
	v_xor_b32_e32 v4, v20, v1
	v_add_u32_e32 v1, s4, v0
	s_waitcnt lgkmcnt(0)
	s_mul_i32 s4, s17, s23
	s_mul_i32 s4, s4, s7
	s_lshl_b32 s22, s4, 2
	s_mul_i32 s4, s17, 3
	s_add_i32 s4, s6, s4
	s_mul_i32 s4, s4, s7
	v_mul_lo_u32 v40, s23, v1
	v_add_u32_e32 v1, s4, v0
	s_lshl_b32 s4, s17, 1
	s_add_i32 s4, s6, s4
	s_mul_i32 s4, s4, s7
	v_mul_lo_u32 v41, s23, v1
	v_add_u32_e32 v1, s4, v0
	s_add_i32 s4, s6, s17
	s_mul_i32 s4, s4, s7
	s_mov_b32 s14, 0
	v_add_u32_e32 v0, s4, v0
	v_mov_b32_e32 v3, v8
	v_mov_b32_e32 v5, v10
	v_cvt_f32_f64_e32 v39, s[10:11]
	s_lshl_b32 s18, s12, 1
	s_mov_b32 s19, s14
	s_mul_i32 s20, s12, 3
	s_mov_b32 s21, s14
	v_mul_lo_u32 v42, s23, v1
	v_mul_lo_u32 v43, s23, v0
	s_mov_b64 s[4:5], 0
	s_mov_b32 s17, s14
	v_mov_b32_e32 v44, v16
	v_mov_b32_e32 v45, v17
	s_branch .LBB147_8
.LBB147_7:                              ;   in Loop: Header=BB147_8 Depth=1
	s_or_b64 exec, exec, s[6:7]
	v_add_co_u32_e32 v16, vcc, s13, v16
	v_addc_co_u32_e32 v17, vcc, 0, v17, vcc
	v_mov_b32_e32 v9, v0
	s_add_i32 s17, s17, s22
	v_cmp_le_i64_e32 vcc, s[2:3], v[16:17]
	v_pk_mov_b32 v[2:3], v[6:7], v[6:7] op_sel:[0,1]
	s_or_b64 s[4:5], vcc, s[4:5]
	v_pk_mov_b32 v[4:5], v[8:9], v[8:9] op_sel:[0,1]
	s_barrier
	s_andn2_b64 exec, exec, s[4:5]
	s_cbranch_execz .LBB147_26
.LBB147_8:                              ; =>This Inner Loop Header: Depth=1
	v_add_co_u32_e32 v29, vcc, 1, v29
	v_cndmask_b32_e64 v0, 0, 1, vcc
	v_addc_co_u32_e32 v30, vcc, 0, v30, vcc
	v_cmp_eq_u32_e32 vcc, 0, v30
	v_cndmask_b32_e32 v0, 0, v0, vcc
	v_add_u32_e32 v44, v0, v44
	v_cmp_eq_u32_e32 vcc, 0, v44
	v_cndmask_b32_e32 v0, 0, v0, vcc
	v_add_u32_e32 v45, v0, v45
	v_mad_u64_u32 v[0:1], s[6:7], v29, s15, 0
	v_mad_u64_u32 v[6:7], s[6:7], v44, s16, 0
	v_xor_b32_e32 v1, v1, v15
	v_xor_b32_e32 v7, v7, v14
	v_xor_b32_e32 v1, v45, v1
	v_xor_b32_e32 v7, v30, v7
	v_mad_u64_u32 v[10:11], s[6:7], v1, s16, 0
	v_mad_u64_u32 v[8:9], s[6:7], v7, s15, 0
	v_xor_b32_e32 v1, v28, v11
	v_xor_b32_e32 v1, v1, v6
	v_xor_b32_e32 v6, v31, v9
	v_xor_b32_e32 v6, v6, v0
	;; [unrolled: 6-line block ×10, first 2 shown]
	v_mov_b32_e32 v7, v12
	v_mov_b32_e32 v8, v13
	v_cmp_lt_i32_e32 vcc, 1, v18
	s_and_saveexec_b64 s[6:7], vcc
	s_xor_b64 s[6:7], exec, s[6:7]
	s_cbranch_execnz .LBB147_18
; %bb.9:                                ;   in Loop: Header=BB147_8 Depth=1
	s_andn2_saveexec_b64 s[6:7], s[6:7]
	s_cbranch_execnz .LBB147_23
.LBB147_10:                             ;   in Loop: Header=BB147_8 Depth=1
	s_or_b64 exec, exec, s[6:7]
	v_cmp_gt_i64_e32 vcc, s[0:1], v[16:17]
	s_and_saveexec_b64 s[6:7], vcc
	s_cbranch_execz .LBB147_12
.LBB147_11:                             ;   in Loop: Header=BB147_8 Depth=1
	v_cvt_f32_u32_e32 v1, v2
	v_mov_b32_e32 v2, 0x2f800000
	v_add_u32_e32 v9, s17, v40
	v_ashrrev_i32_e32 v11, 31, v9
	v_fmac_f32_e32 v2, 0x2f800000, v1
	v_mov_b32_e32 v1, s9
	v_add_co_u32_e32 v10, vcc, s8, v9
	v_addc_co_u32_e32 v11, vcc, v1, v11, vcc
	v_cmp_lt_f32_e32 vcc, v2, v39
	v_cndmask_b32_e64 v1, 0, 1.0, vcc
	global_store_dword v[10:11], v1, off
.LBB147_12:                             ;   in Loop: Header=BB147_8 Depth=1
	s_or_b64 exec, exec, s[6:7]
	v_mov_b32_e32 v1, s14
	v_add_co_u32_e32 v10, vcc, s12, v16
	v_addc_co_u32_e32 v11, vcc, v1, v17, vcc
	v_cmp_gt_i64_e32 vcc, s[0:1], v[10:11]
	s_and_saveexec_b64 s[6:7], vcc
	s_cbranch_execz .LBB147_14
; %bb.13:                               ;   in Loop: Header=BB147_8 Depth=1
	v_cvt_f32_u32_e32 v1, v3
	v_mov_b32_e32 v9, 0x2f800000
	v_add_u32_e32 v2, s17, v43
	v_ashrrev_i32_e32 v3, 31, v2
	v_fmac_f32_e32 v9, 0x2f800000, v1
	v_mov_b32_e32 v1, s9
	v_add_co_u32_e32 v2, vcc, s8, v2
	v_addc_co_u32_e32 v3, vcc, v1, v3, vcc
	v_cmp_lt_f32_e32 vcc, v9, v39
	v_cndmask_b32_e64 v1, 0, 1.0, vcc
	global_store_dword v[2:3], v1, off
.LBB147_14:                             ;   in Loop: Header=BB147_8 Depth=1
	s_or_b64 exec, exec, s[6:7]
	v_mov_b32_e32 v1, s19
	v_add_co_u32_e32 v2, vcc, s18, v16
	v_addc_co_u32_e32 v3, vcc, v1, v17, vcc
	v_cmp_gt_i64_e32 vcc, s[0:1], v[2:3]
	s_and_saveexec_b64 s[6:7], vcc
	s_cbranch_execz .LBB147_16
; %bb.15:                               ;   in Loop: Header=BB147_8 Depth=1
	v_cvt_f32_u32_e32 v1, v4
	v_mov_b32_e32 v4, 0x2f800000
	v_add_u32_e32 v2, s17, v42
	v_ashrrev_i32_e32 v3, 31, v2
	v_fmac_f32_e32 v4, 0x2f800000, v1
	v_mov_b32_e32 v1, s9
	v_add_co_u32_e32 v2, vcc, s8, v2
	v_addc_co_u32_e32 v3, vcc, v1, v3, vcc
	v_cmp_lt_f32_e32 vcc, v4, v39
	v_cndmask_b32_e64 v1, 0, 1.0, vcc
	global_store_dword v[2:3], v1, off
.LBB147_16:                             ;   in Loop: Header=BB147_8 Depth=1
	s_or_b64 exec, exec, s[6:7]
	v_mov_b32_e32 v1, s21
	v_add_co_u32_e32 v2, vcc, s20, v16
	v_addc_co_u32_e32 v3, vcc, v1, v17, vcc
	v_cmp_gt_i64_e32 vcc, s[0:1], v[2:3]
	s_and_saveexec_b64 s[6:7], vcc
	s_cbranch_execz .LBB147_7
; %bb.17:                               ;   in Loop: Header=BB147_8 Depth=1
	v_cvt_f32_u32_e32 v1, v5
	v_mov_b32_e32 v4, 0x2f800000
	v_add_u32_e32 v2, s17, v41
	v_ashrrev_i32_e32 v3, 31, v2
	v_fmac_f32_e32 v4, 0x2f800000, v1
	v_mov_b32_e32 v1, s9
	v_add_co_u32_e32 v2, vcc, s8, v2
	v_addc_co_u32_e32 v3, vcc, v1, v3, vcc
	v_cmp_lt_f32_e32 vcc, v4, v39
	v_cndmask_b32_e64 v1, 0, 1.0, vcc
	global_store_dword v[2:3], v1, off
	s_branch .LBB147_7
.LBB147_18:                             ;   in Loop: Header=BB147_8 Depth=1
	v_cmp_lt_i32_e32 vcc, 2, v18
	s_and_saveexec_b64 s[10:11], vcc
	s_xor_b64 s[10:11], exec, s[10:11]
; %bb.19:                               ;   in Loop: Header=BB147_8 Depth=1
	v_mov_b32_e32 v10, v5
	v_mov_b32_e32 v11, v6
	v_pk_mov_b32 v[2:3], v[10:11], v[10:11] op_sel:[0,1]
	v_pk_mov_b32 v[4:5], v[12:13], v[12:13] op_sel:[0,1]
                                        ; implicit-def: $vgpr12_vgpr13
; %bb.20:                               ;   in Loop: Header=BB147_8 Depth=1
	s_andn2_saveexec_b64 s[10:11], s[10:11]
; %bb.21:                               ;   in Loop: Header=BB147_8 Depth=1
	v_mov_b32_e32 v2, v4
	v_mov_b32_e32 v3, v5
	;; [unrolled: 1-line block ×4, first 2 shown]
; %bb.22:                               ;   in Loop: Header=BB147_8 Depth=1
	s_or_b64 exec, exec, s[10:11]
	s_andn2_saveexec_b64 s[6:7], s[6:7]
	s_cbranch_execz .LBB147_10
.LBB147_23:                             ;   in Loop: Header=BB147_8 Depth=1
	v_cmp_eq_u32_e32 vcc, 1, v18
	s_and_saveexec_b64 s[10:11], vcc
; %bb.24:                               ;   in Loop: Header=BB147_8 Depth=1
	v_mov_b32_e32 v2, v3
	v_mov_b32_e32 v3, v4
	;; [unrolled: 1-line block ×4, first 2 shown]
; %bb.25:                               ;   in Loop: Header=BB147_8 Depth=1
	s_or_b64 exec, exec, s[10:11]
	s_or_b64 exec, exec, s[6:7]
	v_cmp_gt_i64_e32 vcc, s[0:1], v[16:17]
	s_and_saveexec_b64 s[6:7], vcc
	s_cbranch_execnz .LBB147_11
	s_branch .LBB147_12
.LBB147_26:
	s_endpgm
.LBB147_27:
                                        ; implicit-def: $sgpr8_sgpr9
	s_andn2_b64 vcc, exec, s[2:3]
	s_cbranch_vccz .LBB147_4
	s_branch .LBB147_5
	.section	.rodata,"a",@progbits
	.p2align	6, 0x0
	.amdhsa_kernel _ZN2at6native12_GLOBAL__N_143distribution_elementwise_grid_stride_kernelIfLi4EZNS0_9templates4cuda21uniform_and_transformIffPNS_17CUDAGeneratorImplEZZZNS4_16bernoulli_kernelIS7_EEvRNS_18TensorIteratorBaseEdT_ENKUlvE_clEvENKUlvE5_clEvEUlfE_EEvSA_T1_T2_EUlP25hiprandStatePhilox4_32_10E0_ZNS1_27distribution_nullary_kernelIff15HIP_vector_typeIfLj4EES7_SJ_SE_EEvSA_SG_RKT3_T4_EUlifE_EEvlNS_15PhiloxCudaStateESF_SG_
		.amdhsa_group_segment_fixed_size 0
		.amdhsa_private_segment_fixed_size 0
		.amdhsa_kernarg_size 328
		.amdhsa_user_sgpr_count 6
		.amdhsa_user_sgpr_private_segment_buffer 1
		.amdhsa_user_sgpr_dispatch_ptr 0
		.amdhsa_user_sgpr_queue_ptr 0
		.amdhsa_user_sgpr_kernarg_segment_ptr 1
		.amdhsa_user_sgpr_dispatch_id 0
		.amdhsa_user_sgpr_flat_scratch_init 0
		.amdhsa_user_sgpr_kernarg_preload_length 0
		.amdhsa_user_sgpr_kernarg_preload_offset 0
		.amdhsa_user_sgpr_private_segment_size 0
		.amdhsa_uses_dynamic_stack 0
		.amdhsa_system_sgpr_private_segment_wavefront_offset 0
		.amdhsa_system_sgpr_workgroup_id_x 1
		.amdhsa_system_sgpr_workgroup_id_y 0
		.amdhsa_system_sgpr_workgroup_id_z 0
		.amdhsa_system_sgpr_workgroup_info 0
		.amdhsa_system_vgpr_workitem_id 0
		.amdhsa_next_free_vgpr 48
		.amdhsa_next_free_sgpr 24
		.amdhsa_accum_offset 48
		.amdhsa_reserve_vcc 1
		.amdhsa_reserve_flat_scratch 0
		.amdhsa_float_round_mode_32 0
		.amdhsa_float_round_mode_16_64 0
		.amdhsa_float_denorm_mode_32 3
		.amdhsa_float_denorm_mode_16_64 3
		.amdhsa_dx10_clamp 1
		.amdhsa_ieee_mode 1
		.amdhsa_fp16_overflow 0
		.amdhsa_tg_split 0
		.amdhsa_exception_fp_ieee_invalid_op 0
		.amdhsa_exception_fp_denorm_src 0
		.amdhsa_exception_fp_ieee_div_zero 0
		.amdhsa_exception_fp_ieee_overflow 0
		.amdhsa_exception_fp_ieee_underflow 0
		.amdhsa_exception_fp_ieee_inexact 0
		.amdhsa_exception_int_div_zero 0
	.end_amdhsa_kernel
	.section	.text._ZN2at6native12_GLOBAL__N_143distribution_elementwise_grid_stride_kernelIfLi4EZNS0_9templates4cuda21uniform_and_transformIffPNS_17CUDAGeneratorImplEZZZNS4_16bernoulli_kernelIS7_EEvRNS_18TensorIteratorBaseEdT_ENKUlvE_clEvENKUlvE5_clEvEUlfE_EEvSA_T1_T2_EUlP25hiprandStatePhilox4_32_10E0_ZNS1_27distribution_nullary_kernelIff15HIP_vector_typeIfLj4EES7_SJ_SE_EEvSA_SG_RKT3_T4_EUlifE_EEvlNS_15PhiloxCudaStateESF_SG_,"axG",@progbits,_ZN2at6native12_GLOBAL__N_143distribution_elementwise_grid_stride_kernelIfLi4EZNS0_9templates4cuda21uniform_and_transformIffPNS_17CUDAGeneratorImplEZZZNS4_16bernoulli_kernelIS7_EEvRNS_18TensorIteratorBaseEdT_ENKUlvE_clEvENKUlvE5_clEvEUlfE_EEvSA_T1_T2_EUlP25hiprandStatePhilox4_32_10E0_ZNS1_27distribution_nullary_kernelIff15HIP_vector_typeIfLj4EES7_SJ_SE_EEvSA_SG_RKT3_T4_EUlifE_EEvlNS_15PhiloxCudaStateESF_SG_,comdat
.Lfunc_end147:
	.size	_ZN2at6native12_GLOBAL__N_143distribution_elementwise_grid_stride_kernelIfLi4EZNS0_9templates4cuda21uniform_and_transformIffPNS_17CUDAGeneratorImplEZZZNS4_16bernoulli_kernelIS7_EEvRNS_18TensorIteratorBaseEdT_ENKUlvE_clEvENKUlvE5_clEvEUlfE_EEvSA_T1_T2_EUlP25hiprandStatePhilox4_32_10E0_ZNS1_27distribution_nullary_kernelIff15HIP_vector_typeIfLj4EES7_SJ_SE_EEvSA_SG_RKT3_T4_EUlifE_EEvlNS_15PhiloxCudaStateESF_SG_, .Lfunc_end147-_ZN2at6native12_GLOBAL__N_143distribution_elementwise_grid_stride_kernelIfLi4EZNS0_9templates4cuda21uniform_and_transformIffPNS_17CUDAGeneratorImplEZZZNS4_16bernoulli_kernelIS7_EEvRNS_18TensorIteratorBaseEdT_ENKUlvE_clEvENKUlvE5_clEvEUlfE_EEvSA_T1_T2_EUlP25hiprandStatePhilox4_32_10E0_ZNS1_27distribution_nullary_kernelIff15HIP_vector_typeIfLj4EES7_SJ_SE_EEvSA_SG_RKT3_T4_EUlifE_EEvlNS_15PhiloxCudaStateESF_SG_
                                        ; -- End function
	.section	.AMDGPU.csdata,"",@progbits
; Kernel info:
; codeLenInByte = 2476
; NumSgprs: 28
; NumVgprs: 48
; NumAgprs: 0
; TotalNumVgprs: 48
; ScratchSize: 0
; MemoryBound: 0
; FloatMode: 240
; IeeeMode: 1
; LDSByteSize: 0 bytes/workgroup (compile time only)
; SGPRBlocks: 3
; VGPRBlocks: 5
; NumSGPRsForWavesPerEU: 28
; NumVGPRsForWavesPerEU: 48
; AccumOffset: 48
; Occupancy: 8
; WaveLimiterHint : 0
; COMPUTE_PGM_RSRC2:SCRATCH_EN: 0
; COMPUTE_PGM_RSRC2:USER_SGPR: 6
; COMPUTE_PGM_RSRC2:TRAP_HANDLER: 0
; COMPUTE_PGM_RSRC2:TGID_X_EN: 1
; COMPUTE_PGM_RSRC2:TGID_Y_EN: 0
; COMPUTE_PGM_RSRC2:TGID_Z_EN: 0
; COMPUTE_PGM_RSRC2:TIDIG_COMP_CNT: 0
; COMPUTE_PGM_RSRC3_GFX90A:ACCUM_OFFSET: 11
; COMPUTE_PGM_RSRC3_GFX90A:TG_SPLIT: 0
	.section	.text._ZN2at6native12_GLOBAL__N_143distribution_elementwise_grid_stride_kernelIfLi4EZNS0_9templates4cuda21uniform_and_transformIffPNS_17CUDAGeneratorImplEZZZNS4_16bernoulli_kernelIS7_EEvRNS_18TensorIteratorBaseEdT_ENKUlvE_clEvENKUlvE5_clEvEUlfE_EEvSA_T1_T2_EUlP25hiprandStatePhilox4_32_10E0_ZNS1_27distribution_nullary_kernelIff15HIP_vector_typeIfLj4EES7_SJ_SE_EEvSA_SG_RKT3_T4_EUlifE0_EEvlNS_15PhiloxCudaStateESF_SG_,"axG",@progbits,_ZN2at6native12_GLOBAL__N_143distribution_elementwise_grid_stride_kernelIfLi4EZNS0_9templates4cuda21uniform_and_transformIffPNS_17CUDAGeneratorImplEZZZNS4_16bernoulli_kernelIS7_EEvRNS_18TensorIteratorBaseEdT_ENKUlvE_clEvENKUlvE5_clEvEUlfE_EEvSA_T1_T2_EUlP25hiprandStatePhilox4_32_10E0_ZNS1_27distribution_nullary_kernelIff15HIP_vector_typeIfLj4EES7_SJ_SE_EEvSA_SG_RKT3_T4_EUlifE0_EEvlNS_15PhiloxCudaStateESF_SG_,comdat
	.globl	_ZN2at6native12_GLOBAL__N_143distribution_elementwise_grid_stride_kernelIfLi4EZNS0_9templates4cuda21uniform_and_transformIffPNS_17CUDAGeneratorImplEZZZNS4_16bernoulli_kernelIS7_EEvRNS_18TensorIteratorBaseEdT_ENKUlvE_clEvENKUlvE5_clEvEUlfE_EEvSA_T1_T2_EUlP25hiprandStatePhilox4_32_10E0_ZNS1_27distribution_nullary_kernelIff15HIP_vector_typeIfLj4EES7_SJ_SE_EEvSA_SG_RKT3_T4_EUlifE0_EEvlNS_15PhiloxCudaStateESF_SG_ ; -- Begin function _ZN2at6native12_GLOBAL__N_143distribution_elementwise_grid_stride_kernelIfLi4EZNS0_9templates4cuda21uniform_and_transformIffPNS_17CUDAGeneratorImplEZZZNS4_16bernoulli_kernelIS7_EEvRNS_18TensorIteratorBaseEdT_ENKUlvE_clEvENKUlvE5_clEvEUlfE_EEvSA_T1_T2_EUlP25hiprandStatePhilox4_32_10E0_ZNS1_27distribution_nullary_kernelIff15HIP_vector_typeIfLj4EES7_SJ_SE_EEvSA_SG_RKT3_T4_EUlifE0_EEvlNS_15PhiloxCudaStateESF_SG_
	.p2align	8
	.type	_ZN2at6native12_GLOBAL__N_143distribution_elementwise_grid_stride_kernelIfLi4EZNS0_9templates4cuda21uniform_and_transformIffPNS_17CUDAGeneratorImplEZZZNS4_16bernoulli_kernelIS7_EEvRNS_18TensorIteratorBaseEdT_ENKUlvE_clEvENKUlvE5_clEvEUlfE_EEvSA_T1_T2_EUlP25hiprandStatePhilox4_32_10E0_ZNS1_27distribution_nullary_kernelIff15HIP_vector_typeIfLj4EES7_SJ_SE_EEvSA_SG_RKT3_T4_EUlifE0_EEvlNS_15PhiloxCudaStateESF_SG_,@function
_ZN2at6native12_GLOBAL__N_143distribution_elementwise_grid_stride_kernelIfLi4EZNS0_9templates4cuda21uniform_and_transformIffPNS_17CUDAGeneratorImplEZZZNS4_16bernoulli_kernelIS7_EEvRNS_18TensorIteratorBaseEdT_ENKUlvE_clEvENKUlvE5_clEvEUlfE_EEvSA_T1_T2_EUlP25hiprandStatePhilox4_32_10E0_ZNS1_27distribution_nullary_kernelIff15HIP_vector_typeIfLj4EES7_SJ_SE_EEvSA_SG_RKT3_T4_EUlifE0_EEvlNS_15PhiloxCudaStateESF_SG_: ; @_ZN2at6native12_GLOBAL__N_143distribution_elementwise_grid_stride_kernelIfLi4EZNS0_9templates4cuda21uniform_and_transformIffPNS_17CUDAGeneratorImplEZZZNS4_16bernoulli_kernelIS7_EEvRNS_18TensorIteratorBaseEdT_ENKUlvE_clEvENKUlvE5_clEvEUlfE_EEvSA_T1_T2_EUlP25hiprandStatePhilox4_32_10E0_ZNS1_27distribution_nullary_kernelIff15HIP_vector_typeIfLj4EES7_SJ_SE_EEvSA_SG_RKT3_T4_EUlifE0_EEvlNS_15PhiloxCudaStateESF_SG_
; %bb.0:
	s_load_dword s2, s[4:5], 0x20
	s_load_dwordx2 s[0:1], s[4:5], 0x10
	s_load_dwordx4 s[24:27], s[4:5], 0x0
	s_waitcnt lgkmcnt(0)
	s_bitcmp0_b32 s2, 0
	s_mov_b32 s2, 0
	v_pk_mov_b32 v[2:3], s[0:1], s[0:1] op_sel:[0,1]
	v_pk_mov_b32 v[12:13], s[26:27], s[26:27] op_sel:[0,1]
	s_cbranch_scc1 .LBB148_2
; %bb.1:
	v_pk_mov_b32 v[2:3], s[0:1], s[0:1] op_sel:[0,1]
	flat_load_dwordx2 v[2:3], v[2:3]
	v_pk_mov_b32 v[4:5], s[26:27], s[26:27] op_sel:[0,1]
	flat_load_dwordx2 v[12:13], v[4:5]
	s_load_dwordx2 s[0:1], s[4:5], 0x18
	s_waitcnt lgkmcnt(0)
	v_mov_b32_e32 v1, s1
	s_waitcnt vmcnt(0)
	v_add_co_u32_e32 v2, vcc, s0, v2
	v_addc_co_u32_e32 v3, vcc, v3, v1, vcc
.LBB148_2:
	s_load_dword s0, s[4:5], 0x154
	s_load_dword s7, s[4:5], 0x148
	s_waitcnt lgkmcnt(0)
	s_and_b32 s8, s0, 0xffff
	s_add_u32 s9, s24, -1
	s_mul_i32 s33, s7, s8
	s_addc_u32 s3, s25, -1
	s_lshl_b32 s58, s33, 2
	s_cmp_lg_u64 s[2:3], 0
	s_mov_b64 s[0:1], -1
	s_cbranch_scc0 .LBB148_83
; %bb.3:
	v_cvt_f32_u32_e32 v1, s58
	v_cvt_f32_ubyte0_e32 v4, 0
	s_sub_u32 s2, 0, s58
	s_subb_u32 s10, 0, 0
	v_madmk_f32 v1, v4, 0x4f800000, v1
	v_rcp_f32_e32 v1, v1
	v_mul_f32_e32 v1, 0x5f7ffffc, v1
	v_mul_f32_e32 v4, 0x2f800000, v1
	v_trunc_f32_e32 v4, v4
	v_madmk_f32 v1, v4, 0xcf800000, v1
	v_cvt_u32_f32_e32 v4, v4
	v_cvt_u32_f32_e32 v1, v1
	v_readfirstlane_b32 s11, v4
	v_readfirstlane_b32 s12, v1
	s_mul_i32 s13, s2, s11
	s_mul_hi_u32 s15, s2, s12
	s_mul_i32 s14, s10, s12
	s_add_i32 s13, s15, s13
	s_add_i32 s13, s13, s14
	s_mul_i32 s16, s2, s12
	s_mul_hi_u32 s14, s12, s13
	s_mul_i32 s15, s12, s13
	s_mul_hi_u32 s12, s12, s16
	s_add_u32 s12, s12, s15
	s_addc_u32 s14, 0, s14
	s_mul_hi_u32 s17, s11, s16
	s_mul_i32 s16, s11, s16
	s_add_u32 s12, s12, s16
	s_mul_hi_u32 s15, s11, s13
	s_addc_u32 s12, s14, s17
	s_addc_u32 s14, s15, 0
	s_mul_i32 s13, s11, s13
	s_add_u32 s12, s12, s13
	s_addc_u32 s13, 0, s14
	v_add_co_u32_e32 v1, vcc, s12, v1
	s_cmp_lg_u64 vcc, 0
	s_addc_u32 s11, s11, s13
	v_readfirstlane_b32 s13, v1
	s_mul_i32 s12, s2, s11
	s_mul_hi_u32 s14, s2, s13
	s_add_i32 s12, s14, s12
	s_mul_i32 s10, s10, s13
	s_add_i32 s12, s12, s10
	s_mul_i32 s2, s2, s13
	s_mul_hi_u32 s14, s11, s2
	s_mul_i32 s15, s11, s2
	s_mul_i32 s17, s13, s12
	s_mul_hi_u32 s2, s13, s2
	s_mul_hi_u32 s16, s13, s12
	s_add_u32 s2, s2, s17
	s_addc_u32 s13, 0, s16
	s_add_u32 s2, s2, s15
	s_mul_hi_u32 s10, s11, s12
	s_addc_u32 s2, s13, s14
	s_addc_u32 s10, s10, 0
	s_mul_i32 s12, s11, s12
	s_add_u32 s2, s2, s12
	s_addc_u32 s10, 0, s10
	v_add_co_u32_e32 v1, vcc, s2, v1
	s_cmp_lg_u64 vcc, 0
	s_addc_u32 s12, s11, s10
	s_ashr_i32 s10, s3, 31
	s_add_u32 s2, s9, s10
	s_mov_b32 s11, s10
	s_addc_u32 s3, s3, s10
	s_xor_b64 s[2:3], s[2:3], s[10:11]
	v_readfirstlane_b32 s15, v1
	s_mul_i32 s14, s2, s12
	s_mul_hi_u32 s16, s2, s15
	s_mul_hi_u32 s13, s2, s12
	s_add_u32 s14, s16, s14
	s_addc_u32 s13, 0, s13
	s_mul_hi_u32 s17, s3, s15
	s_mul_i32 s15, s3, s15
	s_add_u32 s14, s14, s15
	s_mul_hi_u32 s16, s3, s12
	s_addc_u32 s13, s13, s17
	s_addc_u32 s14, s16, 0
	s_mul_i32 s12, s3, s12
	s_add_u32 s12, s13, s12
	s_addc_u32 s13, 0, s14
	s_add_u32 s14, s12, 1
	s_addc_u32 s15, s13, 0
	s_add_u32 s16, s12, 2
	s_mul_i32 s18, s58, s13
	s_mul_hi_u32 s19, s58, s12
	s_addc_u32 s17, s13, 0
	s_add_i32 s19, s19, s18
	s_mul_i32 s18, s58, s12
	v_mov_b32_e32 v1, s18
	v_sub_co_u32_e32 v1, vcc, s2, v1
	s_cmp_lg_u64 vcc, 0
	s_subb_u32 s2, s3, s19
	v_subrev_co_u32_e32 v4, vcc, s58, v1
	s_cmp_lg_u64 vcc, 0
	s_subb_u32 s3, s2, 0
	v_readfirstlane_b32 s18, v4
	s_cmp_ge_u32 s18, s58
	s_cselect_b32 s18, -1, 0
	s_cmp_eq_u32 s3, 0
	s_cselect_b32 s3, s18, -1
	s_cmp_lg_u32 s3, 0
	s_cselect_b32 s3, s17, s15
	v_readfirstlane_b32 s15, v1
	s_cselect_b32 s14, s16, s14
	s_cmp_ge_u32 s15, s58
	s_cselect_b32 s15, -1, 0
	s_cmp_eq_u32 s2, 0
	s_cselect_b32 s2, s15, -1
	s_cmp_lg_u32 s2, 0
	s_cselect_b32 s3, s3, s13
	s_cselect_b32 s2, s14, s12
	s_xor_b64 s[2:3], s[2:3], s[10:11]
	s_sub_u32 s2, s2, s10
	s_subb_u32 s3, s3, s10
	s_cbranch_execnz .LBB148_5
.LBB148_4:
	v_cvt_f32_u32_e32 v1, s58
	s_sub_i32 s0, 0, s58
	s_mov_b32 s3, 0
	v_rcp_iflag_f32_e32 v1, v1
	v_mul_f32_e32 v1, 0x4f7ffffe, v1
	v_cvt_u32_f32_e32 v1, v1
	v_readfirstlane_b32 s1, v1
	s_mul_i32 s0, s0, s1
	s_mul_hi_u32 s0, s1, s0
	s_add_i32 s1, s1, s0
	s_mul_hi_u32 s0, s9, s1
	s_mul_i32 s2, s0, s58
	s_sub_i32 s2, s9, s2
	s_add_i32 s1, s0, 1
	s_sub_i32 s9, s2, s58
	s_cmp_ge_u32 s2, s58
	s_cselect_b32 s0, s1, s0
	s_cselect_b32 s2, s9, s2
	s_add_i32 s1, s0, 1
	s_cmp_ge_u32 s2, s58
	s_cselect_b32 s2, s1, s0
.LBB148_5:
	v_mov_b32_e32 v1, 0
	v_mov_b32_e32 v4, s6
	v_mad_u64_u32 v[14:15], s[0:1], s8, v4, v[0:1]
	s_add_u32 s0, s2, 1
	s_addc_u32 s1, s3, 0
	s_mul_hi_u32 s2, s7, s8
	s_mul_i32 s1, s33, s1
	s_mul_hi_u32 s3, s33, s0
	s_add_i32 s1, s3, s1
	s_mul_i32 s2, s2, s0
	s_add_i32 s1, s1, s2
	s_mul_i32 s0, s33, s0
	s_lshl_b64 s[26:27], s[0:1], 2
	v_cmp_gt_i64_e32 vcc, s[26:27], v[14:15]
	s_and_saveexec_b64 s[0:1], vcc
	s_cbranch_execz .LBB148_82
; %bb.6:
	s_mov_b32 s0, 0x5384540f
	v_mov_b32_e32 v0, v13
	v_add_co_u32_e32 v22, vcc, s0, v12
	s_mov_b32 s0, 0x646e171e
	v_add_co_u32_e32 v23, vcc, s0, v0
	s_mov_b32 s0, 0x1715609d
	;; [unrolled: 2-line block ×6, first 2 shown]
	v_alignbit_b32 v29, v3, v2, 2
	s_mov_b32 s60, 0xd2511f53
	v_add_co_u32_e32 v28, vcc, s0, v12
	v_mad_u64_u32 v[4:5], s[0:1], v29, s60, 0
	v_xor_b32_e32 v1, v5, v13
	v_xor_b32_e32 v1, v1, v15
	s_mov_b32 s61, 0xcd9e8d57
	v_mad_u64_u32 v[6:7], s[0:1], v1, s61, 0
	v_xor_b32_e32 v1, v28, v7
	v_mad_u64_u32 v[8:9], s[0:1], v14, s61, 0
	v_and_b32_e32 v18, 3, v2
	v_xor_b32_e32 v1, v1, v8
	v_xor_b32_e32 v2, v12, v9
	v_lshrrev_b32_e32 v30, 2, v3
	v_mad_u64_u32 v[10:11], s[0:1], v1, s60, 0
	v_xor_b32_e32 v2, v2, v30
	v_xor_b32_e32 v1, v27, v11
	v_mad_u64_u32 v[2:3], s[0:1], v2, s60, 0
	v_xor_b32_e32 v1, v1, v2
	v_mad_u64_u32 v[8:9], s[0:1], v1, s61, 0
	s_mov_b32 s0, 0xbb67ae85
	v_add_co_u32_e32 v31, vcc, s0, v0
	v_xor_b32_e32 v2, v31, v3
	v_xor_b32_e32 v2, v2, v4
	v_xor_b32_e32 v1, v26, v9
	v_mad_u64_u32 v[2:3], s[0:1], v2, s61, 0
	v_xor_b32_e32 v1, v1, v2
	v_mad_u64_u32 v[4:5], s[0:1], v1, s60, 0
	s_mov_b32 s0, 0x3c6ef372
	v_add_co_u32_e32 v32, vcc, s0, v12
	v_xor_b32_e32 v2, v32, v3
	;; [unrolled: 8-line block ×6, first 2 shown]
	v_add_co_u32_e32 v21, vcc, 0xdb3d7428, v0
	v_xor_b32_e32 v2, v2, v6
	v_xor_b32_e32 v1, v21, v5
	v_mad_u64_u32 v[2:3], s[0:1], v2, s60, 0
	v_xor_b32_e32 v1, v1, v2
	v_mad_u64_u32 v[6:7], s[0:1], v1, s61, 0
	s_mov_b32 s0, 0x1fd5c5a3
	v_add_co_u32_e32 v37, vcc, s0, v0
	v_xor_b32_e32 v0, v37, v3
	v_xor_b32_e32 v0, v0, v10
	v_mad_u64_u32 v[0:1], s[0:1], v0, s61, 0
	s_mov_b32 s0, 0xf1bbcdc8
	s_load_dwordx8 s[8:15], s[4:5], 0x30
	v_add_co_u32_e32 v38, vcc, s0, v12
	v_xor_b32_e32 v1, v38, v1
	v_xor_b32_e32 v1, v1, v8
	s_add_u32 s34, s4, 48
	v_mad_u64_u32 v[8:9], s[0:1], v1, s60, 0
	s_addc_u32 s35, s5, 0
	s_waitcnt lgkmcnt(0)
	s_add_i32 s0, s8, -1
	s_cmp_gt_u32 s0, 1
	s_cselect_b64 s[40:41], -1, 0
	s_cmp_lg_u32 s8, 0
	s_cselect_b64 s[42:43], -1, 0
	s_add_u32 s44, s4, 0xf4
	s_addc_u32 s45, s5, 0
	s_load_dwordx2 s[46:47], s[4:5], 0xf4
	s_load_dwordx4 s[28:31], s[4:5], 0x138
	s_min_u32 s1, s0, 15
	s_cmp_gt_u32 s8, 1
	s_cselect_b64 s[48:49], -1, 0
	s_add_i32 s1, s1, 1
	s_mov_b32 s8, s13
	s_lshl_b32 s13, s33, 1
	s_and_b32 s64, s1, 3
	s_cmp_lg_u32 s0, 2
	s_waitcnt lgkmcnt(0)
	v_cvt_f32_f64_e32 v39, s[30:31]
	s_cselect_b64 s[30:31], -1, 0
	s_and_b32 s65, s1, 28
	s_mov_b32 s59, 0
	v_add_u32_e32 v19, 0x8ff34781, v12
	v_add_u32_e32 v20, 0x96a522ad, v13
	v_xor_b32_e32 v0, v7, v0
	v_xor_b32_e32 v1, v9, v4
	s_cmp_lg_u32 s64, 0
	v_xor_b32_e32 v0, v19, v0
	v_xor_b32_e32 v2, v20, v1
	v_mov_b32_e32 v1, v6
	v_mov_b32_e32 v3, v8
	s_mov_b32 s15, s59
	s_mul_i32 s62, s33, 3
	s_mov_b32 s63, s59
	s_mov_b64 s[50:51], 0
	s_cselect_b64 s[52:53], -1, 0
	v_mov_b32_e32 v40, v14
	v_mov_b32_e32 v41, v15
	s_branch .LBB148_9
.LBB148_7:                              ;   in Loop: Header=BB148_9 Depth=1
	v_cvt_f32_u32_e32 v0, v3
	v_mov_b32_e32 v1, 0x2f800000
	v_fmac_f32_e32 v1, 0x2f800000, v0
	v_cmp_lt_f32_e32 vcc, v1, v39
	v_cndmask_b32_e64 v0, 0, 1.0, vcc
	global_store_dword v8, v0, s[28:29]
.LBB148_8:                              ;   in Loop: Header=BB148_9 Depth=1
	s_or_b64 exec, exec, s[36:37]
	v_add_co_u32_e32 v14, vcc, s58, v14
	v_addc_co_u32_e32 v15, vcc, 0, v15, vcc
	v_mov_b32_e32 v7, v16
	v_cmp_le_i64_e32 vcc, s[26:27], v[14:15]
	v_pk_mov_b32 v[0:1], v[4:5], v[4:5] op_sel:[0,1]
	s_or_b64 s[50:51], vcc, s[50:51]
	v_pk_mov_b32 v[2:3], v[6:7], v[6:7] op_sel:[0,1]
	s_barrier
	s_andn2_b64 exec, exec, s[50:51]
	s_cbranch_execz .LBB148_82
.LBB148_9:                              ; =>This Loop Header: Depth=1
                                        ;     Child Loop BB148_24 Depth 2
                                        ;     Child Loop BB148_30 Depth 2
	;; [unrolled: 1-line block ×8, first 2 shown]
	v_add_co_u32_e32 v29, vcc, 1, v29
	v_cndmask_b32_e64 v4, 0, 1, vcc
	v_addc_co_u32_e32 v30, vcc, 0, v30, vcc
	v_cmp_eq_u32_e32 vcc, 0, v30
	v_cndmask_b32_e32 v4, 0, v4, vcc
	v_add_u32_e32 v40, v4, v40
	v_cmp_eq_u32_e32 vcc, 0, v40
	v_cndmask_b32_e32 v4, 0, v4, vcc
	v_add_u32_e32 v41, v4, v41
	v_mad_u64_u32 v[4:5], s[0:1], v29, s60, 0
	v_mad_u64_u32 v[6:7], s[0:1], v40, s61, 0
	v_xor_b32_e32 v5, v5, v13
	v_xor_b32_e32 v7, v7, v12
	v_xor_b32_e32 v5, v41, v5
	v_xor_b32_e32 v7, v30, v7
	v_mad_u64_u32 v[10:11], s[0:1], v5, s61, 0
	v_mad_u64_u32 v[8:9], s[0:1], v7, s60, 0
	v_xor_b32_e32 v5, v28, v11
	v_xor_b32_e32 v5, v5, v6
	v_xor_b32_e32 v6, v31, v9
	v_xor_b32_e32 v6, v6, v4
	;; [unrolled: 6-line block ×10, first 2 shown]
	v_mov_b32_e32 v5, v10
	v_mov_b32_e32 v6, v11
	v_cmp_lt_i32_e32 vcc, 1, v18
	s_and_saveexec_b64 s[0:1], vcc
	s_xor_b64 s[0:1], exec, s[0:1]
	s_cbranch_execz .LBB148_15
; %bb.10:                               ;   in Loop: Header=BB148_9 Depth=1
	v_cmp_lt_i32_e32 vcc, 2, v18
	s_and_saveexec_b64 s[2:3], vcc
	s_xor_b64 s[2:3], exec, s[2:3]
; %bb.11:                               ;   in Loop: Header=BB148_9 Depth=1
	v_mov_b32_e32 v8, v3
	v_mov_b32_e32 v9, v4
	v_pk_mov_b32 v[0:1], v[8:9], v[8:9] op_sel:[0,1]
	v_pk_mov_b32 v[2:3], v[10:11], v[10:11] op_sel:[0,1]
                                        ; implicit-def: $vgpr10_vgpr11
; %bb.12:                               ;   in Loop: Header=BB148_9 Depth=1
	s_andn2_saveexec_b64 s[2:3], s[2:3]
; %bb.13:                               ;   in Loop: Header=BB148_9 Depth=1
	v_mov_b32_e32 v0, v2
	v_mov_b32_e32 v1, v3
	v_mov_b32_e32 v2, v4
	v_mov_b32_e32 v3, v10
; %bb.14:                               ;   in Loop: Header=BB148_9 Depth=1
	s_or_b64 exec, exec, s[2:3]
.LBB148_15:                             ;   in Loop: Header=BB148_9 Depth=1
	s_andn2_saveexec_b64 s[0:1], s[0:1]
	s_cbranch_execz .LBB148_19
; %bb.16:                               ;   in Loop: Header=BB148_9 Depth=1
	v_cmp_eq_u32_e32 vcc, 1, v18
	s_and_saveexec_b64 s[2:3], vcc
; %bb.17:                               ;   in Loop: Header=BB148_9 Depth=1
	v_mov_b32_e32 v0, v1
	v_mov_b32_e32 v1, v2
	;; [unrolled: 1-line block ×4, first 2 shown]
; %bb.18:                               ;   in Loop: Header=BB148_9 Depth=1
	s_or_b64 exec, exec, s[2:3]
.LBB148_19:                             ;   in Loop: Header=BB148_9 Depth=1
	s_or_b64 exec, exec, s[0:1]
	v_cndmask_b32_e64 v7, 0, 1, s[40:41]
	v_cmp_gt_i64_e32 vcc, s[24:25], v[14:15]
	v_cmp_ne_u32_e64 s[0:1], 1, v7
	s_and_saveexec_b64 s[2:3], vcc
	s_cbranch_execz .LBB148_35
; %bb.20:                               ;   in Loop: Header=BB148_9 Depth=1
	s_and_b64 vcc, exec, s[0:1]
	s_cbranch_vccnz .LBB148_26
; %bb.21:                               ;   in Loop: Header=BB148_9 Depth=1
	s_andn2_b64 vcc, exec, s[42:43]
	s_cbranch_vccnz .LBB148_27
; %bb.22:                               ;   in Loop: Header=BB148_9 Depth=1
	s_mov_b32 s6, 0
	s_andn2_b64 vcc, exec, s[30:31]
	v_mov_b32_e32 v8, 0
	s_cbranch_vccnz .LBB148_28
; %bb.23:                               ;   in Loop: Header=BB148_9 Depth=1
	s_mov_b32 s66, 0
	v_mov_b32_e32 v8, 0
	s_mov_b64 s[54:55], s[34:35]
	s_mov_b64 s[56:57], s[44:45]
	v_mov_b32_e32 v7, v14
.LBB148_24:                             ;   Parent Loop BB148_9 Depth=1
                                        ; =>  This Inner Loop Header: Depth=2
	s_load_dwordx8 s[16:23], s[54:55], 0x4
	s_load_dwordx4 s[4:7], s[54:55], 0x24
	s_load_dwordx4 s[36:39], s[56:57], 0x0
	s_add_u32 s54, s54, 48
	s_addc_u32 s55, s55, 0
	s_waitcnt lgkmcnt(0)
	v_mul_hi_u32 v9, s17, v7
	v_add_u32_e32 v9, v7, v9
	v_lshrrev_b32_e32 v9, s18, v9
	v_mul_lo_u32 v10, v9, s16
	v_mul_hi_u32 v11, s20, v9
	v_sub_u32_e32 v7, v7, v10
	v_add_u32_e32 v10, v9, v11
	v_lshrrev_b32_e32 v10, s21, v10
	v_mul_lo_u32 v11, v10, s19
	v_mul_hi_u32 v17, s23, v10
	v_sub_u32_e32 v9, v9, v11
	v_add_u32_e32 v11, v10, v17
	v_mul_lo_u32 v7, v7, s36
	v_mul_lo_u32 v9, v9, s37
	v_lshrrev_b32_e32 v11, s4, v11
	v_add3_u32 v8, v7, v8, v9
	v_mul_lo_u32 v7, v11, s22
	v_mul_hi_u32 v9, s6, v11
	v_sub_u32_e32 v7, v10, v7
	v_add_u32_e32 v9, v11, v9
	v_mul_lo_u32 v10, v7, s38
	v_lshrrev_b32_e32 v7, s7, v9
	s_add_i32 s66, s66, 4
	v_mul_lo_u32 v9, v7, s5
	s_add_u32 s56, s56, 16
	v_sub_u32_e32 v9, v11, v9
	s_addc_u32 s57, s57, 0
	v_mul_lo_u32 v9, v9, s39
	s_cmp_lg_u32 s65, s66
	v_add3_u32 v8, v10, v8, v9
	s_cbranch_scc1 .LBB148_24
; %bb.25:                               ;   in Loop: Header=BB148_9 Depth=1
	s_mov_b32 s6, s65
	s_andn2_b64 vcc, exec, s[52:53]
	s_cbranch_vccz .LBB148_29
	s_branch .LBB148_31
.LBB148_26:                             ;   in Loop: Header=BB148_9 Depth=1
                                        ; implicit-def: $vgpr8
	s_branch .LBB148_32
.LBB148_27:                             ;   in Loop: Header=BB148_9 Depth=1
	v_mov_b32_e32 v8, 0
	s_branch .LBB148_31
.LBB148_28:                             ;   in Loop: Header=BB148_9 Depth=1
	v_mov_b32_e32 v7, v14
	s_andn2_b64 vcc, exec, s[52:53]
	s_cbranch_vccnz .LBB148_31
.LBB148_29:                             ;   in Loop: Header=BB148_9 Depth=1
	s_lshl_b32 s4, s6, 2
	s_add_u32 s4, s44, s4
	s_addc_u32 s5, s45, 0
	s_mul_i32 s6, s6, 12
	s_add_u32 s6, s34, s6
	s_addc_u32 s7, s35, 0
	s_mov_b32 s16, s64
.LBB148_30:                             ;   Parent Loop BB148_9 Depth=1
                                        ; =>  This Inner Loop Header: Depth=2
	s_load_dwordx2 s[18:19], s[6:7], 0x4
	s_load_dword s17, s[6:7], 0xc
	s_load_dword s20, s[4:5], 0x0
	s_add_u32 s6, s6, 12
	s_addc_u32 s7, s7, 0
	s_waitcnt lgkmcnt(0)
	v_mul_hi_u32 v9, s19, v7
	v_add_u32_e32 v9, v7, v9
	v_lshrrev_b32_e32 v9, s17, v9
	s_add_u32 s4, s4, 4
	v_mul_lo_u32 v10, v9, s18
	s_addc_u32 s5, s5, 0
	s_add_i32 s16, s16, -1
	v_sub_u32_e32 v10, v7, v10
	s_cmp_lg_u32 s16, 0
	v_mov_b32_e32 v7, v9
	v_mad_u64_u32 v[8:9], s[18:19], v10, s20, v[8:9]
	s_cbranch_scc1 .LBB148_30
.LBB148_31:                             ;   in Loop: Header=BB148_9 Depth=1
	s_cbranch_execnz .LBB148_34
.LBB148_32:                             ;   in Loop: Header=BB148_9 Depth=1
	v_mul_hi_u32 v7, v14, s10
	v_add_u32_e32 v7, v7, v14
	v_lshrrev_b32_e32 v7, s11, v7
	v_mul_lo_u32 v8, v7, s9
	v_sub_u32_e32 v8, v14, v8
	s_andn2_b64 vcc, exec, s[48:49]
	v_mul_lo_u32 v8, v8, s46
	s_cbranch_vccnz .LBB148_34
; %bb.33:                               ;   in Loop: Header=BB148_9 Depth=1
	v_mul_hi_u32 v9, s8, v7
	v_add_u32_e32 v9, v7, v9
	v_lshrrev_b32_e32 v9, s14, v9
	v_mul_lo_u32 v9, v9, s12
	v_sub_u32_e32 v7, v7, v9
	v_mad_u64_u32 v[8:9], s[4:5], v7, s47, v[8:9]
.LBB148_34:                             ;   in Loop: Header=BB148_9 Depth=1
	v_cvt_f32_u32_e32 v0, v0
	v_mov_b32_e32 v7, 0x2f800000
	v_fmac_f32_e32 v7, 0x2f800000, v0
	v_cmp_lt_f32_e32 vcc, v7, v39
	v_cndmask_b32_e64 v0, 0, 1.0, vcc
	global_store_dword v8, v0, s[28:29]
.LBB148_35:                             ;   in Loop: Header=BB148_9 Depth=1
	s_or_b64 exec, exec, s[2:3]
	v_mov_b32_e32 v0, s59
	v_add_co_u32_e32 v8, vcc, s33, v14
	v_addc_co_u32_e32 v9, vcc, v15, v0, vcc
	v_cmp_gt_i64_e32 vcc, s[24:25], v[8:9]
	s_and_saveexec_b64 s[2:3], vcc
	s_cbranch_execz .LBB148_51
; %bb.36:                               ;   in Loop: Header=BB148_9 Depth=1
	s_and_b64 vcc, exec, s[0:1]
	s_cbranch_vccnz .LBB148_42
; %bb.37:                               ;   in Loop: Header=BB148_9 Depth=1
	s_andn2_b64 vcc, exec, s[42:43]
	s_cbranch_vccnz .LBB148_43
; %bb.38:                               ;   in Loop: Header=BB148_9 Depth=1
	s_mov_b32 s6, 0
	s_andn2_b64 vcc, exec, s[30:31]
	v_mov_b32_e32 v10, 0
	s_cbranch_vccnz .LBB148_44
; %bb.39:                               ;   in Loop: Header=BB148_9 Depth=1
	s_mov_b32 s66, 0
	v_mov_b32_e32 v10, 0
	s_mov_b64 s[54:55], s[34:35]
	s_mov_b64 s[56:57], s[44:45]
	v_mov_b32_e32 v0, v8
.LBB148_40:                             ;   Parent Loop BB148_9 Depth=1
                                        ; =>  This Inner Loop Header: Depth=2
	s_load_dwordx8 s[16:23], s[54:55], 0x4
	s_load_dwordx4 s[4:7], s[54:55], 0x24
	s_load_dwordx4 s[36:39], s[56:57], 0x0
	s_add_u32 s54, s54, 48
	s_addc_u32 s55, s55, 0
	s_waitcnt lgkmcnt(0)
	v_mul_hi_u32 v7, s17, v0
	v_add_u32_e32 v7, v0, v7
	v_lshrrev_b32_e32 v7, s18, v7
	v_mul_lo_u32 v9, v7, s16
	v_mul_hi_u32 v11, s20, v7
	v_sub_u32_e32 v0, v0, v9
	v_add_u32_e32 v9, v7, v11
	v_lshrrev_b32_e32 v9, s21, v9
	v_mul_lo_u32 v11, v9, s19
	v_mul_hi_u32 v17, s23, v9
	v_sub_u32_e32 v7, v7, v11
	v_add_u32_e32 v11, v9, v17
	v_mul_lo_u32 v0, v0, s36
	v_mul_lo_u32 v7, v7, s37
	v_lshrrev_b32_e32 v11, s4, v11
	v_add3_u32 v7, v0, v10, v7
	v_mul_lo_u32 v0, v11, s22
	v_mul_hi_u32 v10, s6, v11
	v_sub_u32_e32 v0, v9, v0
	v_add_u32_e32 v9, v11, v10
	v_mul_lo_u32 v10, v0, s38
	v_lshrrev_b32_e32 v0, s7, v9
	s_add_i32 s66, s66, 4
	v_mul_lo_u32 v9, v0, s5
	s_add_u32 s56, s56, 16
	v_sub_u32_e32 v9, v11, v9
	s_addc_u32 s57, s57, 0
	v_mul_lo_u32 v9, v9, s39
	s_cmp_eq_u32 s65, s66
	v_add3_u32 v10, v10, v7, v9
	s_cbranch_scc0 .LBB148_40
; %bb.41:                               ;   in Loop: Header=BB148_9 Depth=1
	s_mov_b32 s6, s65
	s_andn2_b64 vcc, exec, s[52:53]
	s_cbranch_vccz .LBB148_45
	s_branch .LBB148_47
.LBB148_42:                             ;   in Loop: Header=BB148_9 Depth=1
                                        ; implicit-def: $vgpr10
	s_branch .LBB148_48
.LBB148_43:                             ;   in Loop: Header=BB148_9 Depth=1
	v_mov_b32_e32 v10, 0
	s_branch .LBB148_47
.LBB148_44:                             ;   in Loop: Header=BB148_9 Depth=1
	v_mov_b32_e32 v0, v8
	s_andn2_b64 vcc, exec, s[52:53]
	s_cbranch_vccnz .LBB148_47
.LBB148_45:                             ;   in Loop: Header=BB148_9 Depth=1
	s_lshl_b32 s4, s6, 2
	s_add_u32 s4, s44, s4
	s_addc_u32 s5, s45, 0
	s_mul_i32 s6, s6, 12
	s_add_u32 s6, s34, s6
	s_addc_u32 s7, s35, 0
	s_mov_b32 s16, s64
.LBB148_46:                             ;   Parent Loop BB148_9 Depth=1
                                        ; =>  This Inner Loop Header: Depth=2
	s_load_dwordx2 s[18:19], s[6:7], 0x4
	s_load_dword s17, s[6:7], 0xc
	s_load_dword s20, s[4:5], 0x0
	s_add_u32 s6, s6, 12
	s_addc_u32 s7, s7, 0
	s_waitcnt lgkmcnt(0)
	v_mul_hi_u32 v7, s19, v0
	v_add_u32_e32 v7, v0, v7
	v_lshrrev_b32_e32 v7, s17, v7
	s_add_u32 s4, s4, 4
	v_mul_lo_u32 v9, v7, s18
	s_addc_u32 s5, s5, 0
	s_add_i32 s16, s16, -1
	v_sub_u32_e32 v9, v0, v9
	s_cmp_lg_u32 s16, 0
	v_mov_b32_e32 v0, v7
	v_mad_u64_u32 v[10:11], s[18:19], v9, s20, v[10:11]
	s_cbranch_scc1 .LBB148_46
.LBB148_47:                             ;   in Loop: Header=BB148_9 Depth=1
	s_cbranch_execnz .LBB148_50
.LBB148_48:                             ;   in Loop: Header=BB148_9 Depth=1
	v_mul_hi_u32 v0, v8, s10
	v_add_u32_e32 v0, v0, v8
	v_lshrrev_b32_e32 v0, s11, v0
	v_mul_lo_u32 v7, v0, s9
	v_sub_u32_e32 v7, v8, v7
	s_andn2_b64 vcc, exec, s[48:49]
	v_mul_lo_u32 v10, v7, s46
	s_cbranch_vccnz .LBB148_50
; %bb.49:                               ;   in Loop: Header=BB148_9 Depth=1
	v_mul_hi_u32 v7, s8, v0
	v_add_u32_e32 v7, v0, v7
	v_lshrrev_b32_e32 v7, s14, v7
	v_mul_lo_u32 v7, v7, s12
	v_sub_u32_e32 v0, v0, v7
	v_mad_u64_u32 v[10:11], s[4:5], v0, s47, v[10:11]
.LBB148_50:                             ;   in Loop: Header=BB148_9 Depth=1
	v_cvt_f32_u32_e32 v0, v1
	v_mov_b32_e32 v1, 0x2f800000
	v_fmac_f32_e32 v1, 0x2f800000, v0
	v_cmp_lt_f32_e32 vcc, v1, v39
	v_cndmask_b32_e64 v0, 0, 1.0, vcc
	global_store_dword v10, v0, s[28:29]
.LBB148_51:                             ;   in Loop: Header=BB148_9 Depth=1
	s_or_b64 exec, exec, s[2:3]
	v_mov_b32_e32 v1, s15
	v_add_co_u32_e32 v0, vcc, s13, v14
	v_addc_co_u32_e32 v1, vcc, v15, v1, vcc
	v_cmp_gt_i64_e32 vcc, s[24:25], v[0:1]
	s_and_saveexec_b64 s[2:3], vcc
	s_cbranch_execz .LBB148_67
; %bb.52:                               ;   in Loop: Header=BB148_9 Depth=1
	s_and_b64 vcc, exec, s[0:1]
	s_cbranch_vccnz .LBB148_58
; %bb.53:                               ;   in Loop: Header=BB148_9 Depth=1
	s_andn2_b64 vcc, exec, s[42:43]
	s_cbranch_vccnz .LBB148_59
; %bb.54:                               ;   in Loop: Header=BB148_9 Depth=1
	s_mov_b32 s6, 0
	s_andn2_b64 vcc, exec, s[30:31]
	v_mov_b32_e32 v8, 0
	s_cbranch_vccnz .LBB148_60
; %bb.55:                               ;   in Loop: Header=BB148_9 Depth=1
	s_mov_b32 s66, 0
	v_mov_b32_e32 v8, 0
	s_mov_b64 s[54:55], s[34:35]
	s_mov_b64 s[56:57], s[44:45]
	v_mov_b32_e32 v1, v0
.LBB148_56:                             ;   Parent Loop BB148_9 Depth=1
                                        ; =>  This Inner Loop Header: Depth=2
	s_load_dwordx8 s[16:23], s[54:55], 0x4
	s_load_dwordx4 s[4:7], s[54:55], 0x24
	s_load_dwordx4 s[36:39], s[56:57], 0x0
	s_add_u32 s54, s54, 48
	s_addc_u32 s55, s55, 0
	s_waitcnt lgkmcnt(0)
	v_mul_hi_u32 v7, s17, v1
	v_add_u32_e32 v7, v1, v7
	v_lshrrev_b32_e32 v7, s18, v7
	v_mul_lo_u32 v9, v7, s16
	v_mul_hi_u32 v10, s20, v7
	v_sub_u32_e32 v1, v1, v9
	v_add_u32_e32 v9, v7, v10
	v_lshrrev_b32_e32 v9, s21, v9
	v_mul_lo_u32 v10, v9, s19
	v_mul_hi_u32 v11, s23, v9
	v_sub_u32_e32 v7, v7, v10
	v_add_u32_e32 v10, v9, v11
	v_mul_lo_u32 v1, v1, s36
	v_mul_lo_u32 v7, v7, s37
	v_lshrrev_b32_e32 v10, s4, v10
	v_add3_u32 v7, v1, v8, v7
	v_mul_lo_u32 v1, v10, s22
	v_mul_hi_u32 v8, s6, v10
	v_sub_u32_e32 v1, v9, v1
	v_add_u32_e32 v8, v10, v8
	v_mul_lo_u32 v9, v1, s38
	v_lshrrev_b32_e32 v1, s7, v8
	s_add_i32 s66, s66, 4
	v_mul_lo_u32 v8, v1, s5
	s_add_u32 s56, s56, 16
	v_sub_u32_e32 v8, v10, v8
	s_addc_u32 s57, s57, 0
	v_mul_lo_u32 v8, v8, s39
	s_cmp_eq_u32 s65, s66
	v_add3_u32 v8, v9, v7, v8
	s_cbranch_scc0 .LBB148_56
; %bb.57:                               ;   in Loop: Header=BB148_9 Depth=1
	s_mov_b32 s6, s65
	s_andn2_b64 vcc, exec, s[52:53]
	s_cbranch_vccz .LBB148_61
	s_branch .LBB148_63
.LBB148_58:                             ;   in Loop: Header=BB148_9 Depth=1
                                        ; implicit-def: $vgpr8
	s_branch .LBB148_64
.LBB148_59:                             ;   in Loop: Header=BB148_9 Depth=1
	v_mov_b32_e32 v8, 0
	s_branch .LBB148_63
.LBB148_60:                             ;   in Loop: Header=BB148_9 Depth=1
	v_mov_b32_e32 v1, v0
	s_andn2_b64 vcc, exec, s[52:53]
	s_cbranch_vccnz .LBB148_63
.LBB148_61:                             ;   in Loop: Header=BB148_9 Depth=1
	s_lshl_b32 s4, s6, 2
	s_add_u32 s4, s44, s4
	s_addc_u32 s5, s45, 0
	s_mul_i32 s6, s6, 12
	s_add_u32 s6, s34, s6
	s_addc_u32 s7, s35, 0
	s_mov_b32 s16, s64
.LBB148_62:                             ;   Parent Loop BB148_9 Depth=1
                                        ; =>  This Inner Loop Header: Depth=2
	s_load_dwordx2 s[18:19], s[6:7], 0x4
	s_load_dword s17, s[6:7], 0xc
	s_load_dword s20, s[4:5], 0x0
	s_add_u32 s6, s6, 12
	s_addc_u32 s7, s7, 0
	s_waitcnt lgkmcnt(0)
	v_mul_hi_u32 v7, s19, v1
	v_add_u32_e32 v7, v1, v7
	v_lshrrev_b32_e32 v7, s17, v7
	s_add_u32 s4, s4, 4
	v_mul_lo_u32 v9, v7, s18
	s_addc_u32 s5, s5, 0
	s_add_i32 s16, s16, -1
	v_sub_u32_e32 v9, v1, v9
	s_cmp_lg_u32 s16, 0
	v_mov_b32_e32 v1, v7
	v_mad_u64_u32 v[8:9], s[18:19], v9, s20, v[8:9]
	s_cbranch_scc1 .LBB148_62
.LBB148_63:                             ;   in Loop: Header=BB148_9 Depth=1
	s_cbranch_execnz .LBB148_66
.LBB148_64:                             ;   in Loop: Header=BB148_9 Depth=1
	v_mul_hi_u32 v1, v0, s10
	v_add_u32_e32 v1, v1, v0
	v_lshrrev_b32_e32 v1, s11, v1
	v_mul_lo_u32 v7, v1, s9
	v_sub_u32_e32 v0, v0, v7
	s_andn2_b64 vcc, exec, s[48:49]
	v_mul_lo_u32 v8, v0, s46
	s_cbranch_vccnz .LBB148_66
; %bb.65:                               ;   in Loop: Header=BB148_9 Depth=1
	v_mul_hi_u32 v0, s8, v1
	v_add_u32_e32 v0, v1, v0
	v_lshrrev_b32_e32 v0, s14, v0
	v_mul_lo_u32 v0, v0, s12
	v_sub_u32_e32 v0, v1, v0
	v_mad_u64_u32 v[8:9], s[4:5], v0, s47, v[8:9]
.LBB148_66:                             ;   in Loop: Header=BB148_9 Depth=1
	v_cvt_f32_u32_e32 v0, v2
	v_mov_b32_e32 v1, 0x2f800000
	v_fmac_f32_e32 v1, 0x2f800000, v0
	v_cmp_lt_f32_e32 vcc, v1, v39
	v_cndmask_b32_e64 v0, 0, 1.0, vcc
	global_store_dword v8, v0, s[28:29]
.LBB148_67:                             ;   in Loop: Header=BB148_9 Depth=1
	s_or_b64 exec, exec, s[2:3]
	v_mov_b32_e32 v1, s63
	v_add_co_u32_e32 v0, vcc, s62, v14
	v_addc_co_u32_e32 v1, vcc, v15, v1, vcc
	v_cmp_gt_i64_e32 vcc, s[24:25], v[0:1]
	s_and_saveexec_b64 s[36:37], vcc
	s_cbranch_execz .LBB148_8
; %bb.68:                               ;   in Loop: Header=BB148_9 Depth=1
	s_and_b64 vcc, exec, s[0:1]
	s_cbranch_vccnz .LBB148_74
; %bb.69:                               ;   in Loop: Header=BB148_9 Depth=1
	s_andn2_b64 vcc, exec, s[42:43]
	s_cbranch_vccnz .LBB148_75
; %bb.70:                               ;   in Loop: Header=BB148_9 Depth=1
	s_mov_b32 s2, 0
	s_andn2_b64 vcc, exec, s[30:31]
	v_mov_b32_e32 v8, 0
	s_cbranch_vccnz .LBB148_76
; %bb.71:                               ;   in Loop: Header=BB148_9 Depth=1
	s_mov_b32 s56, 0
	v_mov_b32_e32 v8, 0
	s_mov_b64 s[38:39], s[34:35]
	s_mov_b64 s[54:55], s[44:45]
	v_mov_b32_e32 v1, v0
.LBB148_72:                             ;   Parent Loop BB148_9 Depth=1
                                        ; =>  This Inner Loop Header: Depth=2
	s_load_dwordx8 s[0:7], s[38:39], 0x4
	s_load_dwordx4 s[16:19], s[38:39], 0x24
	s_load_dwordx4 s[20:23], s[54:55], 0x0
	s_add_u32 s38, s38, 48
	s_addc_u32 s39, s39, 0
	s_waitcnt lgkmcnt(0)
	v_mul_hi_u32 v2, s1, v1
	v_add_u32_e32 v2, v1, v2
	v_lshrrev_b32_e32 v2, s2, v2
	v_mul_lo_u32 v7, v2, s0
	v_mul_hi_u32 v9, s4, v2
	v_sub_u32_e32 v1, v1, v7
	v_add_u32_e32 v7, v2, v9
	v_lshrrev_b32_e32 v7, s5, v7
	v_mul_lo_u32 v9, v7, s3
	v_mul_hi_u32 v10, s7, v7
	v_sub_u32_e32 v2, v2, v9
	v_add_u32_e32 v9, v7, v10
	v_mul_lo_u32 v1, v1, s20
	v_mul_lo_u32 v2, v2, s21
	v_lshrrev_b32_e32 v9, s16, v9
	v_add3_u32 v2, v1, v8, v2
	v_mul_lo_u32 v1, v9, s6
	v_mul_hi_u32 v8, s18, v9
	v_sub_u32_e32 v1, v7, v1
	v_add_u32_e32 v7, v9, v8
	v_mul_lo_u32 v8, v1, s22
	v_lshrrev_b32_e32 v1, s19, v7
	s_add_i32 s56, s56, 4
	v_mul_lo_u32 v7, v1, s17
	s_add_u32 s54, s54, 16
	v_sub_u32_e32 v7, v9, v7
	s_addc_u32 s55, s55, 0
	v_mul_lo_u32 v7, v7, s23
	s_cmp_eq_u32 s65, s56
	v_add3_u32 v8, v8, v2, v7
	s_cbranch_scc0 .LBB148_72
; %bb.73:                               ;   in Loop: Header=BB148_9 Depth=1
	s_mov_b32 s2, s65
	s_andn2_b64 vcc, exec, s[52:53]
	s_cbranch_vccz .LBB148_77
	s_branch .LBB148_79
.LBB148_74:                             ;   in Loop: Header=BB148_9 Depth=1
                                        ; implicit-def: $vgpr8
	s_branch .LBB148_80
.LBB148_75:                             ;   in Loop: Header=BB148_9 Depth=1
	v_mov_b32_e32 v8, 0
	s_branch .LBB148_79
.LBB148_76:                             ;   in Loop: Header=BB148_9 Depth=1
	v_mov_b32_e32 v1, v0
	s_andn2_b64 vcc, exec, s[52:53]
	s_cbranch_vccnz .LBB148_79
.LBB148_77:                             ;   in Loop: Header=BB148_9 Depth=1
	s_lshl_b32 s0, s2, 2
	s_add_u32 s0, s44, s0
	s_addc_u32 s1, s45, 0
	s_mul_i32 s2, s2, 12
	s_add_u32 s2, s34, s2
	s_addc_u32 s3, s35, 0
	s_mov_b32 s4, s64
.LBB148_78:                             ;   Parent Loop BB148_9 Depth=1
                                        ; =>  This Inner Loop Header: Depth=2
	s_load_dwordx2 s[6:7], s[2:3], 0x4
	s_load_dword s5, s[2:3], 0xc
	s_load_dword s16, s[0:1], 0x0
	s_add_u32 s2, s2, 12
	s_addc_u32 s3, s3, 0
	s_waitcnt lgkmcnt(0)
	v_mul_hi_u32 v2, s7, v1
	v_add_u32_e32 v2, v1, v2
	v_lshrrev_b32_e32 v2, s5, v2
	s_add_u32 s0, s0, 4
	v_mul_lo_u32 v7, v2, s6
	s_addc_u32 s1, s1, 0
	s_add_i32 s4, s4, -1
	v_sub_u32_e32 v7, v1, v7
	s_cmp_lg_u32 s4, 0
	v_mov_b32_e32 v1, v2
	v_mad_u64_u32 v[8:9], s[6:7], v7, s16, v[8:9]
	s_cbranch_scc1 .LBB148_78
.LBB148_79:                             ;   in Loop: Header=BB148_9 Depth=1
	s_cbranch_execnz .LBB148_7
.LBB148_80:                             ;   in Loop: Header=BB148_9 Depth=1
	v_mul_hi_u32 v1, v0, s10
	v_add_u32_e32 v1, v1, v0
	v_lshrrev_b32_e32 v1, s11, v1
	v_mul_lo_u32 v2, v1, s9
	v_sub_u32_e32 v0, v0, v2
	s_andn2_b64 vcc, exec, s[48:49]
	v_mul_lo_u32 v8, v0, s46
	s_cbranch_vccnz .LBB148_7
; %bb.81:                               ;   in Loop: Header=BB148_9 Depth=1
	v_mul_hi_u32 v0, s8, v1
	v_add_u32_e32 v0, v1, v0
	v_lshrrev_b32_e32 v0, s14, v0
	v_mul_lo_u32 v0, v0, s12
	v_sub_u32_e32 v0, v1, v0
	v_mad_u64_u32 v[8:9], s[0:1], v0, s47, v[8:9]
	s_branch .LBB148_7
.LBB148_82:
	s_endpgm
.LBB148_83:
                                        ; implicit-def: $sgpr2_sgpr3
	s_andn2_b64 vcc, exec, s[0:1]
	s_cbranch_vccz .LBB148_4
	s_branch .LBB148_5
	.section	.rodata,"a",@progbits
	.p2align	6, 0x0
	.amdhsa_kernel _ZN2at6native12_GLOBAL__N_143distribution_elementwise_grid_stride_kernelIfLi4EZNS0_9templates4cuda21uniform_and_transformIffPNS_17CUDAGeneratorImplEZZZNS4_16bernoulli_kernelIS7_EEvRNS_18TensorIteratorBaseEdT_ENKUlvE_clEvENKUlvE5_clEvEUlfE_EEvSA_T1_T2_EUlP25hiprandStatePhilox4_32_10E0_ZNS1_27distribution_nullary_kernelIff15HIP_vector_typeIfLj4EES7_SJ_SE_EEvSA_SG_RKT3_T4_EUlifE0_EEvlNS_15PhiloxCudaStateESF_SG_
		.amdhsa_group_segment_fixed_size 0
		.amdhsa_private_segment_fixed_size 0
		.amdhsa_kernarg_size 584
		.amdhsa_user_sgpr_count 6
		.amdhsa_user_sgpr_private_segment_buffer 1
		.amdhsa_user_sgpr_dispatch_ptr 0
		.amdhsa_user_sgpr_queue_ptr 0
		.amdhsa_user_sgpr_kernarg_segment_ptr 1
		.amdhsa_user_sgpr_dispatch_id 0
		.amdhsa_user_sgpr_flat_scratch_init 0
		.amdhsa_user_sgpr_kernarg_preload_length 0
		.amdhsa_user_sgpr_kernarg_preload_offset 0
		.amdhsa_user_sgpr_private_segment_size 0
		.amdhsa_uses_dynamic_stack 0
		.amdhsa_system_sgpr_private_segment_wavefront_offset 0
		.amdhsa_system_sgpr_workgroup_id_x 1
		.amdhsa_system_sgpr_workgroup_id_y 0
		.amdhsa_system_sgpr_workgroup_id_z 0
		.amdhsa_system_sgpr_workgroup_info 0
		.amdhsa_system_vgpr_workitem_id 0
		.amdhsa_next_free_vgpr 42
		.amdhsa_next_free_sgpr 67
		.amdhsa_accum_offset 44
		.amdhsa_reserve_vcc 1
		.amdhsa_reserve_flat_scratch 0
		.amdhsa_float_round_mode_32 0
		.amdhsa_float_round_mode_16_64 0
		.amdhsa_float_denorm_mode_32 3
		.amdhsa_float_denorm_mode_16_64 3
		.amdhsa_dx10_clamp 1
		.amdhsa_ieee_mode 1
		.amdhsa_fp16_overflow 0
		.amdhsa_tg_split 0
		.amdhsa_exception_fp_ieee_invalid_op 0
		.amdhsa_exception_fp_denorm_src 0
		.amdhsa_exception_fp_ieee_div_zero 0
		.amdhsa_exception_fp_ieee_overflow 0
		.amdhsa_exception_fp_ieee_underflow 0
		.amdhsa_exception_fp_ieee_inexact 0
		.amdhsa_exception_int_div_zero 0
	.end_amdhsa_kernel
	.section	.text._ZN2at6native12_GLOBAL__N_143distribution_elementwise_grid_stride_kernelIfLi4EZNS0_9templates4cuda21uniform_and_transformIffPNS_17CUDAGeneratorImplEZZZNS4_16bernoulli_kernelIS7_EEvRNS_18TensorIteratorBaseEdT_ENKUlvE_clEvENKUlvE5_clEvEUlfE_EEvSA_T1_T2_EUlP25hiprandStatePhilox4_32_10E0_ZNS1_27distribution_nullary_kernelIff15HIP_vector_typeIfLj4EES7_SJ_SE_EEvSA_SG_RKT3_T4_EUlifE0_EEvlNS_15PhiloxCudaStateESF_SG_,"axG",@progbits,_ZN2at6native12_GLOBAL__N_143distribution_elementwise_grid_stride_kernelIfLi4EZNS0_9templates4cuda21uniform_and_transformIffPNS_17CUDAGeneratorImplEZZZNS4_16bernoulli_kernelIS7_EEvRNS_18TensorIteratorBaseEdT_ENKUlvE_clEvENKUlvE5_clEvEUlfE_EEvSA_T1_T2_EUlP25hiprandStatePhilox4_32_10E0_ZNS1_27distribution_nullary_kernelIff15HIP_vector_typeIfLj4EES7_SJ_SE_EEvSA_SG_RKT3_T4_EUlifE0_EEvlNS_15PhiloxCudaStateESF_SG_,comdat
.Lfunc_end148:
	.size	_ZN2at6native12_GLOBAL__N_143distribution_elementwise_grid_stride_kernelIfLi4EZNS0_9templates4cuda21uniform_and_transformIffPNS_17CUDAGeneratorImplEZZZNS4_16bernoulli_kernelIS7_EEvRNS_18TensorIteratorBaseEdT_ENKUlvE_clEvENKUlvE5_clEvEUlfE_EEvSA_T1_T2_EUlP25hiprandStatePhilox4_32_10E0_ZNS1_27distribution_nullary_kernelIff15HIP_vector_typeIfLj4EES7_SJ_SE_EEvSA_SG_RKT3_T4_EUlifE0_EEvlNS_15PhiloxCudaStateESF_SG_, .Lfunc_end148-_ZN2at6native12_GLOBAL__N_143distribution_elementwise_grid_stride_kernelIfLi4EZNS0_9templates4cuda21uniform_and_transformIffPNS_17CUDAGeneratorImplEZZZNS4_16bernoulli_kernelIS7_EEvRNS_18TensorIteratorBaseEdT_ENKUlvE_clEvENKUlvE5_clEvEUlfE_EEvSA_T1_T2_EUlP25hiprandStatePhilox4_32_10E0_ZNS1_27distribution_nullary_kernelIff15HIP_vector_typeIfLj4EES7_SJ_SE_EEvSA_SG_RKT3_T4_EUlifE0_EEvlNS_15PhiloxCudaStateESF_SG_
                                        ; -- End function
	.section	.AMDGPU.csdata,"",@progbits
; Kernel info:
; codeLenInByte = 4432
; NumSgprs: 71
; NumVgprs: 42
; NumAgprs: 0
; TotalNumVgprs: 42
; ScratchSize: 0
; MemoryBound: 0
; FloatMode: 240
; IeeeMode: 1
; LDSByteSize: 0 bytes/workgroup (compile time only)
; SGPRBlocks: 8
; VGPRBlocks: 5
; NumSGPRsForWavesPerEU: 71
; NumVGPRsForWavesPerEU: 42
; AccumOffset: 44
; Occupancy: 8
; WaveLimiterHint : 1
; COMPUTE_PGM_RSRC2:SCRATCH_EN: 0
; COMPUTE_PGM_RSRC2:USER_SGPR: 6
; COMPUTE_PGM_RSRC2:TRAP_HANDLER: 0
; COMPUTE_PGM_RSRC2:TGID_X_EN: 1
; COMPUTE_PGM_RSRC2:TGID_Y_EN: 0
; COMPUTE_PGM_RSRC2:TGID_Z_EN: 0
; COMPUTE_PGM_RSRC2:TIDIG_COMP_CNT: 0
; COMPUTE_PGM_RSRC3_GFX90A:ACCUM_OFFSET: 10
; COMPUTE_PGM_RSRC3_GFX90A:TG_SPLIT: 0
	.section	.text._ZN2at6native12_GLOBAL__N_143distribution_elementwise_grid_stride_kernelIfLi4EZNS0_9templates4cuda21uniform_and_transformIN3c104HalfEfPNS_17CUDAGeneratorImplEZZZNS4_16bernoulli_kernelIS9_EEvRNS_18TensorIteratorBaseEdT_ENKUlvE_clEvENKUlvE6_clEvEUlfE_EEvSC_T1_T2_EUlP25hiprandStatePhilox4_32_10E_ZNS1_27distribution_nullary_kernelIS7_f15HIP_vector_typeIdLj2EES9_SL_SG_EEvSC_SI_RKT3_T4_EUlifE_EEvlNS_15PhiloxCudaStateESH_SI_,"axG",@progbits,_ZN2at6native12_GLOBAL__N_143distribution_elementwise_grid_stride_kernelIfLi4EZNS0_9templates4cuda21uniform_and_transformIN3c104HalfEfPNS_17CUDAGeneratorImplEZZZNS4_16bernoulli_kernelIS9_EEvRNS_18TensorIteratorBaseEdT_ENKUlvE_clEvENKUlvE6_clEvEUlfE_EEvSC_T1_T2_EUlP25hiprandStatePhilox4_32_10E_ZNS1_27distribution_nullary_kernelIS7_f15HIP_vector_typeIdLj2EES9_SL_SG_EEvSC_SI_RKT3_T4_EUlifE_EEvlNS_15PhiloxCudaStateESH_SI_,comdat
	.globl	_ZN2at6native12_GLOBAL__N_143distribution_elementwise_grid_stride_kernelIfLi4EZNS0_9templates4cuda21uniform_and_transformIN3c104HalfEfPNS_17CUDAGeneratorImplEZZZNS4_16bernoulli_kernelIS9_EEvRNS_18TensorIteratorBaseEdT_ENKUlvE_clEvENKUlvE6_clEvEUlfE_EEvSC_T1_T2_EUlP25hiprandStatePhilox4_32_10E_ZNS1_27distribution_nullary_kernelIS7_f15HIP_vector_typeIdLj2EES9_SL_SG_EEvSC_SI_RKT3_T4_EUlifE_EEvlNS_15PhiloxCudaStateESH_SI_ ; -- Begin function _ZN2at6native12_GLOBAL__N_143distribution_elementwise_grid_stride_kernelIfLi4EZNS0_9templates4cuda21uniform_and_transformIN3c104HalfEfPNS_17CUDAGeneratorImplEZZZNS4_16bernoulli_kernelIS9_EEvRNS_18TensorIteratorBaseEdT_ENKUlvE_clEvENKUlvE6_clEvEUlfE_EEvSC_T1_T2_EUlP25hiprandStatePhilox4_32_10E_ZNS1_27distribution_nullary_kernelIS7_f15HIP_vector_typeIdLj2EES9_SL_SG_EEvSC_SI_RKT3_T4_EUlifE_EEvlNS_15PhiloxCudaStateESH_SI_
	.p2align	8
	.type	_ZN2at6native12_GLOBAL__N_143distribution_elementwise_grid_stride_kernelIfLi4EZNS0_9templates4cuda21uniform_and_transformIN3c104HalfEfPNS_17CUDAGeneratorImplEZZZNS4_16bernoulli_kernelIS9_EEvRNS_18TensorIteratorBaseEdT_ENKUlvE_clEvENKUlvE6_clEvEUlfE_EEvSC_T1_T2_EUlP25hiprandStatePhilox4_32_10E_ZNS1_27distribution_nullary_kernelIS7_f15HIP_vector_typeIdLj2EES9_SL_SG_EEvSC_SI_RKT3_T4_EUlifE_EEvlNS_15PhiloxCudaStateESH_SI_,@function
_ZN2at6native12_GLOBAL__N_143distribution_elementwise_grid_stride_kernelIfLi4EZNS0_9templates4cuda21uniform_and_transformIN3c104HalfEfPNS_17CUDAGeneratorImplEZZZNS4_16bernoulli_kernelIS9_EEvRNS_18TensorIteratorBaseEdT_ENKUlvE_clEvENKUlvE6_clEvEUlfE_EEvSC_T1_T2_EUlP25hiprandStatePhilox4_32_10E_ZNS1_27distribution_nullary_kernelIS7_f15HIP_vector_typeIdLj2EES9_SL_SG_EEvSC_SI_RKT3_T4_EUlifE_EEvlNS_15PhiloxCudaStateESH_SI_: ; @_ZN2at6native12_GLOBAL__N_143distribution_elementwise_grid_stride_kernelIfLi4EZNS0_9templates4cuda21uniform_and_transformIN3c104HalfEfPNS_17CUDAGeneratorImplEZZZNS4_16bernoulli_kernelIS9_EEvRNS_18TensorIteratorBaseEdT_ENKUlvE_clEvENKUlvE6_clEvEUlfE_EEvSC_T1_T2_EUlP25hiprandStatePhilox4_32_10E_ZNS1_27distribution_nullary_kernelIS7_f15HIP_vector_typeIdLj2EES9_SL_SG_EEvSC_SI_RKT3_T4_EUlifE_EEvlNS_15PhiloxCudaStateESH_SI_
; %bb.0:
	s_load_dword s7, s[4:5], 0x20
	s_load_dwordx2 s[10:11], s[4:5], 0x10
	s_load_dwordx4 s[0:3], s[4:5], 0x0
	s_mov_b32 s8, 0
	s_waitcnt lgkmcnt(0)
	s_bitcmp0_b32 s7, 0
	v_pk_mov_b32 v[2:3], s[10:11], s[10:11] op_sel:[0,1]
	v_pk_mov_b32 v[14:15], s[2:3], s[2:3] op_sel:[0,1]
	s_cbranch_scc1 .LBB149_2
; %bb.1:
	v_pk_mov_b32 v[2:3], s[10:11], s[10:11] op_sel:[0,1]
	flat_load_dwordx2 v[2:3], v[2:3]
	v_pk_mov_b32 v[4:5], s[2:3], s[2:3] op_sel:[0,1]
	flat_load_dwordx2 v[14:15], v[4:5]
	s_load_dwordx2 s[2:3], s[4:5], 0x18
	s_waitcnt lgkmcnt(0)
	v_mov_b32_e32 v1, s3
	s_waitcnt vmcnt(0)
	v_add_co_u32_e32 v2, vcc, s2, v2
	v_addc_co_u32_e32 v3, vcc, v3, v1, vcc
.LBB149_2:
	s_load_dword s2, s[4:5], 0x54
	s_load_dword s17, s[4:5], 0x48
	s_waitcnt lgkmcnt(0)
	s_and_b32 s7, s2, 0xffff
	s_add_u32 s10, s0, -1
	s_mul_i32 s12, s17, s7
	s_addc_u32 s9, s1, -1
	s_lshl_b32 s13, s12, 2
	s_cmp_lg_u64 s[8:9], 0
	s_mov_b64 s[2:3], -1
	s_cbranch_scc0 .LBB149_23
; %bb.3:
	v_cvt_f32_u32_e32 v1, s13
	v_cvt_f32_ubyte0_e32 v4, 0
	s_sub_u32 s8, 0, s13
	s_subb_u32 s11, 0, 0
	v_madmk_f32 v1, v4, 0x4f800000, v1
	v_rcp_f32_e32 v1, v1
	v_mul_f32_e32 v1, 0x5f7ffffc, v1
	v_mul_f32_e32 v4, 0x2f800000, v1
	v_trunc_f32_e32 v4, v4
	v_madmk_f32 v1, v4, 0xcf800000, v1
	v_cvt_u32_f32_e32 v4, v4
	v_cvt_u32_f32_e32 v1, v1
	v_readfirstlane_b32 s14, v4
	v_readfirstlane_b32 s15, v1
	s_mul_i32 s16, s8, s14
	s_mul_hi_u32 s19, s8, s15
	s_mul_i32 s18, s11, s15
	s_add_i32 s16, s19, s16
	s_add_i32 s16, s16, s18
	s_mul_i32 s20, s8, s15
	s_mul_hi_u32 s18, s15, s16
	s_mul_i32 s19, s15, s16
	s_mul_hi_u32 s15, s15, s20
	s_add_u32 s15, s15, s19
	s_addc_u32 s18, 0, s18
	s_mul_hi_u32 s21, s14, s20
	s_mul_i32 s20, s14, s20
	s_add_u32 s15, s15, s20
	s_mul_hi_u32 s19, s14, s16
	s_addc_u32 s15, s18, s21
	s_addc_u32 s18, s19, 0
	s_mul_i32 s16, s14, s16
	s_add_u32 s15, s15, s16
	s_addc_u32 s16, 0, s18
	v_add_co_u32_e32 v1, vcc, s15, v1
	s_cmp_lg_u64 vcc, 0
	s_addc_u32 s14, s14, s16
	v_readfirstlane_b32 s16, v1
	s_mul_i32 s15, s8, s14
	s_mul_hi_u32 s18, s8, s16
	s_add_i32 s15, s18, s15
	s_mul_i32 s11, s11, s16
	s_add_i32 s15, s15, s11
	s_mul_i32 s8, s8, s16
	s_mul_hi_u32 s18, s14, s8
	s_mul_i32 s19, s14, s8
	s_mul_i32 s21, s16, s15
	s_mul_hi_u32 s8, s16, s8
	s_mul_hi_u32 s20, s16, s15
	s_add_u32 s8, s8, s21
	s_addc_u32 s16, 0, s20
	s_add_u32 s8, s8, s19
	s_mul_hi_u32 s11, s14, s15
	s_addc_u32 s8, s16, s18
	s_addc_u32 s11, s11, 0
	s_mul_i32 s15, s14, s15
	s_add_u32 s8, s8, s15
	s_addc_u32 s11, 0, s11
	v_add_co_u32_e32 v1, vcc, s8, v1
	s_cmp_lg_u64 vcc, 0
	s_addc_u32 s11, s14, s11
	s_ashr_i32 s14, s9, 31
	s_add_u32 s8, s10, s14
	s_mov_b32 s15, s14
	s_addc_u32 s9, s9, s14
	s_xor_b64 s[8:9], s[8:9], s[14:15]
	v_readfirstlane_b32 s19, v1
	s_mul_i32 s18, s8, s11
	s_mul_hi_u32 s20, s8, s19
	s_mul_hi_u32 s16, s8, s11
	s_add_u32 s18, s20, s18
	s_addc_u32 s16, 0, s16
	s_mul_hi_u32 s21, s9, s19
	s_mul_i32 s19, s9, s19
	s_add_u32 s18, s18, s19
	s_mul_hi_u32 s20, s9, s11
	s_addc_u32 s16, s16, s21
	s_addc_u32 s18, s20, 0
	s_mul_i32 s11, s9, s11
	s_add_u32 s11, s16, s11
	s_addc_u32 s16, 0, s18
	s_add_u32 s18, s11, 1
	s_addc_u32 s19, s16, 0
	s_add_u32 s20, s11, 2
	s_mul_i32 s22, s13, s16
	s_mul_hi_u32 s23, s13, s11
	s_addc_u32 s21, s16, 0
	s_add_i32 s23, s23, s22
	s_mul_i32 s22, s13, s11
	v_mov_b32_e32 v1, s22
	v_sub_co_u32_e32 v1, vcc, s8, v1
	s_cmp_lg_u64 vcc, 0
	s_subb_u32 s8, s9, s23
	v_subrev_co_u32_e32 v4, vcc, s13, v1
	s_cmp_lg_u64 vcc, 0
	s_subb_u32 s9, s8, 0
	v_readfirstlane_b32 s22, v4
	s_cmp_ge_u32 s22, s13
	s_cselect_b32 s22, -1, 0
	s_cmp_eq_u32 s9, 0
	s_cselect_b32 s9, s22, -1
	s_cmp_lg_u32 s9, 0
	s_cselect_b32 s9, s21, s19
	v_readfirstlane_b32 s19, v1
	s_cselect_b32 s18, s20, s18
	s_cmp_ge_u32 s19, s13
	s_cselect_b32 s19, -1, 0
	s_cmp_eq_u32 s8, 0
	s_cselect_b32 s8, s19, -1
	s_cmp_lg_u32 s8, 0
	s_cselect_b32 s9, s9, s16
	s_cselect_b32 s8, s18, s11
	s_xor_b64 s[8:9], s[8:9], s[14:15]
	s_sub_u32 s8, s8, s14
	s_subb_u32 s9, s9, s14
	s_cbranch_execnz .LBB149_5
.LBB149_4:
	v_cvt_f32_u32_e32 v1, s13
	s_sub_i32 s2, 0, s13
	s_mov_b32 s9, 0
	v_rcp_iflag_f32_e32 v1, v1
	v_mul_f32_e32 v1, 0x4f7ffffe, v1
	v_cvt_u32_f32_e32 v1, v1
	v_readfirstlane_b32 s3, v1
	s_mul_i32 s2, s2, s3
	s_mul_hi_u32 s2, s3, s2
	s_add_i32 s3, s3, s2
	s_mul_hi_u32 s2, s10, s3
	s_mul_i32 s8, s2, s13
	s_sub_i32 s8, s10, s8
	s_add_i32 s3, s2, 1
	s_sub_i32 s10, s8, s13
	s_cmp_ge_u32 s8, s13
	s_cselect_b32 s2, s3, s2
	s_cselect_b32 s8, s10, s8
	s_add_i32 s3, s2, 1
	s_cmp_ge_u32 s8, s13
	s_cselect_b32 s8, s3, s2
.LBB149_5:
	v_mov_b32_e32 v1, 0
	v_mov_b32_e32 v4, s6
	v_mad_u64_u32 v[16:17], s[2:3], s7, v4, v[0:1]
	s_add_u32 s2, s8, 1
	s_addc_u32 s3, s9, 0
	s_mul_hi_u32 s8, s17, s7
	s_mul_i32 s3, s12, s3
	s_mul_hi_u32 s9, s12, s2
	s_add_i32 s3, s9, s3
	s_mul_i32 s8, s8, s2
	s_add_i32 s3, s3, s8
	s_mul_i32 s2, s12, s2
	s_lshl_b64 s[2:3], s[2:3], 2
	v_cmp_gt_i64_e32 vcc, s[2:3], v[16:17]
	s_and_saveexec_b64 s[8:9], vcc
	s_cbranch_execz .LBB149_22
; %bb.6:
	s_load_dwordx2 s[8:9], s[4:5], 0x30
	s_load_dword s19, s[4:5], 0x38
	s_load_dwordx2 s[10:11], s[4:5], 0x40
	s_mov_b32 s4, 0x5384540f
	v_mov_b32_e32 v4, v15
	v_add_co_u32_e32 v22, vcc, s4, v14
	s_mov_b32 s4, 0x646e171e
	v_add_co_u32_e32 v23, vcc, s4, v4
	s_mov_b32 s4, 0x1715609d
	;; [unrolled: 2-line block ×6, first 2 shown]
	v_alignbit_b32 v29, v3, v2, 2
	s_mov_b32 s15, 0xd2511f53
	v_add_co_u32_e32 v28, vcc, s4, v14
	v_mad_u64_u32 v[6:7], s[4:5], v29, s15, 0
	v_xor_b32_e32 v1, v7, v15
	v_xor_b32_e32 v1, v1, v17
	s_mov_b32 s16, 0xcd9e8d57
	v_mad_u64_u32 v[8:9], s[4:5], v1, s16, 0
	v_xor_b32_e32 v1, v28, v9
	v_mad_u64_u32 v[10:11], s[4:5], v16, s16, 0
	v_and_b32_e32 v18, 3, v2
	v_xor_b32_e32 v1, v1, v10
	v_xor_b32_e32 v2, v14, v11
	v_lshrrev_b32_e32 v30, 2, v3
	v_mad_u64_u32 v[12:13], s[4:5], v1, s15, 0
	v_xor_b32_e32 v2, v2, v30
	v_xor_b32_e32 v1, v27, v13
	v_mad_u64_u32 v[2:3], s[4:5], v2, s15, 0
	v_xor_b32_e32 v1, v1, v2
	v_mad_u64_u32 v[10:11], s[4:5], v1, s16, 0
	s_mov_b32 s4, 0xbb67ae85
	v_add_co_u32_e32 v31, vcc, s4, v4
	v_xor_b32_e32 v2, v31, v3
	v_xor_b32_e32 v2, v2, v6
	v_xor_b32_e32 v1, v26, v11
	v_mad_u64_u32 v[2:3], s[4:5], v2, s16, 0
	v_xor_b32_e32 v1, v1, v2
	v_mad_u64_u32 v[6:7], s[4:5], v1, s15, 0
	s_mov_b32 s4, 0x3c6ef372
	v_add_co_u32_e32 v32, vcc, s4, v14
	v_xor_b32_e32 v2, v32, v3
	;; [unrolled: 8-line block ×6, first 2 shown]
	v_add_co_u32_e32 v21, vcc, 0xdb3d7428, v4
	v_xor_b32_e32 v2, v2, v8
	v_xor_b32_e32 v1, v21, v7
	v_mad_u64_u32 v[2:3], s[4:5], v2, s15, 0
	v_xor_b32_e32 v1, v1, v2
	v_mad_u64_u32 v[8:9], s[4:5], v1, s16, 0
	s_mov_b32 s4, 0x1fd5c5a3
	v_add_co_u32_e32 v37, vcc, s4, v4
	v_xor_b32_e32 v1, v37, v3
	v_xor_b32_e32 v1, v1, v12
	v_mad_u64_u32 v[2:3], s[4:5], v1, s16, 0
	s_mov_b32 s4, 0xf1bbcdc8
	v_add_u32_e32 v19, 0x8ff34781, v14
	v_xor_b32_e32 v1, v9, v2
	v_add_co_u32_e32 v38, vcc, s4, v14
	v_xor_b32_e32 v2, v19, v1
	v_xor_b32_e32 v1, v38, v3
	;; [unrolled: 1-line block ×3, first 2 shown]
	v_mad_u64_u32 v[10:11], s[4:5], v1, s15, 0
	v_add_u32_e32 v20, 0x96a522ad, v15
	v_xor_b32_e32 v1, v11, v6
	s_mul_i32 s4, s6, s7
	v_xor_b32_e32 v4, v20, v1
	v_add_u32_e32 v1, s4, v0
	s_waitcnt lgkmcnt(0)
	s_mul_i32 s4, s17, s19
	s_mul_i32 s4, s4, s7
	s_lshl_b32 s18, s4, 2
	s_add_i32 s4, s6, s17
	s_mul_i32 s4, s4, s7
	s_mov_b32 s14, 0
	v_add_u32_e32 v0, s4, v0
	v_mov_b32_e32 v3, v8
	v_mov_b32_e32 v5, v10
	v_cvt_f32_f64_e32 v39, s[10:11]
	v_mul_lo_u32 v40, s19, v1
	v_mul_lo_u32 v41, s19, v0
	s_mov_b64 s[4:5], 0
	v_mov_b32_e32 v42, 0x3c00
	s_mov_b32 s17, s14
	v_mov_b32_e32 v43, v16
	v_mov_b32_e32 v44, v17
	s_branch .LBB149_8
.LBB149_7:                              ;   in Loop: Header=BB149_8 Depth=1
	s_or_b64 exec, exec, s[6:7]
	v_add_co_u32_e32 v16, vcc, s13, v16
	v_addc_co_u32_e32 v17, vcc, 0, v17, vcc
	v_mov_b32_e32 v9, v0
	s_add_i32 s17, s17, s18
	v_cmp_le_i64_e32 vcc, s[2:3], v[16:17]
	v_pk_mov_b32 v[2:3], v[6:7], v[6:7] op_sel:[0,1]
	s_or_b64 s[4:5], vcc, s[4:5]
	v_pk_mov_b32 v[4:5], v[8:9], v[8:9] op_sel:[0,1]
	s_barrier
	s_andn2_b64 exec, exec, s[4:5]
	s_cbranch_execz .LBB149_22
.LBB149_8:                              ; =>This Inner Loop Header: Depth=1
	v_add_co_u32_e32 v29, vcc, 1, v29
	v_cndmask_b32_e64 v0, 0, 1, vcc
	v_addc_co_u32_e32 v30, vcc, 0, v30, vcc
	v_cmp_eq_u32_e32 vcc, 0, v30
	v_cndmask_b32_e32 v0, 0, v0, vcc
	v_add_u32_e32 v43, v0, v43
	v_cmp_eq_u32_e32 vcc, 0, v43
	v_cndmask_b32_e32 v0, 0, v0, vcc
	v_add_u32_e32 v44, v0, v44
	v_mad_u64_u32 v[0:1], s[6:7], v29, s15, 0
	v_mad_u64_u32 v[6:7], s[6:7], v43, s16, 0
	v_xor_b32_e32 v1, v1, v15
	v_xor_b32_e32 v7, v7, v14
	v_xor_b32_e32 v1, v44, v1
	v_xor_b32_e32 v7, v30, v7
	v_mad_u64_u32 v[10:11], s[6:7], v1, s16, 0
	v_mad_u64_u32 v[8:9], s[6:7], v7, s15, 0
	v_xor_b32_e32 v1, v28, v11
	v_xor_b32_e32 v1, v1, v6
	v_xor_b32_e32 v6, v31, v9
	v_xor_b32_e32 v6, v6, v0
	;; [unrolled: 6-line block ×10, first 2 shown]
	v_mov_b32_e32 v7, v12
	v_mov_b32_e32 v8, v13
	v_cmp_lt_i32_e32 vcc, 1, v18
	s_and_saveexec_b64 s[6:7], vcc
	s_xor_b64 s[6:7], exec, s[6:7]
	s_cbranch_execnz .LBB149_14
; %bb.9:                                ;   in Loop: Header=BB149_8 Depth=1
	s_andn2_saveexec_b64 s[6:7], s[6:7]
	s_cbranch_execnz .LBB149_19
.LBB149_10:                             ;   in Loop: Header=BB149_8 Depth=1
	s_or_b64 exec, exec, s[6:7]
	v_cmp_gt_i64_e32 vcc, s[0:1], v[16:17]
	s_and_saveexec_b64 s[6:7], vcc
	s_cbranch_execz .LBB149_12
.LBB149_11:                             ;   in Loop: Header=BB149_8 Depth=1
	v_lshrrev_b32_e32 v1, 11, v3
	v_cvt_f64_u32_e32 v[10:11], v1
	v_ldexp_f64 v[10:11], v[10:11], 32
	v_cvt_f64_u32_e32 v[2:3], v2
	v_add_f64 v[2:3], v[10:11], v[2:3]
	v_mov_b32_e32 v10, 0
	v_mov_b32_e32 v11, 0x3ca00000
	v_fmac_f64_e32 v[10:11], 0x3ca00000, v[2:3]
	v_add_u32_e32 v2, s17, v40
	v_ashrrev_i32_e32 v3, 31, v2
	v_mov_b32_e32 v9, s9
	v_add_co_u32_e32 v2, vcc, s8, v2
	v_cvt_f32_f64_e32 v1, v[10:11]
	v_addc_co_u32_e32 v3, vcc, v9, v3, vcc
	v_cmp_gt_f32_e32 vcc, v39, v1
	v_cndmask_b32_e32 v1, 0, v42, vcc
	global_store_short v[2:3], v1, off
.LBB149_12:                             ;   in Loop: Header=BB149_8 Depth=1
	s_or_b64 exec, exec, s[6:7]
	v_mov_b32_e32 v1, s14
	v_add_co_u32_e32 v2, vcc, s12, v16
	v_addc_co_u32_e32 v3, vcc, v1, v17, vcc
	v_cmp_gt_i64_e32 vcc, s[0:1], v[2:3]
	s_and_saveexec_b64 s[6:7], vcc
	s_cbranch_execz .LBB149_7
; %bb.13:                               ;   in Loop: Header=BB149_8 Depth=1
	v_lshrrev_b32_e32 v1, 11, v5
	v_cvt_f64_u32_e32 v[2:3], v1
	v_ldexp_f64 v[2:3], v[2:3], 32
	v_cvt_f64_u32_e32 v[4:5], v4
	v_add_f64 v[2:3], v[2:3], v[4:5]
	v_mov_b32_e32 v4, 0
	v_mov_b32_e32 v5, 0x3ca00000
	v_fmac_f64_e32 v[4:5], 0x3ca00000, v[2:3]
	v_add_u32_e32 v2, s17, v41
	v_cvt_f32_f64_e32 v1, v[4:5]
	v_ashrrev_i32_e32 v3, 31, v2
	v_mov_b32_e32 v4, s9
	v_add_co_u32_e32 v2, vcc, s8, v2
	v_addc_co_u32_e32 v3, vcc, v4, v3, vcc
	v_cmp_gt_f32_e32 vcc, v39, v1
	v_cndmask_b32_e32 v1, 0, v42, vcc
	global_store_short v[2:3], v1, off
	s_branch .LBB149_7
.LBB149_14:                             ;   in Loop: Header=BB149_8 Depth=1
	v_cmp_lt_i32_e32 vcc, 2, v18
	s_and_saveexec_b64 s[10:11], vcc
	s_xor_b64 s[10:11], exec, s[10:11]
; %bb.15:                               ;   in Loop: Header=BB149_8 Depth=1
	v_mov_b32_e32 v10, v5
	v_mov_b32_e32 v11, v6
	v_pk_mov_b32 v[2:3], v[10:11], v[10:11] op_sel:[0,1]
	v_pk_mov_b32 v[4:5], v[12:13], v[12:13] op_sel:[0,1]
                                        ; implicit-def: $vgpr12_vgpr13
; %bb.16:                               ;   in Loop: Header=BB149_8 Depth=1
	s_andn2_saveexec_b64 s[10:11], s[10:11]
; %bb.17:                               ;   in Loop: Header=BB149_8 Depth=1
	v_mov_b32_e32 v2, v4
	v_mov_b32_e32 v3, v5
	;; [unrolled: 1-line block ×4, first 2 shown]
; %bb.18:                               ;   in Loop: Header=BB149_8 Depth=1
	s_or_b64 exec, exec, s[10:11]
	s_andn2_saveexec_b64 s[6:7], s[6:7]
	s_cbranch_execz .LBB149_10
.LBB149_19:                             ;   in Loop: Header=BB149_8 Depth=1
	v_cmp_eq_u32_e32 vcc, 1, v18
	s_and_saveexec_b64 s[10:11], vcc
; %bb.20:                               ;   in Loop: Header=BB149_8 Depth=1
	v_mov_b32_e32 v2, v3
	v_mov_b32_e32 v3, v4
	v_mov_b32_e32 v4, v5
	v_mov_b32_e32 v5, v6
; %bb.21:                               ;   in Loop: Header=BB149_8 Depth=1
	s_or_b64 exec, exec, s[10:11]
	s_or_b64 exec, exec, s[6:7]
	v_cmp_gt_i64_e32 vcc, s[0:1], v[16:17]
	s_and_saveexec_b64 s[6:7], vcc
	s_cbranch_execnz .LBB149_11
	s_branch .LBB149_12
.LBB149_22:
	s_endpgm
.LBB149_23:
                                        ; implicit-def: $sgpr8_sgpr9
	s_andn2_b64 vcc, exec, s[2:3]
	s_cbranch_vccz .LBB149_4
	s_branch .LBB149_5
	.section	.rodata,"a",@progbits
	.p2align	6, 0x0
	.amdhsa_kernel _ZN2at6native12_GLOBAL__N_143distribution_elementwise_grid_stride_kernelIfLi4EZNS0_9templates4cuda21uniform_and_transformIN3c104HalfEfPNS_17CUDAGeneratorImplEZZZNS4_16bernoulli_kernelIS9_EEvRNS_18TensorIteratorBaseEdT_ENKUlvE_clEvENKUlvE6_clEvEUlfE_EEvSC_T1_T2_EUlP25hiprandStatePhilox4_32_10E_ZNS1_27distribution_nullary_kernelIS7_f15HIP_vector_typeIdLj2EES9_SL_SG_EEvSC_SI_RKT3_T4_EUlifE_EEvlNS_15PhiloxCudaStateESH_SI_
		.amdhsa_group_segment_fixed_size 0
		.amdhsa_private_segment_fixed_size 0
		.amdhsa_kernarg_size 328
		.amdhsa_user_sgpr_count 6
		.amdhsa_user_sgpr_private_segment_buffer 1
		.amdhsa_user_sgpr_dispatch_ptr 0
		.amdhsa_user_sgpr_queue_ptr 0
		.amdhsa_user_sgpr_kernarg_segment_ptr 1
		.amdhsa_user_sgpr_dispatch_id 0
		.amdhsa_user_sgpr_flat_scratch_init 0
		.amdhsa_user_sgpr_kernarg_preload_length 0
		.amdhsa_user_sgpr_kernarg_preload_offset 0
		.amdhsa_user_sgpr_private_segment_size 0
		.amdhsa_uses_dynamic_stack 0
		.amdhsa_system_sgpr_private_segment_wavefront_offset 0
		.amdhsa_system_sgpr_workgroup_id_x 1
		.amdhsa_system_sgpr_workgroup_id_y 0
		.amdhsa_system_sgpr_workgroup_id_z 0
		.amdhsa_system_sgpr_workgroup_info 0
		.amdhsa_system_vgpr_workitem_id 0
		.amdhsa_next_free_vgpr 48
		.amdhsa_next_free_sgpr 24
		.amdhsa_accum_offset 48
		.amdhsa_reserve_vcc 1
		.amdhsa_reserve_flat_scratch 0
		.amdhsa_float_round_mode_32 0
		.amdhsa_float_round_mode_16_64 0
		.amdhsa_float_denorm_mode_32 3
		.amdhsa_float_denorm_mode_16_64 3
		.amdhsa_dx10_clamp 1
		.amdhsa_ieee_mode 1
		.amdhsa_fp16_overflow 0
		.amdhsa_tg_split 0
		.amdhsa_exception_fp_ieee_invalid_op 0
		.amdhsa_exception_fp_denorm_src 0
		.amdhsa_exception_fp_ieee_div_zero 0
		.amdhsa_exception_fp_ieee_overflow 0
		.amdhsa_exception_fp_ieee_underflow 0
		.amdhsa_exception_fp_ieee_inexact 0
		.amdhsa_exception_int_div_zero 0
	.end_amdhsa_kernel
	.section	.text._ZN2at6native12_GLOBAL__N_143distribution_elementwise_grid_stride_kernelIfLi4EZNS0_9templates4cuda21uniform_and_transformIN3c104HalfEfPNS_17CUDAGeneratorImplEZZZNS4_16bernoulli_kernelIS9_EEvRNS_18TensorIteratorBaseEdT_ENKUlvE_clEvENKUlvE6_clEvEUlfE_EEvSC_T1_T2_EUlP25hiprandStatePhilox4_32_10E_ZNS1_27distribution_nullary_kernelIS7_f15HIP_vector_typeIdLj2EES9_SL_SG_EEvSC_SI_RKT3_T4_EUlifE_EEvlNS_15PhiloxCudaStateESH_SI_,"axG",@progbits,_ZN2at6native12_GLOBAL__N_143distribution_elementwise_grid_stride_kernelIfLi4EZNS0_9templates4cuda21uniform_and_transformIN3c104HalfEfPNS_17CUDAGeneratorImplEZZZNS4_16bernoulli_kernelIS9_EEvRNS_18TensorIteratorBaseEdT_ENKUlvE_clEvENKUlvE6_clEvEUlfE_EEvSC_T1_T2_EUlP25hiprandStatePhilox4_32_10E_ZNS1_27distribution_nullary_kernelIS7_f15HIP_vector_typeIdLj2EES9_SL_SG_EEvSC_SI_RKT3_T4_EUlifE_EEvlNS_15PhiloxCudaStateESH_SI_,comdat
.Lfunc_end149:
	.size	_ZN2at6native12_GLOBAL__N_143distribution_elementwise_grid_stride_kernelIfLi4EZNS0_9templates4cuda21uniform_and_transformIN3c104HalfEfPNS_17CUDAGeneratorImplEZZZNS4_16bernoulli_kernelIS9_EEvRNS_18TensorIteratorBaseEdT_ENKUlvE_clEvENKUlvE6_clEvEUlfE_EEvSC_T1_T2_EUlP25hiprandStatePhilox4_32_10E_ZNS1_27distribution_nullary_kernelIS7_f15HIP_vector_typeIdLj2EES9_SL_SG_EEvSC_SI_RKT3_T4_EUlifE_EEvlNS_15PhiloxCudaStateESH_SI_, .Lfunc_end149-_ZN2at6native12_GLOBAL__N_143distribution_elementwise_grid_stride_kernelIfLi4EZNS0_9templates4cuda21uniform_and_transformIN3c104HalfEfPNS_17CUDAGeneratorImplEZZZNS4_16bernoulli_kernelIS9_EEvRNS_18TensorIteratorBaseEdT_ENKUlvE_clEvENKUlvE6_clEvEUlfE_EEvSC_T1_T2_EUlP25hiprandStatePhilox4_32_10E_ZNS1_27distribution_nullary_kernelIS7_f15HIP_vector_typeIdLj2EES9_SL_SG_EEvSC_SI_RKT3_T4_EUlifE_EEvlNS_15PhiloxCudaStateESH_SI_
                                        ; -- End function
	.section	.AMDGPU.csdata,"",@progbits
; Kernel info:
; codeLenInByte = 2300
; NumSgprs: 28
; NumVgprs: 48
; NumAgprs: 0
; TotalNumVgprs: 48
; ScratchSize: 0
; MemoryBound: 0
; FloatMode: 240
; IeeeMode: 1
; LDSByteSize: 0 bytes/workgroup (compile time only)
; SGPRBlocks: 3
; VGPRBlocks: 5
; NumSGPRsForWavesPerEU: 28
; NumVGPRsForWavesPerEU: 48
; AccumOffset: 48
; Occupancy: 8
; WaveLimiterHint : 0
; COMPUTE_PGM_RSRC2:SCRATCH_EN: 0
; COMPUTE_PGM_RSRC2:USER_SGPR: 6
; COMPUTE_PGM_RSRC2:TRAP_HANDLER: 0
; COMPUTE_PGM_RSRC2:TGID_X_EN: 1
; COMPUTE_PGM_RSRC2:TGID_Y_EN: 0
; COMPUTE_PGM_RSRC2:TGID_Z_EN: 0
; COMPUTE_PGM_RSRC2:TIDIG_COMP_CNT: 0
; COMPUTE_PGM_RSRC3_GFX90A:ACCUM_OFFSET: 11
; COMPUTE_PGM_RSRC3_GFX90A:TG_SPLIT: 0
	.section	.text._ZN2at6native12_GLOBAL__N_143distribution_elementwise_grid_stride_kernelIfLi4EZNS0_9templates4cuda21uniform_and_transformIN3c104HalfEfPNS_17CUDAGeneratorImplEZZZNS4_16bernoulli_kernelIS9_EEvRNS_18TensorIteratorBaseEdT_ENKUlvE_clEvENKUlvE6_clEvEUlfE_EEvSC_T1_T2_EUlP25hiprandStatePhilox4_32_10E_ZNS1_27distribution_nullary_kernelIS7_f15HIP_vector_typeIdLj2EES9_SL_SG_EEvSC_SI_RKT3_T4_EUlifE0_EEvlNS_15PhiloxCudaStateESH_SI_,"axG",@progbits,_ZN2at6native12_GLOBAL__N_143distribution_elementwise_grid_stride_kernelIfLi4EZNS0_9templates4cuda21uniform_and_transformIN3c104HalfEfPNS_17CUDAGeneratorImplEZZZNS4_16bernoulli_kernelIS9_EEvRNS_18TensorIteratorBaseEdT_ENKUlvE_clEvENKUlvE6_clEvEUlfE_EEvSC_T1_T2_EUlP25hiprandStatePhilox4_32_10E_ZNS1_27distribution_nullary_kernelIS7_f15HIP_vector_typeIdLj2EES9_SL_SG_EEvSC_SI_RKT3_T4_EUlifE0_EEvlNS_15PhiloxCudaStateESH_SI_,comdat
	.globl	_ZN2at6native12_GLOBAL__N_143distribution_elementwise_grid_stride_kernelIfLi4EZNS0_9templates4cuda21uniform_and_transformIN3c104HalfEfPNS_17CUDAGeneratorImplEZZZNS4_16bernoulli_kernelIS9_EEvRNS_18TensorIteratorBaseEdT_ENKUlvE_clEvENKUlvE6_clEvEUlfE_EEvSC_T1_T2_EUlP25hiprandStatePhilox4_32_10E_ZNS1_27distribution_nullary_kernelIS7_f15HIP_vector_typeIdLj2EES9_SL_SG_EEvSC_SI_RKT3_T4_EUlifE0_EEvlNS_15PhiloxCudaStateESH_SI_ ; -- Begin function _ZN2at6native12_GLOBAL__N_143distribution_elementwise_grid_stride_kernelIfLi4EZNS0_9templates4cuda21uniform_and_transformIN3c104HalfEfPNS_17CUDAGeneratorImplEZZZNS4_16bernoulli_kernelIS9_EEvRNS_18TensorIteratorBaseEdT_ENKUlvE_clEvENKUlvE6_clEvEUlfE_EEvSC_T1_T2_EUlP25hiprandStatePhilox4_32_10E_ZNS1_27distribution_nullary_kernelIS7_f15HIP_vector_typeIdLj2EES9_SL_SG_EEvSC_SI_RKT3_T4_EUlifE0_EEvlNS_15PhiloxCudaStateESH_SI_
	.p2align	8
	.type	_ZN2at6native12_GLOBAL__N_143distribution_elementwise_grid_stride_kernelIfLi4EZNS0_9templates4cuda21uniform_and_transformIN3c104HalfEfPNS_17CUDAGeneratorImplEZZZNS4_16bernoulli_kernelIS9_EEvRNS_18TensorIteratorBaseEdT_ENKUlvE_clEvENKUlvE6_clEvEUlfE_EEvSC_T1_T2_EUlP25hiprandStatePhilox4_32_10E_ZNS1_27distribution_nullary_kernelIS7_f15HIP_vector_typeIdLj2EES9_SL_SG_EEvSC_SI_RKT3_T4_EUlifE0_EEvlNS_15PhiloxCudaStateESH_SI_,@function
_ZN2at6native12_GLOBAL__N_143distribution_elementwise_grid_stride_kernelIfLi4EZNS0_9templates4cuda21uniform_and_transformIN3c104HalfEfPNS_17CUDAGeneratorImplEZZZNS4_16bernoulli_kernelIS9_EEvRNS_18TensorIteratorBaseEdT_ENKUlvE_clEvENKUlvE6_clEvEUlfE_EEvSC_T1_T2_EUlP25hiprandStatePhilox4_32_10E_ZNS1_27distribution_nullary_kernelIS7_f15HIP_vector_typeIdLj2EES9_SL_SG_EEvSC_SI_RKT3_T4_EUlifE0_EEvlNS_15PhiloxCudaStateESH_SI_: ; @_ZN2at6native12_GLOBAL__N_143distribution_elementwise_grid_stride_kernelIfLi4EZNS0_9templates4cuda21uniform_and_transformIN3c104HalfEfPNS_17CUDAGeneratorImplEZZZNS4_16bernoulli_kernelIS9_EEvRNS_18TensorIteratorBaseEdT_ENKUlvE_clEvENKUlvE6_clEvEUlfE_EEvSC_T1_T2_EUlP25hiprandStatePhilox4_32_10E_ZNS1_27distribution_nullary_kernelIS7_f15HIP_vector_typeIdLj2EES9_SL_SG_EEvSC_SI_RKT3_T4_EUlifE0_EEvlNS_15PhiloxCudaStateESH_SI_
; %bb.0:
	s_load_dword s2, s[4:5], 0x20
	s_load_dwordx2 s[0:1], s[4:5], 0x10
	s_load_dwordx4 s[24:27], s[4:5], 0x0
	s_waitcnt lgkmcnt(0)
	s_bitcmp0_b32 s2, 0
	s_mov_b32 s2, 0
	v_pk_mov_b32 v[2:3], s[0:1], s[0:1] op_sel:[0,1]
	v_pk_mov_b32 v[12:13], s[26:27], s[26:27] op_sel:[0,1]
	s_cbranch_scc1 .LBB150_2
; %bb.1:
	v_pk_mov_b32 v[2:3], s[0:1], s[0:1] op_sel:[0,1]
	flat_load_dwordx2 v[2:3], v[2:3]
	v_pk_mov_b32 v[4:5], s[26:27], s[26:27] op_sel:[0,1]
	flat_load_dwordx2 v[12:13], v[4:5]
	s_load_dwordx2 s[0:1], s[4:5], 0x18
	s_waitcnt lgkmcnt(0)
	v_mov_b32_e32 v1, s1
	s_waitcnt vmcnt(0)
	v_add_co_u32_e32 v2, vcc, s0, v2
	v_addc_co_u32_e32 v3, vcc, v3, v1, vcc
.LBB150_2:
	s_load_dword s0, s[4:5], 0x154
	s_load_dword s7, s[4:5], 0x148
	s_waitcnt lgkmcnt(0)
	s_and_b32 s8, s0, 0xffff
	s_add_u32 s9, s24, -1
	s_mul_i32 s33, s7, s8
	s_addc_u32 s3, s25, -1
	s_lshl_b32 s58, s33, 2
	s_cmp_lg_u64 s[2:3], 0
	s_mov_b64 s[0:1], -1
	s_cbranch_scc0 .LBB150_51
; %bb.3:
	v_cvt_f32_u32_e32 v1, s58
	v_cvt_f32_ubyte0_e32 v4, 0
	s_sub_u32 s2, 0, s58
	s_subb_u32 s10, 0, 0
	v_madmk_f32 v1, v4, 0x4f800000, v1
	v_rcp_f32_e32 v1, v1
	v_mul_f32_e32 v1, 0x5f7ffffc, v1
	v_mul_f32_e32 v4, 0x2f800000, v1
	v_trunc_f32_e32 v4, v4
	v_madmk_f32 v1, v4, 0xcf800000, v1
	v_cvt_u32_f32_e32 v4, v4
	v_cvt_u32_f32_e32 v1, v1
	v_readfirstlane_b32 s11, v4
	v_readfirstlane_b32 s12, v1
	s_mul_i32 s13, s2, s11
	s_mul_hi_u32 s15, s2, s12
	s_mul_i32 s14, s10, s12
	s_add_i32 s13, s15, s13
	s_add_i32 s13, s13, s14
	s_mul_i32 s16, s2, s12
	s_mul_hi_u32 s14, s12, s13
	s_mul_i32 s15, s12, s13
	s_mul_hi_u32 s12, s12, s16
	s_add_u32 s12, s12, s15
	s_addc_u32 s14, 0, s14
	s_mul_hi_u32 s17, s11, s16
	s_mul_i32 s16, s11, s16
	s_add_u32 s12, s12, s16
	s_mul_hi_u32 s15, s11, s13
	s_addc_u32 s12, s14, s17
	s_addc_u32 s14, s15, 0
	s_mul_i32 s13, s11, s13
	s_add_u32 s12, s12, s13
	s_addc_u32 s13, 0, s14
	v_add_co_u32_e32 v1, vcc, s12, v1
	s_cmp_lg_u64 vcc, 0
	s_addc_u32 s11, s11, s13
	v_readfirstlane_b32 s13, v1
	s_mul_i32 s12, s2, s11
	s_mul_hi_u32 s14, s2, s13
	s_add_i32 s12, s14, s12
	s_mul_i32 s10, s10, s13
	s_add_i32 s12, s12, s10
	s_mul_i32 s2, s2, s13
	s_mul_hi_u32 s14, s11, s2
	s_mul_i32 s15, s11, s2
	s_mul_i32 s17, s13, s12
	s_mul_hi_u32 s2, s13, s2
	s_mul_hi_u32 s16, s13, s12
	s_add_u32 s2, s2, s17
	s_addc_u32 s13, 0, s16
	s_add_u32 s2, s2, s15
	s_mul_hi_u32 s10, s11, s12
	s_addc_u32 s2, s13, s14
	s_addc_u32 s10, s10, 0
	s_mul_i32 s12, s11, s12
	s_add_u32 s2, s2, s12
	s_addc_u32 s10, 0, s10
	v_add_co_u32_e32 v1, vcc, s2, v1
	s_cmp_lg_u64 vcc, 0
	s_addc_u32 s12, s11, s10
	s_ashr_i32 s10, s3, 31
	s_add_u32 s2, s9, s10
	s_mov_b32 s11, s10
	s_addc_u32 s3, s3, s10
	s_xor_b64 s[2:3], s[2:3], s[10:11]
	v_readfirstlane_b32 s15, v1
	s_mul_i32 s14, s2, s12
	s_mul_hi_u32 s16, s2, s15
	s_mul_hi_u32 s13, s2, s12
	s_add_u32 s14, s16, s14
	s_addc_u32 s13, 0, s13
	s_mul_hi_u32 s17, s3, s15
	s_mul_i32 s15, s3, s15
	s_add_u32 s14, s14, s15
	s_mul_hi_u32 s16, s3, s12
	s_addc_u32 s13, s13, s17
	s_addc_u32 s14, s16, 0
	s_mul_i32 s12, s3, s12
	s_add_u32 s12, s13, s12
	s_addc_u32 s13, 0, s14
	s_add_u32 s14, s12, 1
	s_addc_u32 s15, s13, 0
	s_add_u32 s16, s12, 2
	s_mul_i32 s18, s58, s13
	s_mul_hi_u32 s19, s58, s12
	s_addc_u32 s17, s13, 0
	s_add_i32 s19, s19, s18
	s_mul_i32 s18, s58, s12
	v_mov_b32_e32 v1, s18
	v_sub_co_u32_e32 v1, vcc, s2, v1
	s_cmp_lg_u64 vcc, 0
	s_subb_u32 s2, s3, s19
	v_subrev_co_u32_e32 v4, vcc, s58, v1
	s_cmp_lg_u64 vcc, 0
	s_subb_u32 s3, s2, 0
	v_readfirstlane_b32 s18, v4
	s_cmp_ge_u32 s18, s58
	s_cselect_b32 s18, -1, 0
	s_cmp_eq_u32 s3, 0
	s_cselect_b32 s3, s18, -1
	s_cmp_lg_u32 s3, 0
	s_cselect_b32 s3, s17, s15
	v_readfirstlane_b32 s15, v1
	s_cselect_b32 s14, s16, s14
	s_cmp_ge_u32 s15, s58
	s_cselect_b32 s15, -1, 0
	s_cmp_eq_u32 s2, 0
	s_cselect_b32 s2, s15, -1
	s_cmp_lg_u32 s2, 0
	s_cselect_b32 s3, s3, s13
	s_cselect_b32 s2, s14, s12
	s_xor_b64 s[2:3], s[2:3], s[10:11]
	s_sub_u32 s2, s2, s10
	s_subb_u32 s3, s3, s10
	s_cbranch_execnz .LBB150_5
.LBB150_4:
	v_cvt_f32_u32_e32 v1, s58
	s_sub_i32 s0, 0, s58
	s_mov_b32 s3, 0
	v_rcp_iflag_f32_e32 v1, v1
	v_mul_f32_e32 v1, 0x4f7ffffe, v1
	v_cvt_u32_f32_e32 v1, v1
	v_readfirstlane_b32 s1, v1
	s_mul_i32 s0, s0, s1
	s_mul_hi_u32 s0, s1, s0
	s_add_i32 s1, s1, s0
	s_mul_hi_u32 s0, s9, s1
	s_mul_i32 s2, s0, s58
	s_sub_i32 s2, s9, s2
	s_add_i32 s1, s0, 1
	s_sub_i32 s9, s2, s58
	s_cmp_ge_u32 s2, s58
	s_cselect_b32 s0, s1, s0
	s_cselect_b32 s2, s9, s2
	s_add_i32 s1, s0, 1
	s_cmp_ge_u32 s2, s58
	s_cselect_b32 s2, s1, s0
.LBB150_5:
	v_mov_b32_e32 v1, 0
	v_mov_b32_e32 v4, s6
	v_mad_u64_u32 v[14:15], s[0:1], s8, v4, v[0:1]
	s_add_u32 s0, s2, 1
	s_addc_u32 s1, s3, 0
	s_mul_hi_u32 s2, s7, s8
	s_mul_i32 s1, s33, s1
	s_mul_hi_u32 s3, s33, s0
	s_add_i32 s1, s3, s1
	s_mul_i32 s2, s2, s0
	s_add_i32 s1, s1, s2
	s_mul_i32 s0, s33, s0
	s_lshl_b64 s[26:27], s[0:1], 2
	v_cmp_gt_i64_e32 vcc, s[26:27], v[14:15]
	s_and_saveexec_b64 s[0:1], vcc
	s_cbranch_execz .LBB150_50
; %bb.6:
	s_mov_b32 s0, 0x5384540f
	v_mov_b32_e32 v0, v13
	v_add_co_u32_e32 v22, vcc, s0, v12
	s_mov_b32 s0, 0x646e171e
	v_add_co_u32_e32 v23, vcc, s0, v0
	s_mov_b32 s0, 0x1715609d
	;; [unrolled: 2-line block ×6, first 2 shown]
	v_alignbit_b32 v29, v3, v2, 2
	s_mov_b32 s60, 0xd2511f53
	v_add_co_u32_e32 v28, vcc, s0, v12
	v_mad_u64_u32 v[4:5], s[0:1], v29, s60, 0
	v_xor_b32_e32 v1, v5, v13
	v_xor_b32_e32 v1, v1, v15
	s_mov_b32 s61, 0xcd9e8d57
	v_mad_u64_u32 v[6:7], s[0:1], v1, s61, 0
	v_xor_b32_e32 v1, v28, v7
	v_mad_u64_u32 v[8:9], s[0:1], v14, s61, 0
	v_and_b32_e32 v18, 3, v2
	v_xor_b32_e32 v1, v1, v8
	v_xor_b32_e32 v2, v12, v9
	v_lshrrev_b32_e32 v30, 2, v3
	v_mad_u64_u32 v[10:11], s[0:1], v1, s60, 0
	v_xor_b32_e32 v2, v2, v30
	v_xor_b32_e32 v1, v27, v11
	v_mad_u64_u32 v[2:3], s[0:1], v2, s60, 0
	v_xor_b32_e32 v1, v1, v2
	v_mad_u64_u32 v[8:9], s[0:1], v1, s61, 0
	s_mov_b32 s0, 0xbb67ae85
	v_add_co_u32_e32 v31, vcc, s0, v0
	v_xor_b32_e32 v2, v31, v3
	v_xor_b32_e32 v2, v2, v4
	v_xor_b32_e32 v1, v26, v9
	v_mad_u64_u32 v[2:3], s[0:1], v2, s61, 0
	v_xor_b32_e32 v1, v1, v2
	v_mad_u64_u32 v[4:5], s[0:1], v1, s60, 0
	s_mov_b32 s0, 0x3c6ef372
	v_add_co_u32_e32 v32, vcc, s0, v12
	v_xor_b32_e32 v2, v32, v3
	;; [unrolled: 8-line block ×6, first 2 shown]
	v_add_co_u32_e32 v21, vcc, 0xdb3d7428, v0
	v_xor_b32_e32 v2, v2, v6
	v_xor_b32_e32 v1, v21, v5
	v_mad_u64_u32 v[2:3], s[0:1], v2, s60, 0
	v_xor_b32_e32 v1, v1, v2
	v_mad_u64_u32 v[6:7], s[0:1], v1, s61, 0
	s_mov_b32 s0, 0x1fd5c5a3
	v_add_co_u32_e32 v37, vcc, s0, v0
	v_xor_b32_e32 v0, v37, v3
	v_xor_b32_e32 v0, v0, v10
	v_mad_u64_u32 v[0:1], s[0:1], v0, s61, 0
	s_mov_b32 s0, 0xf1bbcdc8
	s_load_dwordx8 s[8:15], s[4:5], 0x30
	v_add_co_u32_e32 v38, vcc, s0, v12
	v_xor_b32_e32 v1, v38, v1
	v_xor_b32_e32 v1, v1, v8
	s_add_u32 s34, s4, 48
	v_mad_u64_u32 v[8:9], s[0:1], v1, s60, 0
	s_addc_u32 s35, s5, 0
	s_waitcnt lgkmcnt(0)
	s_add_i32 s0, s8, -1
	s_cmp_gt_u32 s0, 1
	s_cselect_b64 s[40:41], -1, 0
	s_cmp_lg_u32 s8, 0
	s_cselect_b64 s[42:43], -1, 0
	s_add_u32 s44, s4, 0xf4
	s_addc_u32 s45, s5, 0
	s_load_dwordx2 s[46:47], s[4:5], 0xf4
	s_load_dwordx4 s[28:31], s[4:5], 0x138
	s_min_u32 s1, s0, 15
	s_cmp_gt_u32 s8, 1
	s_cselect_b64 s[48:49], -1, 0
	s_add_i32 s1, s1, 1
	s_mov_b32 s8, s13
	s_and_b32 s13, s1, 3
	s_cmp_lg_u32 s0, 2
	s_waitcnt lgkmcnt(0)
	v_cvt_f32_f64_e32 v39, s[30:31]
	s_cselect_b64 s[30:31], -1, 0
	s_and_b32 s15, s1, 28
	v_add_u32_e32 v19, 0x8ff34781, v12
	v_add_u32_e32 v20, 0x96a522ad, v13
	v_xor_b32_e32 v0, v7, v0
	v_xor_b32_e32 v1, v9, v4
	s_cmp_lg_u32 s13, 0
	s_mov_b32 s59, 0
	v_xor_b32_e32 v0, v19, v0
	v_xor_b32_e32 v2, v20, v1
	v_mov_b32_e32 v1, v6
	v_mov_b32_e32 v3, v8
	s_mov_b64 s[50:51], 0
	s_cselect_b64 s[52:53], -1, 0
	v_mov_b32_e32 v40, 0x3c00
	v_mov_b32_e32 v41, v14
	;; [unrolled: 1-line block ×3, first 2 shown]
	s_branch .LBB150_9
.LBB150_7:                              ;   in Loop: Header=BB150_9 Depth=1
	v_lshrrev_b32_e32 v0, 11, v3
	v_cvt_f64_u32_e32 v[0:1], v0
	v_ldexp_f64 v[0:1], v[0:1], 32
	v_cvt_f64_u32_e32 v[2:3], v2
	v_add_f64 v[0:1], v[0:1], v[2:3]
	v_mov_b32_e32 v2, 0
	v_mov_b32_e32 v3, 0x3ca00000
	v_fmac_f64_e32 v[2:3], 0x3ca00000, v[0:1]
	v_cvt_f32_f64_e32 v0, v[2:3]
	v_cmp_gt_f32_e32 vcc, v39, v0
	v_cndmask_b32_e32 v0, 0, v40, vcc
	global_store_short v8, v0, s[28:29]
.LBB150_8:                              ;   in Loop: Header=BB150_9 Depth=1
	s_or_b64 exec, exec, s[36:37]
	v_add_co_u32_e32 v14, vcc, s58, v14
	v_addc_co_u32_e32 v15, vcc, 0, v15, vcc
	v_mov_b32_e32 v7, v16
	v_cmp_le_i64_e32 vcc, s[26:27], v[14:15]
	v_pk_mov_b32 v[0:1], v[4:5], v[4:5] op_sel:[0,1]
	s_or_b64 s[50:51], vcc, s[50:51]
	v_pk_mov_b32 v[2:3], v[6:7], v[6:7] op_sel:[0,1]
	s_barrier
	s_andn2_b64 exec, exec, s[50:51]
	s_cbranch_execz .LBB150_50
.LBB150_9:                              ; =>This Loop Header: Depth=1
                                        ;     Child Loop BB150_24 Depth 2
                                        ;     Child Loop BB150_30 Depth 2
                                        ;     Child Loop BB150_40 Depth 2
                                        ;     Child Loop BB150_46 Depth 2
	v_add_co_u32_e32 v29, vcc, 1, v29
	v_cndmask_b32_e64 v4, 0, 1, vcc
	v_addc_co_u32_e32 v30, vcc, 0, v30, vcc
	v_cmp_eq_u32_e32 vcc, 0, v30
	v_cndmask_b32_e32 v4, 0, v4, vcc
	v_add_u32_e32 v41, v4, v41
	v_cmp_eq_u32_e32 vcc, 0, v41
	v_cndmask_b32_e32 v4, 0, v4, vcc
	v_add_u32_e32 v42, v4, v42
	v_mad_u64_u32 v[4:5], s[0:1], v29, s60, 0
	v_mad_u64_u32 v[6:7], s[0:1], v41, s61, 0
	v_xor_b32_e32 v5, v5, v13
	v_xor_b32_e32 v7, v7, v12
	v_xor_b32_e32 v5, v42, v5
	v_xor_b32_e32 v7, v30, v7
	v_mad_u64_u32 v[10:11], s[0:1], v5, s61, 0
	v_mad_u64_u32 v[8:9], s[0:1], v7, s60, 0
	v_xor_b32_e32 v5, v28, v11
	v_xor_b32_e32 v5, v5, v6
	v_xor_b32_e32 v6, v31, v9
	v_xor_b32_e32 v6, v6, v4
	;; [unrolled: 6-line block ×10, first 2 shown]
	v_mov_b32_e32 v5, v10
	v_mov_b32_e32 v6, v11
	v_cmp_lt_i32_e32 vcc, 1, v18
	s_and_saveexec_b64 s[0:1], vcc
	s_xor_b64 s[0:1], exec, s[0:1]
	s_cbranch_execz .LBB150_15
; %bb.10:                               ;   in Loop: Header=BB150_9 Depth=1
	v_cmp_lt_i32_e32 vcc, 2, v18
	s_and_saveexec_b64 s[2:3], vcc
	s_xor_b64 s[2:3], exec, s[2:3]
; %bb.11:                               ;   in Loop: Header=BB150_9 Depth=1
	v_mov_b32_e32 v8, v3
	v_mov_b32_e32 v9, v4
	v_pk_mov_b32 v[0:1], v[8:9], v[8:9] op_sel:[0,1]
	v_pk_mov_b32 v[2:3], v[10:11], v[10:11] op_sel:[0,1]
                                        ; implicit-def: $vgpr10_vgpr11
; %bb.12:                               ;   in Loop: Header=BB150_9 Depth=1
	s_andn2_saveexec_b64 s[2:3], s[2:3]
; %bb.13:                               ;   in Loop: Header=BB150_9 Depth=1
	v_mov_b32_e32 v0, v2
	v_mov_b32_e32 v1, v3
	;; [unrolled: 1-line block ×4, first 2 shown]
; %bb.14:                               ;   in Loop: Header=BB150_9 Depth=1
	s_or_b64 exec, exec, s[2:3]
.LBB150_15:                             ;   in Loop: Header=BB150_9 Depth=1
	s_andn2_saveexec_b64 s[0:1], s[0:1]
	s_cbranch_execz .LBB150_19
; %bb.16:                               ;   in Loop: Header=BB150_9 Depth=1
	v_cmp_eq_u32_e32 vcc, 1, v18
	s_and_saveexec_b64 s[2:3], vcc
; %bb.17:                               ;   in Loop: Header=BB150_9 Depth=1
	v_mov_b32_e32 v0, v1
	v_mov_b32_e32 v1, v2
	;; [unrolled: 1-line block ×4, first 2 shown]
; %bb.18:                               ;   in Loop: Header=BB150_9 Depth=1
	s_or_b64 exec, exec, s[2:3]
.LBB150_19:                             ;   in Loop: Header=BB150_9 Depth=1
	s_or_b64 exec, exec, s[0:1]
	v_cndmask_b32_e64 v7, 0, 1, s[40:41]
	v_cmp_gt_i64_e32 vcc, s[24:25], v[14:15]
	v_cmp_ne_u32_e64 s[0:1], 1, v7
	s_and_saveexec_b64 s[2:3], vcc
	s_cbranch_execz .LBB150_35
; %bb.20:                               ;   in Loop: Header=BB150_9 Depth=1
	s_and_b64 vcc, exec, s[0:1]
	s_cbranch_vccnz .LBB150_26
; %bb.21:                               ;   in Loop: Header=BB150_9 Depth=1
	s_andn2_b64 vcc, exec, s[42:43]
	s_cbranch_vccnz .LBB150_27
; %bb.22:                               ;   in Loop: Header=BB150_9 Depth=1
	s_mov_b32 s6, 0
	s_andn2_b64 vcc, exec, s[30:31]
	v_mov_b32_e32 v8, 0
	s_cbranch_vccnz .LBB150_28
; %bb.23:                               ;   in Loop: Header=BB150_9 Depth=1
	s_mov_b32 s62, 0
	v_mov_b32_e32 v8, 0
	s_mov_b64 s[54:55], s[34:35]
	s_mov_b64 s[56:57], s[44:45]
	v_mov_b32_e32 v7, v14
.LBB150_24:                             ;   Parent Loop BB150_9 Depth=1
                                        ; =>  This Inner Loop Header: Depth=2
	s_load_dwordx8 s[16:23], s[54:55], 0x4
	s_load_dwordx4 s[4:7], s[54:55], 0x24
	s_load_dwordx4 s[36:39], s[56:57], 0x0
	s_add_u32 s54, s54, 48
	s_addc_u32 s55, s55, 0
	s_waitcnt lgkmcnt(0)
	v_mul_hi_u32 v9, s17, v7
	v_add_u32_e32 v9, v7, v9
	v_lshrrev_b32_e32 v9, s18, v9
	v_mul_lo_u32 v10, v9, s16
	v_mul_hi_u32 v11, s20, v9
	v_sub_u32_e32 v7, v7, v10
	v_add_u32_e32 v10, v9, v11
	v_lshrrev_b32_e32 v10, s21, v10
	v_mul_lo_u32 v11, v10, s19
	v_mul_hi_u32 v17, s23, v10
	v_sub_u32_e32 v9, v9, v11
	v_add_u32_e32 v11, v10, v17
	v_mul_lo_u32 v7, v7, s36
	v_mul_lo_u32 v9, v9, s37
	v_lshrrev_b32_e32 v11, s4, v11
	v_add3_u32 v8, v7, v8, v9
	v_mul_lo_u32 v7, v11, s22
	v_mul_hi_u32 v9, s6, v11
	v_sub_u32_e32 v7, v10, v7
	v_add_u32_e32 v9, v11, v9
	v_mul_lo_u32 v10, v7, s38
	v_lshrrev_b32_e32 v7, s7, v9
	s_add_i32 s62, s62, 4
	v_mul_lo_u32 v9, v7, s5
	s_add_u32 s56, s56, 16
	v_sub_u32_e32 v9, v11, v9
	s_addc_u32 s57, s57, 0
	v_mul_lo_u32 v9, v9, s39
	s_cmp_lg_u32 s15, s62
	v_add3_u32 v8, v10, v8, v9
	s_cbranch_scc1 .LBB150_24
; %bb.25:                               ;   in Loop: Header=BB150_9 Depth=1
	s_mov_b32 s6, s15
	s_andn2_b64 vcc, exec, s[52:53]
	s_cbranch_vccz .LBB150_29
	s_branch .LBB150_31
.LBB150_26:                             ;   in Loop: Header=BB150_9 Depth=1
                                        ; implicit-def: $vgpr8
	s_branch .LBB150_32
.LBB150_27:                             ;   in Loop: Header=BB150_9 Depth=1
	v_mov_b32_e32 v8, 0
	s_branch .LBB150_31
.LBB150_28:                             ;   in Loop: Header=BB150_9 Depth=1
	v_mov_b32_e32 v7, v14
	s_andn2_b64 vcc, exec, s[52:53]
	s_cbranch_vccnz .LBB150_31
.LBB150_29:                             ;   in Loop: Header=BB150_9 Depth=1
	s_lshl_b32 s4, s6, 2
	s_add_u32 s4, s44, s4
	s_addc_u32 s5, s45, 0
	s_mul_i32 s6, s6, 12
	s_add_u32 s6, s34, s6
	s_addc_u32 s7, s35, 0
	s_mov_b32 s16, s13
.LBB150_30:                             ;   Parent Loop BB150_9 Depth=1
                                        ; =>  This Inner Loop Header: Depth=2
	s_load_dwordx2 s[18:19], s[6:7], 0x4
	s_load_dword s17, s[6:7], 0xc
	s_load_dword s20, s[4:5], 0x0
	s_add_u32 s6, s6, 12
	s_addc_u32 s7, s7, 0
	s_waitcnt lgkmcnt(0)
	v_mul_hi_u32 v9, s19, v7
	v_add_u32_e32 v9, v7, v9
	v_lshrrev_b32_e32 v9, s17, v9
	s_add_u32 s4, s4, 4
	v_mul_lo_u32 v10, v9, s18
	s_addc_u32 s5, s5, 0
	s_add_i32 s16, s16, -1
	v_sub_u32_e32 v10, v7, v10
	s_cmp_lg_u32 s16, 0
	v_mov_b32_e32 v7, v9
	v_mad_u64_u32 v[8:9], s[18:19], v10, s20, v[8:9]
	s_cbranch_scc1 .LBB150_30
.LBB150_31:                             ;   in Loop: Header=BB150_9 Depth=1
	s_cbranch_execnz .LBB150_34
.LBB150_32:                             ;   in Loop: Header=BB150_9 Depth=1
	v_mul_hi_u32 v7, v14, s10
	v_add_u32_e32 v7, v7, v14
	v_lshrrev_b32_e32 v7, s11, v7
	v_mul_lo_u32 v8, v7, s9
	v_sub_u32_e32 v8, v14, v8
	s_andn2_b64 vcc, exec, s[48:49]
	v_mul_lo_u32 v8, v8, s46
	s_cbranch_vccnz .LBB150_34
; %bb.33:                               ;   in Loop: Header=BB150_9 Depth=1
	v_mul_hi_u32 v9, s8, v7
	v_add_u32_e32 v9, v7, v9
	v_lshrrev_b32_e32 v9, s14, v9
	v_mul_lo_u32 v9, v9, s12
	v_sub_u32_e32 v7, v7, v9
	v_mad_u64_u32 v[8:9], s[4:5], v7, s47, v[8:9]
.LBB150_34:                             ;   in Loop: Header=BB150_9 Depth=1
	v_lshrrev_b32_e32 v1, 11, v1
	v_cvt_f64_u32_e32 v[10:11], v1
	v_ldexp_f64 v[10:11], v[10:11], 32
	v_cvt_f64_u32_e32 v[0:1], v0
	v_add_f64 v[0:1], v[10:11], v[0:1]
	v_mov_b32_e32 v10, 0
	v_mov_b32_e32 v11, 0x3ca00000
	v_fmac_f64_e32 v[10:11], 0x3ca00000, v[0:1]
	v_cvt_f32_f64_e32 v0, v[10:11]
	v_cmp_gt_f32_e32 vcc, v39, v0
	v_cndmask_b32_e32 v0, 0, v40, vcc
	global_store_short v8, v0, s[28:29]
.LBB150_35:                             ;   in Loop: Header=BB150_9 Depth=1
	s_or_b64 exec, exec, s[2:3]
	v_mov_b32_e32 v1, s59
	v_add_co_u32_e32 v0, vcc, s33, v14
	v_addc_co_u32_e32 v1, vcc, v15, v1, vcc
	v_cmp_gt_i64_e32 vcc, s[24:25], v[0:1]
	s_and_saveexec_b64 s[36:37], vcc
	s_cbranch_execz .LBB150_8
; %bb.36:                               ;   in Loop: Header=BB150_9 Depth=1
	s_and_b64 vcc, exec, s[0:1]
	s_cbranch_vccnz .LBB150_42
; %bb.37:                               ;   in Loop: Header=BB150_9 Depth=1
	s_andn2_b64 vcc, exec, s[42:43]
	s_cbranch_vccnz .LBB150_43
; %bb.38:                               ;   in Loop: Header=BB150_9 Depth=1
	s_mov_b32 s2, 0
	s_andn2_b64 vcc, exec, s[30:31]
	v_mov_b32_e32 v8, 0
	s_cbranch_vccnz .LBB150_44
; %bb.39:                               ;   in Loop: Header=BB150_9 Depth=1
	s_mov_b32 s56, 0
	v_mov_b32_e32 v8, 0
	s_mov_b64 s[38:39], s[34:35]
	s_mov_b64 s[54:55], s[44:45]
	v_mov_b32_e32 v1, v0
.LBB150_40:                             ;   Parent Loop BB150_9 Depth=1
                                        ; =>  This Inner Loop Header: Depth=2
	s_load_dwordx8 s[0:7], s[38:39], 0x4
	s_load_dwordx4 s[16:19], s[38:39], 0x24
	s_load_dwordx4 s[20:23], s[54:55], 0x0
	s_add_u32 s38, s38, 48
	s_addc_u32 s39, s39, 0
	s_waitcnt lgkmcnt(0)
	v_mul_hi_u32 v7, s1, v1
	v_add_u32_e32 v7, v1, v7
	v_lshrrev_b32_e32 v7, s2, v7
	v_mul_lo_u32 v9, v7, s0
	v_mul_hi_u32 v10, s4, v7
	v_sub_u32_e32 v1, v1, v9
	v_add_u32_e32 v9, v7, v10
	v_lshrrev_b32_e32 v9, s5, v9
	v_mul_lo_u32 v10, v9, s3
	v_mul_hi_u32 v11, s7, v9
	v_sub_u32_e32 v7, v7, v10
	v_add_u32_e32 v10, v9, v11
	v_mul_lo_u32 v1, v1, s20
	v_mul_lo_u32 v7, v7, s21
	v_lshrrev_b32_e32 v10, s16, v10
	v_add3_u32 v7, v1, v8, v7
	v_mul_lo_u32 v1, v10, s6
	v_mul_hi_u32 v8, s18, v10
	v_sub_u32_e32 v1, v9, v1
	v_add_u32_e32 v8, v10, v8
	v_mul_lo_u32 v9, v1, s22
	v_lshrrev_b32_e32 v1, s19, v8
	s_add_i32 s56, s56, 4
	v_mul_lo_u32 v8, v1, s17
	s_add_u32 s54, s54, 16
	v_sub_u32_e32 v8, v10, v8
	s_addc_u32 s55, s55, 0
	v_mul_lo_u32 v8, v8, s23
	s_cmp_eq_u32 s15, s56
	v_add3_u32 v8, v9, v7, v8
	s_cbranch_scc0 .LBB150_40
; %bb.41:                               ;   in Loop: Header=BB150_9 Depth=1
	s_mov_b32 s2, s15
	s_andn2_b64 vcc, exec, s[52:53]
	s_cbranch_vccz .LBB150_45
	s_branch .LBB150_47
.LBB150_42:                             ;   in Loop: Header=BB150_9 Depth=1
                                        ; implicit-def: $vgpr8
	s_branch .LBB150_48
.LBB150_43:                             ;   in Loop: Header=BB150_9 Depth=1
	v_mov_b32_e32 v8, 0
	s_branch .LBB150_47
.LBB150_44:                             ;   in Loop: Header=BB150_9 Depth=1
	v_mov_b32_e32 v1, v0
	s_andn2_b64 vcc, exec, s[52:53]
	s_cbranch_vccnz .LBB150_47
.LBB150_45:                             ;   in Loop: Header=BB150_9 Depth=1
	s_lshl_b32 s0, s2, 2
	s_add_u32 s0, s44, s0
	s_addc_u32 s1, s45, 0
	s_mul_i32 s2, s2, 12
	s_add_u32 s2, s34, s2
	s_addc_u32 s3, s35, 0
	s_mov_b32 s4, s13
.LBB150_46:                             ;   Parent Loop BB150_9 Depth=1
                                        ; =>  This Inner Loop Header: Depth=2
	s_load_dwordx2 s[6:7], s[2:3], 0x4
	s_load_dword s5, s[2:3], 0xc
	s_load_dword s16, s[0:1], 0x0
	s_add_u32 s2, s2, 12
	s_addc_u32 s3, s3, 0
	s_waitcnt lgkmcnt(0)
	v_mul_hi_u32 v7, s7, v1
	v_add_u32_e32 v7, v1, v7
	v_lshrrev_b32_e32 v7, s5, v7
	s_add_u32 s0, s0, 4
	v_mul_lo_u32 v9, v7, s6
	s_addc_u32 s1, s1, 0
	s_add_i32 s4, s4, -1
	v_sub_u32_e32 v9, v1, v9
	s_cmp_lg_u32 s4, 0
	v_mov_b32_e32 v1, v7
	v_mad_u64_u32 v[8:9], s[6:7], v9, s16, v[8:9]
	s_cbranch_scc1 .LBB150_46
.LBB150_47:                             ;   in Loop: Header=BB150_9 Depth=1
	s_cbranch_execnz .LBB150_7
.LBB150_48:                             ;   in Loop: Header=BB150_9 Depth=1
	v_mul_hi_u32 v1, v0, s10
	v_add_u32_e32 v1, v1, v0
	v_lshrrev_b32_e32 v1, s11, v1
	v_mul_lo_u32 v7, v1, s9
	v_sub_u32_e32 v0, v0, v7
	s_andn2_b64 vcc, exec, s[48:49]
	v_mul_lo_u32 v8, v0, s46
	s_cbranch_vccnz .LBB150_7
; %bb.49:                               ;   in Loop: Header=BB150_9 Depth=1
	v_mul_hi_u32 v0, s8, v1
	v_add_u32_e32 v0, v1, v0
	v_lshrrev_b32_e32 v0, s14, v0
	v_mul_lo_u32 v0, v0, s12
	v_sub_u32_e32 v0, v1, v0
	v_mad_u64_u32 v[8:9], s[0:1], v0, s47, v[8:9]
	s_branch .LBB150_7
.LBB150_50:
	s_endpgm
.LBB150_51:
                                        ; implicit-def: $sgpr2_sgpr3
	s_andn2_b64 vcc, exec, s[0:1]
	s_cbranch_vccz .LBB150_4
	s_branch .LBB150_5
	.section	.rodata,"a",@progbits
	.p2align	6, 0x0
	.amdhsa_kernel _ZN2at6native12_GLOBAL__N_143distribution_elementwise_grid_stride_kernelIfLi4EZNS0_9templates4cuda21uniform_and_transformIN3c104HalfEfPNS_17CUDAGeneratorImplEZZZNS4_16bernoulli_kernelIS9_EEvRNS_18TensorIteratorBaseEdT_ENKUlvE_clEvENKUlvE6_clEvEUlfE_EEvSC_T1_T2_EUlP25hiprandStatePhilox4_32_10E_ZNS1_27distribution_nullary_kernelIS7_f15HIP_vector_typeIdLj2EES9_SL_SG_EEvSC_SI_RKT3_T4_EUlifE0_EEvlNS_15PhiloxCudaStateESH_SI_
		.amdhsa_group_segment_fixed_size 0
		.amdhsa_private_segment_fixed_size 0
		.amdhsa_kernarg_size 584
		.amdhsa_user_sgpr_count 6
		.amdhsa_user_sgpr_private_segment_buffer 1
		.amdhsa_user_sgpr_dispatch_ptr 0
		.amdhsa_user_sgpr_queue_ptr 0
		.amdhsa_user_sgpr_kernarg_segment_ptr 1
		.amdhsa_user_sgpr_dispatch_id 0
		.amdhsa_user_sgpr_flat_scratch_init 0
		.amdhsa_user_sgpr_kernarg_preload_length 0
		.amdhsa_user_sgpr_kernarg_preload_offset 0
		.amdhsa_user_sgpr_private_segment_size 0
		.amdhsa_uses_dynamic_stack 0
		.amdhsa_system_sgpr_private_segment_wavefront_offset 0
		.amdhsa_system_sgpr_workgroup_id_x 1
		.amdhsa_system_sgpr_workgroup_id_y 0
		.amdhsa_system_sgpr_workgroup_id_z 0
		.amdhsa_system_sgpr_workgroup_info 0
		.amdhsa_system_vgpr_workitem_id 0
		.amdhsa_next_free_vgpr 43
		.amdhsa_next_free_sgpr 63
		.amdhsa_accum_offset 44
		.amdhsa_reserve_vcc 1
		.amdhsa_reserve_flat_scratch 0
		.amdhsa_float_round_mode_32 0
		.amdhsa_float_round_mode_16_64 0
		.amdhsa_float_denorm_mode_32 3
		.amdhsa_float_denorm_mode_16_64 3
		.amdhsa_dx10_clamp 1
		.amdhsa_ieee_mode 1
		.amdhsa_fp16_overflow 0
		.amdhsa_tg_split 0
		.amdhsa_exception_fp_ieee_invalid_op 0
		.amdhsa_exception_fp_denorm_src 0
		.amdhsa_exception_fp_ieee_div_zero 0
		.amdhsa_exception_fp_ieee_overflow 0
		.amdhsa_exception_fp_ieee_underflow 0
		.amdhsa_exception_fp_ieee_inexact 0
		.amdhsa_exception_int_div_zero 0
	.end_amdhsa_kernel
	.section	.text._ZN2at6native12_GLOBAL__N_143distribution_elementwise_grid_stride_kernelIfLi4EZNS0_9templates4cuda21uniform_and_transformIN3c104HalfEfPNS_17CUDAGeneratorImplEZZZNS4_16bernoulli_kernelIS9_EEvRNS_18TensorIteratorBaseEdT_ENKUlvE_clEvENKUlvE6_clEvEUlfE_EEvSC_T1_T2_EUlP25hiprandStatePhilox4_32_10E_ZNS1_27distribution_nullary_kernelIS7_f15HIP_vector_typeIdLj2EES9_SL_SG_EEvSC_SI_RKT3_T4_EUlifE0_EEvlNS_15PhiloxCudaStateESH_SI_,"axG",@progbits,_ZN2at6native12_GLOBAL__N_143distribution_elementwise_grid_stride_kernelIfLi4EZNS0_9templates4cuda21uniform_and_transformIN3c104HalfEfPNS_17CUDAGeneratorImplEZZZNS4_16bernoulli_kernelIS9_EEvRNS_18TensorIteratorBaseEdT_ENKUlvE_clEvENKUlvE6_clEvEUlfE_EEvSC_T1_T2_EUlP25hiprandStatePhilox4_32_10E_ZNS1_27distribution_nullary_kernelIS7_f15HIP_vector_typeIdLj2EES9_SL_SG_EEvSC_SI_RKT3_T4_EUlifE0_EEvlNS_15PhiloxCudaStateESH_SI_,comdat
.Lfunc_end150:
	.size	_ZN2at6native12_GLOBAL__N_143distribution_elementwise_grid_stride_kernelIfLi4EZNS0_9templates4cuda21uniform_and_transformIN3c104HalfEfPNS_17CUDAGeneratorImplEZZZNS4_16bernoulli_kernelIS9_EEvRNS_18TensorIteratorBaseEdT_ENKUlvE_clEvENKUlvE6_clEvEUlfE_EEvSC_T1_T2_EUlP25hiprandStatePhilox4_32_10E_ZNS1_27distribution_nullary_kernelIS7_f15HIP_vector_typeIdLj2EES9_SL_SG_EEvSC_SI_RKT3_T4_EUlifE0_EEvlNS_15PhiloxCudaStateESH_SI_, .Lfunc_end150-_ZN2at6native12_GLOBAL__N_143distribution_elementwise_grid_stride_kernelIfLi4EZNS0_9templates4cuda21uniform_and_transformIN3c104HalfEfPNS_17CUDAGeneratorImplEZZZNS4_16bernoulli_kernelIS9_EEvRNS_18TensorIteratorBaseEdT_ENKUlvE_clEvENKUlvE6_clEvEUlfE_EEvSC_T1_T2_EUlP25hiprandStatePhilox4_32_10E_ZNS1_27distribution_nullary_kernelIS7_f15HIP_vector_typeIdLj2EES9_SL_SG_EEvSC_SI_RKT3_T4_EUlifE0_EEvlNS_15PhiloxCudaStateESH_SI_
                                        ; -- End function
	.section	.AMDGPU.csdata,"",@progbits
; Kernel info:
; codeLenInByte = 3312
; NumSgprs: 67
; NumVgprs: 43
; NumAgprs: 0
; TotalNumVgprs: 43
; ScratchSize: 0
; MemoryBound: 0
; FloatMode: 240
; IeeeMode: 1
; LDSByteSize: 0 bytes/workgroup (compile time only)
; SGPRBlocks: 8
; VGPRBlocks: 5
; NumSGPRsForWavesPerEU: 67
; NumVGPRsForWavesPerEU: 43
; AccumOffset: 44
; Occupancy: 8
; WaveLimiterHint : 1
; COMPUTE_PGM_RSRC2:SCRATCH_EN: 0
; COMPUTE_PGM_RSRC2:USER_SGPR: 6
; COMPUTE_PGM_RSRC2:TRAP_HANDLER: 0
; COMPUTE_PGM_RSRC2:TGID_X_EN: 1
; COMPUTE_PGM_RSRC2:TGID_Y_EN: 0
; COMPUTE_PGM_RSRC2:TGID_Z_EN: 0
; COMPUTE_PGM_RSRC2:TIDIG_COMP_CNT: 0
; COMPUTE_PGM_RSRC3_GFX90A:ACCUM_OFFSET: 10
; COMPUTE_PGM_RSRC3_GFX90A:TG_SPLIT: 0
	.section	.text._ZN2at6native12_GLOBAL__N_143distribution_elementwise_grid_stride_kernelIfLi4EZNS0_9templates4cuda21uniform_and_transformIN3c104HalfEfPNS_17CUDAGeneratorImplEZZZNS4_16bernoulli_kernelIS9_EEvRNS_18TensorIteratorBaseEdT_ENKUlvE_clEvENKUlvE6_clEvEUlfE_EEvSC_T1_T2_EUlP25hiprandStatePhilox4_32_10E0_ZNS1_27distribution_nullary_kernelIS7_f15HIP_vector_typeIfLj4EES9_SL_SG_EEvSC_SI_RKT3_T4_EUlifE_EEvlNS_15PhiloxCudaStateESH_SI_,"axG",@progbits,_ZN2at6native12_GLOBAL__N_143distribution_elementwise_grid_stride_kernelIfLi4EZNS0_9templates4cuda21uniform_and_transformIN3c104HalfEfPNS_17CUDAGeneratorImplEZZZNS4_16bernoulli_kernelIS9_EEvRNS_18TensorIteratorBaseEdT_ENKUlvE_clEvENKUlvE6_clEvEUlfE_EEvSC_T1_T2_EUlP25hiprandStatePhilox4_32_10E0_ZNS1_27distribution_nullary_kernelIS7_f15HIP_vector_typeIfLj4EES9_SL_SG_EEvSC_SI_RKT3_T4_EUlifE_EEvlNS_15PhiloxCudaStateESH_SI_,comdat
	.globl	_ZN2at6native12_GLOBAL__N_143distribution_elementwise_grid_stride_kernelIfLi4EZNS0_9templates4cuda21uniform_and_transformIN3c104HalfEfPNS_17CUDAGeneratorImplEZZZNS4_16bernoulli_kernelIS9_EEvRNS_18TensorIteratorBaseEdT_ENKUlvE_clEvENKUlvE6_clEvEUlfE_EEvSC_T1_T2_EUlP25hiprandStatePhilox4_32_10E0_ZNS1_27distribution_nullary_kernelIS7_f15HIP_vector_typeIfLj4EES9_SL_SG_EEvSC_SI_RKT3_T4_EUlifE_EEvlNS_15PhiloxCudaStateESH_SI_ ; -- Begin function _ZN2at6native12_GLOBAL__N_143distribution_elementwise_grid_stride_kernelIfLi4EZNS0_9templates4cuda21uniform_and_transformIN3c104HalfEfPNS_17CUDAGeneratorImplEZZZNS4_16bernoulli_kernelIS9_EEvRNS_18TensorIteratorBaseEdT_ENKUlvE_clEvENKUlvE6_clEvEUlfE_EEvSC_T1_T2_EUlP25hiprandStatePhilox4_32_10E0_ZNS1_27distribution_nullary_kernelIS7_f15HIP_vector_typeIfLj4EES9_SL_SG_EEvSC_SI_RKT3_T4_EUlifE_EEvlNS_15PhiloxCudaStateESH_SI_
	.p2align	8
	.type	_ZN2at6native12_GLOBAL__N_143distribution_elementwise_grid_stride_kernelIfLi4EZNS0_9templates4cuda21uniform_and_transformIN3c104HalfEfPNS_17CUDAGeneratorImplEZZZNS4_16bernoulli_kernelIS9_EEvRNS_18TensorIteratorBaseEdT_ENKUlvE_clEvENKUlvE6_clEvEUlfE_EEvSC_T1_T2_EUlP25hiprandStatePhilox4_32_10E0_ZNS1_27distribution_nullary_kernelIS7_f15HIP_vector_typeIfLj4EES9_SL_SG_EEvSC_SI_RKT3_T4_EUlifE_EEvlNS_15PhiloxCudaStateESH_SI_,@function
_ZN2at6native12_GLOBAL__N_143distribution_elementwise_grid_stride_kernelIfLi4EZNS0_9templates4cuda21uniform_and_transformIN3c104HalfEfPNS_17CUDAGeneratorImplEZZZNS4_16bernoulli_kernelIS9_EEvRNS_18TensorIteratorBaseEdT_ENKUlvE_clEvENKUlvE6_clEvEUlfE_EEvSC_T1_T2_EUlP25hiprandStatePhilox4_32_10E0_ZNS1_27distribution_nullary_kernelIS7_f15HIP_vector_typeIfLj4EES9_SL_SG_EEvSC_SI_RKT3_T4_EUlifE_EEvlNS_15PhiloxCudaStateESH_SI_: ; @_ZN2at6native12_GLOBAL__N_143distribution_elementwise_grid_stride_kernelIfLi4EZNS0_9templates4cuda21uniform_and_transformIN3c104HalfEfPNS_17CUDAGeneratorImplEZZZNS4_16bernoulli_kernelIS9_EEvRNS_18TensorIteratorBaseEdT_ENKUlvE_clEvENKUlvE6_clEvEUlfE_EEvSC_T1_T2_EUlP25hiprandStatePhilox4_32_10E0_ZNS1_27distribution_nullary_kernelIS7_f15HIP_vector_typeIfLj4EES9_SL_SG_EEvSC_SI_RKT3_T4_EUlifE_EEvlNS_15PhiloxCudaStateESH_SI_
; %bb.0:
	s_load_dword s7, s[4:5], 0x20
	s_load_dwordx2 s[10:11], s[4:5], 0x10
	s_load_dwordx4 s[0:3], s[4:5], 0x0
	s_mov_b32 s8, 0
	s_waitcnt lgkmcnt(0)
	s_bitcmp0_b32 s7, 0
	v_pk_mov_b32 v[2:3], s[10:11], s[10:11] op_sel:[0,1]
	v_pk_mov_b32 v[14:15], s[2:3], s[2:3] op_sel:[0,1]
	s_cbranch_scc1 .LBB151_2
; %bb.1:
	v_pk_mov_b32 v[2:3], s[10:11], s[10:11] op_sel:[0,1]
	flat_load_dwordx2 v[2:3], v[2:3]
	v_pk_mov_b32 v[4:5], s[2:3], s[2:3] op_sel:[0,1]
	flat_load_dwordx2 v[14:15], v[4:5]
	s_load_dwordx2 s[2:3], s[4:5], 0x18
	s_waitcnt lgkmcnt(0)
	v_mov_b32_e32 v1, s3
	s_waitcnt vmcnt(0)
	v_add_co_u32_e32 v2, vcc, s2, v2
	v_addc_co_u32_e32 v3, vcc, v3, v1, vcc
.LBB151_2:
	s_load_dword s2, s[4:5], 0x54
	s_load_dword s17, s[4:5], 0x48
	s_waitcnt lgkmcnt(0)
	s_and_b32 s7, s2, 0xffff
	s_add_u32 s10, s0, -1
	s_mul_i32 s12, s17, s7
	s_addc_u32 s9, s1, -1
	s_lshl_b32 s13, s12, 2
	s_cmp_lg_u64 s[8:9], 0
	s_mov_b64 s[2:3], -1
	s_cbranch_scc0 .LBB151_27
; %bb.3:
	v_cvt_f32_u32_e32 v1, s13
	v_cvt_f32_ubyte0_e32 v4, 0
	s_sub_u32 s8, 0, s13
	s_subb_u32 s11, 0, 0
	v_madmk_f32 v1, v4, 0x4f800000, v1
	v_rcp_f32_e32 v1, v1
	v_mul_f32_e32 v1, 0x5f7ffffc, v1
	v_mul_f32_e32 v4, 0x2f800000, v1
	v_trunc_f32_e32 v4, v4
	v_madmk_f32 v1, v4, 0xcf800000, v1
	v_cvt_u32_f32_e32 v4, v4
	v_cvt_u32_f32_e32 v1, v1
	v_readfirstlane_b32 s14, v4
	v_readfirstlane_b32 s15, v1
	s_mul_i32 s16, s8, s14
	s_mul_hi_u32 s19, s8, s15
	s_mul_i32 s18, s11, s15
	s_add_i32 s16, s19, s16
	s_add_i32 s16, s16, s18
	s_mul_i32 s20, s8, s15
	s_mul_hi_u32 s18, s15, s16
	s_mul_i32 s19, s15, s16
	s_mul_hi_u32 s15, s15, s20
	s_add_u32 s15, s15, s19
	s_addc_u32 s18, 0, s18
	s_mul_hi_u32 s21, s14, s20
	s_mul_i32 s20, s14, s20
	s_add_u32 s15, s15, s20
	s_mul_hi_u32 s19, s14, s16
	s_addc_u32 s15, s18, s21
	s_addc_u32 s18, s19, 0
	s_mul_i32 s16, s14, s16
	s_add_u32 s15, s15, s16
	s_addc_u32 s16, 0, s18
	v_add_co_u32_e32 v1, vcc, s15, v1
	s_cmp_lg_u64 vcc, 0
	s_addc_u32 s14, s14, s16
	v_readfirstlane_b32 s16, v1
	s_mul_i32 s15, s8, s14
	s_mul_hi_u32 s18, s8, s16
	s_add_i32 s15, s18, s15
	s_mul_i32 s11, s11, s16
	s_add_i32 s15, s15, s11
	s_mul_i32 s8, s8, s16
	s_mul_hi_u32 s18, s14, s8
	s_mul_i32 s19, s14, s8
	s_mul_i32 s21, s16, s15
	s_mul_hi_u32 s8, s16, s8
	s_mul_hi_u32 s20, s16, s15
	s_add_u32 s8, s8, s21
	s_addc_u32 s16, 0, s20
	s_add_u32 s8, s8, s19
	s_mul_hi_u32 s11, s14, s15
	s_addc_u32 s8, s16, s18
	s_addc_u32 s11, s11, 0
	s_mul_i32 s15, s14, s15
	s_add_u32 s8, s8, s15
	s_addc_u32 s11, 0, s11
	v_add_co_u32_e32 v1, vcc, s8, v1
	s_cmp_lg_u64 vcc, 0
	s_addc_u32 s11, s14, s11
	s_ashr_i32 s14, s9, 31
	s_add_u32 s8, s10, s14
	s_mov_b32 s15, s14
	s_addc_u32 s9, s9, s14
	s_xor_b64 s[8:9], s[8:9], s[14:15]
	v_readfirstlane_b32 s19, v1
	s_mul_i32 s18, s8, s11
	s_mul_hi_u32 s20, s8, s19
	s_mul_hi_u32 s16, s8, s11
	s_add_u32 s18, s20, s18
	s_addc_u32 s16, 0, s16
	s_mul_hi_u32 s21, s9, s19
	s_mul_i32 s19, s9, s19
	s_add_u32 s18, s18, s19
	s_mul_hi_u32 s20, s9, s11
	s_addc_u32 s16, s16, s21
	s_addc_u32 s18, s20, 0
	s_mul_i32 s11, s9, s11
	s_add_u32 s11, s16, s11
	s_addc_u32 s16, 0, s18
	s_add_u32 s18, s11, 1
	s_addc_u32 s19, s16, 0
	s_add_u32 s20, s11, 2
	s_mul_i32 s22, s13, s16
	s_mul_hi_u32 s23, s13, s11
	s_addc_u32 s21, s16, 0
	s_add_i32 s23, s23, s22
	s_mul_i32 s22, s13, s11
	v_mov_b32_e32 v1, s22
	v_sub_co_u32_e32 v1, vcc, s8, v1
	s_cmp_lg_u64 vcc, 0
	s_subb_u32 s8, s9, s23
	v_subrev_co_u32_e32 v4, vcc, s13, v1
	s_cmp_lg_u64 vcc, 0
	s_subb_u32 s9, s8, 0
	v_readfirstlane_b32 s22, v4
	s_cmp_ge_u32 s22, s13
	s_cselect_b32 s22, -1, 0
	s_cmp_eq_u32 s9, 0
	s_cselect_b32 s9, s22, -1
	s_cmp_lg_u32 s9, 0
	s_cselect_b32 s9, s21, s19
	v_readfirstlane_b32 s19, v1
	s_cselect_b32 s18, s20, s18
	s_cmp_ge_u32 s19, s13
	s_cselect_b32 s19, -1, 0
	s_cmp_eq_u32 s8, 0
	s_cselect_b32 s8, s19, -1
	s_cmp_lg_u32 s8, 0
	s_cselect_b32 s9, s9, s16
	s_cselect_b32 s8, s18, s11
	s_xor_b64 s[8:9], s[8:9], s[14:15]
	s_sub_u32 s8, s8, s14
	s_subb_u32 s9, s9, s14
	s_cbranch_execnz .LBB151_5
.LBB151_4:
	v_cvt_f32_u32_e32 v1, s13
	s_sub_i32 s2, 0, s13
	s_mov_b32 s9, 0
	v_rcp_iflag_f32_e32 v1, v1
	v_mul_f32_e32 v1, 0x4f7ffffe, v1
	v_cvt_u32_f32_e32 v1, v1
	v_readfirstlane_b32 s3, v1
	s_mul_i32 s2, s2, s3
	s_mul_hi_u32 s2, s3, s2
	s_add_i32 s3, s3, s2
	s_mul_hi_u32 s2, s10, s3
	s_mul_i32 s8, s2, s13
	s_sub_i32 s8, s10, s8
	s_add_i32 s3, s2, 1
	s_sub_i32 s10, s8, s13
	s_cmp_ge_u32 s8, s13
	s_cselect_b32 s2, s3, s2
	s_cselect_b32 s8, s10, s8
	s_add_i32 s3, s2, 1
	s_cmp_ge_u32 s8, s13
	s_cselect_b32 s8, s3, s2
.LBB151_5:
	v_mov_b32_e32 v1, 0
	v_mov_b32_e32 v4, s6
	v_mad_u64_u32 v[16:17], s[2:3], s7, v4, v[0:1]
	s_add_u32 s2, s8, 1
	s_addc_u32 s3, s9, 0
	s_mul_hi_u32 s8, s17, s7
	s_mul_i32 s3, s12, s3
	s_mul_hi_u32 s9, s12, s2
	s_add_i32 s3, s9, s3
	s_mul_i32 s8, s8, s2
	s_add_i32 s3, s3, s8
	s_mul_i32 s2, s12, s2
	s_lshl_b64 s[2:3], s[2:3], 2
	v_cmp_gt_i64_e32 vcc, s[2:3], v[16:17]
	s_and_saveexec_b64 s[8:9], vcc
	s_cbranch_execz .LBB151_26
; %bb.6:
	s_load_dwordx2 s[8:9], s[4:5], 0x30
	s_load_dword s23, s[4:5], 0x38
	s_load_dwordx2 s[10:11], s[4:5], 0x40
	s_mov_b32 s4, 0x5384540f
	v_mov_b32_e32 v4, v15
	v_add_co_u32_e32 v22, vcc, s4, v14
	s_mov_b32 s4, 0x646e171e
	v_add_co_u32_e32 v23, vcc, s4, v4
	s_mov_b32 s4, 0x1715609d
	;; [unrolled: 2-line block ×6, first 2 shown]
	v_alignbit_b32 v29, v3, v2, 2
	s_mov_b32 s15, 0xd2511f53
	v_add_co_u32_e32 v28, vcc, s4, v14
	v_mad_u64_u32 v[6:7], s[4:5], v29, s15, 0
	v_xor_b32_e32 v1, v7, v15
	v_xor_b32_e32 v1, v1, v17
	s_mov_b32 s16, 0xcd9e8d57
	v_mad_u64_u32 v[8:9], s[4:5], v1, s16, 0
	v_xor_b32_e32 v1, v28, v9
	v_mad_u64_u32 v[10:11], s[4:5], v16, s16, 0
	v_and_b32_e32 v18, 3, v2
	v_xor_b32_e32 v1, v1, v10
	v_xor_b32_e32 v2, v14, v11
	v_lshrrev_b32_e32 v30, 2, v3
	v_mad_u64_u32 v[12:13], s[4:5], v1, s15, 0
	v_xor_b32_e32 v2, v2, v30
	v_xor_b32_e32 v1, v27, v13
	v_mad_u64_u32 v[2:3], s[4:5], v2, s15, 0
	v_xor_b32_e32 v1, v1, v2
	v_mad_u64_u32 v[10:11], s[4:5], v1, s16, 0
	s_mov_b32 s4, 0xbb67ae85
	v_add_co_u32_e32 v31, vcc, s4, v4
	v_xor_b32_e32 v2, v31, v3
	v_xor_b32_e32 v2, v2, v6
	v_xor_b32_e32 v1, v26, v11
	v_mad_u64_u32 v[2:3], s[4:5], v2, s16, 0
	v_xor_b32_e32 v1, v1, v2
	v_mad_u64_u32 v[6:7], s[4:5], v1, s15, 0
	s_mov_b32 s4, 0x3c6ef372
	v_add_co_u32_e32 v32, vcc, s4, v14
	v_xor_b32_e32 v2, v32, v3
	;; [unrolled: 8-line block ×6, first 2 shown]
	v_add_co_u32_e32 v21, vcc, 0xdb3d7428, v4
	v_xor_b32_e32 v2, v2, v8
	v_xor_b32_e32 v1, v21, v7
	v_mad_u64_u32 v[2:3], s[4:5], v2, s15, 0
	v_xor_b32_e32 v1, v1, v2
	v_mad_u64_u32 v[8:9], s[4:5], v1, s16, 0
	s_mov_b32 s4, 0x1fd5c5a3
	v_add_co_u32_e32 v37, vcc, s4, v4
	v_xor_b32_e32 v1, v37, v3
	v_xor_b32_e32 v1, v1, v12
	v_mad_u64_u32 v[2:3], s[4:5], v1, s16, 0
	s_mov_b32 s4, 0xf1bbcdc8
	v_add_u32_e32 v19, 0x8ff34781, v14
	v_xor_b32_e32 v1, v9, v2
	v_add_co_u32_e32 v38, vcc, s4, v14
	v_xor_b32_e32 v2, v19, v1
	v_xor_b32_e32 v1, v38, v3
	v_xor_b32_e32 v1, v1, v10
	v_mad_u64_u32 v[10:11], s[4:5], v1, s15, 0
	v_add_u32_e32 v20, 0x96a522ad, v15
	v_xor_b32_e32 v1, v11, v6
	s_mul_i32 s4, s6, s7
	v_xor_b32_e32 v4, v20, v1
	v_add_u32_e32 v1, s4, v0
	s_waitcnt lgkmcnt(0)
	s_mul_i32 s4, s17, s23
	s_mul_i32 s4, s4, s7
	s_lshl_b32 s22, s4, 2
	s_mul_i32 s4, s17, 3
	s_add_i32 s4, s6, s4
	s_mul_i32 s4, s4, s7
	v_mul_lo_u32 v40, s23, v1
	v_add_u32_e32 v1, s4, v0
	s_lshl_b32 s4, s17, 1
	s_add_i32 s4, s6, s4
	s_mul_i32 s4, s4, s7
	v_mul_lo_u32 v41, s23, v1
	v_add_u32_e32 v1, s4, v0
	s_add_i32 s4, s6, s17
	s_mul_i32 s4, s4, s7
	s_mov_b32 s14, 0
	v_add_u32_e32 v0, s4, v0
	v_mov_b32_e32 v3, v8
	v_mov_b32_e32 v5, v10
	v_cvt_f32_f64_e32 v39, s[10:11]
	s_lshl_b32 s18, s12, 1
	s_mov_b32 s19, s14
	s_mul_i32 s20, s12, 3
	s_mov_b32 s21, s14
	v_mul_lo_u32 v42, s23, v1
	v_mul_lo_u32 v43, s23, v0
	s_mov_b64 s[4:5], 0
	v_mov_b32_e32 v44, 0x3c00
	s_mov_b32 s17, s14
	v_mov_b32_e32 v45, v16
	v_mov_b32_e32 v46, v17
	s_branch .LBB151_8
.LBB151_7:                              ;   in Loop: Header=BB151_8 Depth=1
	s_or_b64 exec, exec, s[6:7]
	v_add_co_u32_e32 v16, vcc, s13, v16
	v_addc_co_u32_e32 v17, vcc, 0, v17, vcc
	v_mov_b32_e32 v9, v0
	s_add_i32 s17, s17, s22
	v_cmp_le_i64_e32 vcc, s[2:3], v[16:17]
	v_pk_mov_b32 v[2:3], v[6:7], v[6:7] op_sel:[0,1]
	s_or_b64 s[4:5], vcc, s[4:5]
	v_pk_mov_b32 v[4:5], v[8:9], v[8:9] op_sel:[0,1]
	s_barrier
	s_andn2_b64 exec, exec, s[4:5]
	s_cbranch_execz .LBB151_26
.LBB151_8:                              ; =>This Inner Loop Header: Depth=1
	v_add_co_u32_e32 v29, vcc, 1, v29
	v_cndmask_b32_e64 v0, 0, 1, vcc
	v_addc_co_u32_e32 v30, vcc, 0, v30, vcc
	v_cmp_eq_u32_e32 vcc, 0, v30
	v_cndmask_b32_e32 v0, 0, v0, vcc
	v_add_u32_e32 v45, v0, v45
	v_cmp_eq_u32_e32 vcc, 0, v45
	v_cndmask_b32_e32 v0, 0, v0, vcc
	v_add_u32_e32 v46, v0, v46
	v_mad_u64_u32 v[0:1], s[6:7], v29, s15, 0
	v_mad_u64_u32 v[6:7], s[6:7], v45, s16, 0
	v_xor_b32_e32 v1, v1, v15
	v_xor_b32_e32 v7, v7, v14
	v_xor_b32_e32 v1, v46, v1
	v_xor_b32_e32 v7, v30, v7
	v_mad_u64_u32 v[10:11], s[6:7], v1, s16, 0
	v_mad_u64_u32 v[8:9], s[6:7], v7, s15, 0
	v_xor_b32_e32 v1, v28, v11
	v_xor_b32_e32 v1, v1, v6
	v_xor_b32_e32 v6, v31, v9
	v_xor_b32_e32 v6, v6, v0
	;; [unrolled: 6-line block ×10, first 2 shown]
	v_mov_b32_e32 v7, v12
	v_mov_b32_e32 v8, v13
	v_cmp_lt_i32_e32 vcc, 1, v18
	s_and_saveexec_b64 s[6:7], vcc
	s_xor_b64 s[6:7], exec, s[6:7]
	s_cbranch_execnz .LBB151_18
; %bb.9:                                ;   in Loop: Header=BB151_8 Depth=1
	s_andn2_saveexec_b64 s[6:7], s[6:7]
	s_cbranch_execnz .LBB151_23
.LBB151_10:                             ;   in Loop: Header=BB151_8 Depth=1
	s_or_b64 exec, exec, s[6:7]
	v_cmp_gt_i64_e32 vcc, s[0:1], v[16:17]
	s_and_saveexec_b64 s[6:7], vcc
	s_cbranch_execz .LBB151_12
.LBB151_11:                             ;   in Loop: Header=BB151_8 Depth=1
	v_cvt_f32_u32_e32 v1, v2
	v_mov_b32_e32 v2, 0x2f800000
	v_add_u32_e32 v9, s17, v40
	v_ashrrev_i32_e32 v11, 31, v9
	v_fmac_f32_e32 v2, 0x2f800000, v1
	v_mov_b32_e32 v1, s9
	v_add_co_u32_e32 v10, vcc, s8, v9
	v_addc_co_u32_e32 v11, vcc, v1, v11, vcc
	v_cmp_lt_f32_e32 vcc, v2, v39
	v_cndmask_b32_e32 v1, 0, v44, vcc
	global_store_short v[10:11], v1, off
.LBB151_12:                             ;   in Loop: Header=BB151_8 Depth=1
	s_or_b64 exec, exec, s[6:7]
	v_mov_b32_e32 v1, s14
	v_add_co_u32_e32 v10, vcc, s12, v16
	v_addc_co_u32_e32 v11, vcc, v1, v17, vcc
	v_cmp_gt_i64_e32 vcc, s[0:1], v[10:11]
	s_and_saveexec_b64 s[6:7], vcc
	s_cbranch_execz .LBB151_14
; %bb.13:                               ;   in Loop: Header=BB151_8 Depth=1
	v_cvt_f32_u32_e32 v1, v3
	v_mov_b32_e32 v9, 0x2f800000
	v_add_u32_e32 v2, s17, v43
	v_ashrrev_i32_e32 v3, 31, v2
	v_fmac_f32_e32 v9, 0x2f800000, v1
	v_mov_b32_e32 v1, s9
	v_add_co_u32_e32 v2, vcc, s8, v2
	v_addc_co_u32_e32 v3, vcc, v1, v3, vcc
	v_cmp_lt_f32_e32 vcc, v9, v39
	v_cndmask_b32_e32 v1, 0, v44, vcc
	global_store_short v[2:3], v1, off
.LBB151_14:                             ;   in Loop: Header=BB151_8 Depth=1
	s_or_b64 exec, exec, s[6:7]
	v_mov_b32_e32 v1, s19
	v_add_co_u32_e32 v2, vcc, s18, v16
	v_addc_co_u32_e32 v3, vcc, v1, v17, vcc
	v_cmp_gt_i64_e32 vcc, s[0:1], v[2:3]
	s_and_saveexec_b64 s[6:7], vcc
	s_cbranch_execz .LBB151_16
; %bb.15:                               ;   in Loop: Header=BB151_8 Depth=1
	v_cvt_f32_u32_e32 v1, v4
	v_mov_b32_e32 v4, 0x2f800000
	v_add_u32_e32 v2, s17, v42
	v_ashrrev_i32_e32 v3, 31, v2
	v_fmac_f32_e32 v4, 0x2f800000, v1
	v_mov_b32_e32 v1, s9
	v_add_co_u32_e32 v2, vcc, s8, v2
	v_addc_co_u32_e32 v3, vcc, v1, v3, vcc
	v_cmp_lt_f32_e32 vcc, v4, v39
	v_cndmask_b32_e32 v1, 0, v44, vcc
	global_store_short v[2:3], v1, off
.LBB151_16:                             ;   in Loop: Header=BB151_8 Depth=1
	s_or_b64 exec, exec, s[6:7]
	v_mov_b32_e32 v1, s21
	v_add_co_u32_e32 v2, vcc, s20, v16
	v_addc_co_u32_e32 v3, vcc, v1, v17, vcc
	v_cmp_gt_i64_e32 vcc, s[0:1], v[2:3]
	s_and_saveexec_b64 s[6:7], vcc
	s_cbranch_execz .LBB151_7
; %bb.17:                               ;   in Loop: Header=BB151_8 Depth=1
	v_cvt_f32_u32_e32 v1, v5
	v_mov_b32_e32 v4, 0x2f800000
	v_add_u32_e32 v2, s17, v41
	v_ashrrev_i32_e32 v3, 31, v2
	v_fmac_f32_e32 v4, 0x2f800000, v1
	v_mov_b32_e32 v1, s9
	v_add_co_u32_e32 v2, vcc, s8, v2
	v_addc_co_u32_e32 v3, vcc, v1, v3, vcc
	v_cmp_lt_f32_e32 vcc, v4, v39
	v_cndmask_b32_e32 v1, 0, v44, vcc
	global_store_short v[2:3], v1, off
	s_branch .LBB151_7
.LBB151_18:                             ;   in Loop: Header=BB151_8 Depth=1
	v_cmp_lt_i32_e32 vcc, 2, v18
	s_and_saveexec_b64 s[10:11], vcc
	s_xor_b64 s[10:11], exec, s[10:11]
; %bb.19:                               ;   in Loop: Header=BB151_8 Depth=1
	v_mov_b32_e32 v10, v5
	v_mov_b32_e32 v11, v6
	v_pk_mov_b32 v[2:3], v[10:11], v[10:11] op_sel:[0,1]
	v_pk_mov_b32 v[4:5], v[12:13], v[12:13] op_sel:[0,1]
                                        ; implicit-def: $vgpr12_vgpr13
; %bb.20:                               ;   in Loop: Header=BB151_8 Depth=1
	s_andn2_saveexec_b64 s[10:11], s[10:11]
; %bb.21:                               ;   in Loop: Header=BB151_8 Depth=1
	v_mov_b32_e32 v2, v4
	v_mov_b32_e32 v3, v5
	;; [unrolled: 1-line block ×4, first 2 shown]
; %bb.22:                               ;   in Loop: Header=BB151_8 Depth=1
	s_or_b64 exec, exec, s[10:11]
	s_andn2_saveexec_b64 s[6:7], s[6:7]
	s_cbranch_execz .LBB151_10
.LBB151_23:                             ;   in Loop: Header=BB151_8 Depth=1
	v_cmp_eq_u32_e32 vcc, 1, v18
	s_and_saveexec_b64 s[10:11], vcc
; %bb.24:                               ;   in Loop: Header=BB151_8 Depth=1
	v_mov_b32_e32 v2, v3
	v_mov_b32_e32 v3, v4
	;; [unrolled: 1-line block ×4, first 2 shown]
; %bb.25:                               ;   in Loop: Header=BB151_8 Depth=1
	s_or_b64 exec, exec, s[10:11]
	s_or_b64 exec, exec, s[6:7]
	v_cmp_gt_i64_e32 vcc, s[0:1], v[16:17]
	s_and_saveexec_b64 s[6:7], vcc
	s_cbranch_execnz .LBB151_11
	s_branch .LBB151_12
.LBB151_26:
	s_endpgm
.LBB151_27:
                                        ; implicit-def: $sgpr8_sgpr9
	s_andn2_b64 vcc, exec, s[2:3]
	s_cbranch_vccz .LBB151_4
	s_branch .LBB151_5
	.section	.rodata,"a",@progbits
	.p2align	6, 0x0
	.amdhsa_kernel _ZN2at6native12_GLOBAL__N_143distribution_elementwise_grid_stride_kernelIfLi4EZNS0_9templates4cuda21uniform_and_transformIN3c104HalfEfPNS_17CUDAGeneratorImplEZZZNS4_16bernoulli_kernelIS9_EEvRNS_18TensorIteratorBaseEdT_ENKUlvE_clEvENKUlvE6_clEvEUlfE_EEvSC_T1_T2_EUlP25hiprandStatePhilox4_32_10E0_ZNS1_27distribution_nullary_kernelIS7_f15HIP_vector_typeIfLj4EES9_SL_SG_EEvSC_SI_RKT3_T4_EUlifE_EEvlNS_15PhiloxCudaStateESH_SI_
		.amdhsa_group_segment_fixed_size 0
		.amdhsa_private_segment_fixed_size 0
		.amdhsa_kernarg_size 328
		.amdhsa_user_sgpr_count 6
		.amdhsa_user_sgpr_private_segment_buffer 1
		.amdhsa_user_sgpr_dispatch_ptr 0
		.amdhsa_user_sgpr_queue_ptr 0
		.amdhsa_user_sgpr_kernarg_segment_ptr 1
		.amdhsa_user_sgpr_dispatch_id 0
		.amdhsa_user_sgpr_flat_scratch_init 0
		.amdhsa_user_sgpr_kernarg_preload_length 0
		.amdhsa_user_sgpr_kernarg_preload_offset 0
		.amdhsa_user_sgpr_private_segment_size 0
		.amdhsa_uses_dynamic_stack 0
		.amdhsa_system_sgpr_private_segment_wavefront_offset 0
		.amdhsa_system_sgpr_workgroup_id_x 1
		.amdhsa_system_sgpr_workgroup_id_y 0
		.amdhsa_system_sgpr_workgroup_id_z 0
		.amdhsa_system_sgpr_workgroup_info 0
		.amdhsa_system_vgpr_workitem_id 0
		.amdhsa_next_free_vgpr 50
		.amdhsa_next_free_sgpr 24
		.amdhsa_accum_offset 52
		.amdhsa_reserve_vcc 1
		.amdhsa_reserve_flat_scratch 0
		.amdhsa_float_round_mode_32 0
		.amdhsa_float_round_mode_16_64 0
		.amdhsa_float_denorm_mode_32 3
		.amdhsa_float_denorm_mode_16_64 3
		.amdhsa_dx10_clamp 1
		.amdhsa_ieee_mode 1
		.amdhsa_fp16_overflow 0
		.amdhsa_tg_split 0
		.amdhsa_exception_fp_ieee_invalid_op 0
		.amdhsa_exception_fp_denorm_src 0
		.amdhsa_exception_fp_ieee_div_zero 0
		.amdhsa_exception_fp_ieee_overflow 0
		.amdhsa_exception_fp_ieee_underflow 0
		.amdhsa_exception_fp_ieee_inexact 0
		.amdhsa_exception_int_div_zero 0
	.end_amdhsa_kernel
	.section	.text._ZN2at6native12_GLOBAL__N_143distribution_elementwise_grid_stride_kernelIfLi4EZNS0_9templates4cuda21uniform_and_transformIN3c104HalfEfPNS_17CUDAGeneratorImplEZZZNS4_16bernoulli_kernelIS9_EEvRNS_18TensorIteratorBaseEdT_ENKUlvE_clEvENKUlvE6_clEvEUlfE_EEvSC_T1_T2_EUlP25hiprandStatePhilox4_32_10E0_ZNS1_27distribution_nullary_kernelIS7_f15HIP_vector_typeIfLj4EES9_SL_SG_EEvSC_SI_RKT3_T4_EUlifE_EEvlNS_15PhiloxCudaStateESH_SI_,"axG",@progbits,_ZN2at6native12_GLOBAL__N_143distribution_elementwise_grid_stride_kernelIfLi4EZNS0_9templates4cuda21uniform_and_transformIN3c104HalfEfPNS_17CUDAGeneratorImplEZZZNS4_16bernoulli_kernelIS9_EEvRNS_18TensorIteratorBaseEdT_ENKUlvE_clEvENKUlvE6_clEvEUlfE_EEvSC_T1_T2_EUlP25hiprandStatePhilox4_32_10E0_ZNS1_27distribution_nullary_kernelIS7_f15HIP_vector_typeIfLj4EES9_SL_SG_EEvSC_SI_RKT3_T4_EUlifE_EEvlNS_15PhiloxCudaStateESH_SI_,comdat
.Lfunc_end151:
	.size	_ZN2at6native12_GLOBAL__N_143distribution_elementwise_grid_stride_kernelIfLi4EZNS0_9templates4cuda21uniform_and_transformIN3c104HalfEfPNS_17CUDAGeneratorImplEZZZNS4_16bernoulli_kernelIS9_EEvRNS_18TensorIteratorBaseEdT_ENKUlvE_clEvENKUlvE6_clEvEUlfE_EEvSC_T1_T2_EUlP25hiprandStatePhilox4_32_10E0_ZNS1_27distribution_nullary_kernelIS7_f15HIP_vector_typeIfLj4EES9_SL_SG_EEvSC_SI_RKT3_T4_EUlifE_EEvlNS_15PhiloxCudaStateESH_SI_, .Lfunc_end151-_ZN2at6native12_GLOBAL__N_143distribution_elementwise_grid_stride_kernelIfLi4EZNS0_9templates4cuda21uniform_and_transformIN3c104HalfEfPNS_17CUDAGeneratorImplEZZZNS4_16bernoulli_kernelIS9_EEvRNS_18TensorIteratorBaseEdT_ENKUlvE_clEvENKUlvE6_clEvEUlfE_EEvSC_T1_T2_EUlP25hiprandStatePhilox4_32_10E0_ZNS1_27distribution_nullary_kernelIS7_f15HIP_vector_typeIfLj4EES9_SL_SG_EEvSC_SI_RKT3_T4_EUlifE_EEvlNS_15PhiloxCudaStateESH_SI_
                                        ; -- End function
	.section	.AMDGPU.csdata,"",@progbits
; Kernel info:
; codeLenInByte = 2468
; NumSgprs: 28
; NumVgprs: 50
; NumAgprs: 0
; TotalNumVgprs: 50
; ScratchSize: 0
; MemoryBound: 0
; FloatMode: 240
; IeeeMode: 1
; LDSByteSize: 0 bytes/workgroup (compile time only)
; SGPRBlocks: 3
; VGPRBlocks: 6
; NumSGPRsForWavesPerEU: 28
; NumVGPRsForWavesPerEU: 50
; AccumOffset: 52
; Occupancy: 8
; WaveLimiterHint : 0
; COMPUTE_PGM_RSRC2:SCRATCH_EN: 0
; COMPUTE_PGM_RSRC2:USER_SGPR: 6
; COMPUTE_PGM_RSRC2:TRAP_HANDLER: 0
; COMPUTE_PGM_RSRC2:TGID_X_EN: 1
; COMPUTE_PGM_RSRC2:TGID_Y_EN: 0
; COMPUTE_PGM_RSRC2:TGID_Z_EN: 0
; COMPUTE_PGM_RSRC2:TIDIG_COMP_CNT: 0
; COMPUTE_PGM_RSRC3_GFX90A:ACCUM_OFFSET: 12
; COMPUTE_PGM_RSRC3_GFX90A:TG_SPLIT: 0
	.section	.text._ZN2at6native12_GLOBAL__N_143distribution_elementwise_grid_stride_kernelIfLi4EZNS0_9templates4cuda21uniform_and_transformIN3c104HalfEfPNS_17CUDAGeneratorImplEZZZNS4_16bernoulli_kernelIS9_EEvRNS_18TensorIteratorBaseEdT_ENKUlvE_clEvENKUlvE6_clEvEUlfE_EEvSC_T1_T2_EUlP25hiprandStatePhilox4_32_10E0_ZNS1_27distribution_nullary_kernelIS7_f15HIP_vector_typeIfLj4EES9_SL_SG_EEvSC_SI_RKT3_T4_EUlifE0_EEvlNS_15PhiloxCudaStateESH_SI_,"axG",@progbits,_ZN2at6native12_GLOBAL__N_143distribution_elementwise_grid_stride_kernelIfLi4EZNS0_9templates4cuda21uniform_and_transformIN3c104HalfEfPNS_17CUDAGeneratorImplEZZZNS4_16bernoulli_kernelIS9_EEvRNS_18TensorIteratorBaseEdT_ENKUlvE_clEvENKUlvE6_clEvEUlfE_EEvSC_T1_T2_EUlP25hiprandStatePhilox4_32_10E0_ZNS1_27distribution_nullary_kernelIS7_f15HIP_vector_typeIfLj4EES9_SL_SG_EEvSC_SI_RKT3_T4_EUlifE0_EEvlNS_15PhiloxCudaStateESH_SI_,comdat
	.globl	_ZN2at6native12_GLOBAL__N_143distribution_elementwise_grid_stride_kernelIfLi4EZNS0_9templates4cuda21uniform_and_transformIN3c104HalfEfPNS_17CUDAGeneratorImplEZZZNS4_16bernoulli_kernelIS9_EEvRNS_18TensorIteratorBaseEdT_ENKUlvE_clEvENKUlvE6_clEvEUlfE_EEvSC_T1_T2_EUlP25hiprandStatePhilox4_32_10E0_ZNS1_27distribution_nullary_kernelIS7_f15HIP_vector_typeIfLj4EES9_SL_SG_EEvSC_SI_RKT3_T4_EUlifE0_EEvlNS_15PhiloxCudaStateESH_SI_ ; -- Begin function _ZN2at6native12_GLOBAL__N_143distribution_elementwise_grid_stride_kernelIfLi4EZNS0_9templates4cuda21uniform_and_transformIN3c104HalfEfPNS_17CUDAGeneratorImplEZZZNS4_16bernoulli_kernelIS9_EEvRNS_18TensorIteratorBaseEdT_ENKUlvE_clEvENKUlvE6_clEvEUlfE_EEvSC_T1_T2_EUlP25hiprandStatePhilox4_32_10E0_ZNS1_27distribution_nullary_kernelIS7_f15HIP_vector_typeIfLj4EES9_SL_SG_EEvSC_SI_RKT3_T4_EUlifE0_EEvlNS_15PhiloxCudaStateESH_SI_
	.p2align	8
	.type	_ZN2at6native12_GLOBAL__N_143distribution_elementwise_grid_stride_kernelIfLi4EZNS0_9templates4cuda21uniform_and_transformIN3c104HalfEfPNS_17CUDAGeneratorImplEZZZNS4_16bernoulli_kernelIS9_EEvRNS_18TensorIteratorBaseEdT_ENKUlvE_clEvENKUlvE6_clEvEUlfE_EEvSC_T1_T2_EUlP25hiprandStatePhilox4_32_10E0_ZNS1_27distribution_nullary_kernelIS7_f15HIP_vector_typeIfLj4EES9_SL_SG_EEvSC_SI_RKT3_T4_EUlifE0_EEvlNS_15PhiloxCudaStateESH_SI_,@function
_ZN2at6native12_GLOBAL__N_143distribution_elementwise_grid_stride_kernelIfLi4EZNS0_9templates4cuda21uniform_and_transformIN3c104HalfEfPNS_17CUDAGeneratorImplEZZZNS4_16bernoulli_kernelIS9_EEvRNS_18TensorIteratorBaseEdT_ENKUlvE_clEvENKUlvE6_clEvEUlfE_EEvSC_T1_T2_EUlP25hiprandStatePhilox4_32_10E0_ZNS1_27distribution_nullary_kernelIS7_f15HIP_vector_typeIfLj4EES9_SL_SG_EEvSC_SI_RKT3_T4_EUlifE0_EEvlNS_15PhiloxCudaStateESH_SI_: ; @_ZN2at6native12_GLOBAL__N_143distribution_elementwise_grid_stride_kernelIfLi4EZNS0_9templates4cuda21uniform_and_transformIN3c104HalfEfPNS_17CUDAGeneratorImplEZZZNS4_16bernoulli_kernelIS9_EEvRNS_18TensorIteratorBaseEdT_ENKUlvE_clEvENKUlvE6_clEvEUlfE_EEvSC_T1_T2_EUlP25hiprandStatePhilox4_32_10E0_ZNS1_27distribution_nullary_kernelIS7_f15HIP_vector_typeIfLj4EES9_SL_SG_EEvSC_SI_RKT3_T4_EUlifE0_EEvlNS_15PhiloxCudaStateESH_SI_
; %bb.0:
	s_load_dword s2, s[4:5], 0x20
	s_load_dwordx2 s[0:1], s[4:5], 0x10
	s_load_dwordx4 s[24:27], s[4:5], 0x0
	s_waitcnt lgkmcnt(0)
	s_bitcmp0_b32 s2, 0
	s_mov_b32 s2, 0
	v_pk_mov_b32 v[2:3], s[0:1], s[0:1] op_sel:[0,1]
	v_pk_mov_b32 v[12:13], s[26:27], s[26:27] op_sel:[0,1]
	s_cbranch_scc1 .LBB152_2
; %bb.1:
	v_pk_mov_b32 v[2:3], s[0:1], s[0:1] op_sel:[0,1]
	flat_load_dwordx2 v[2:3], v[2:3]
	v_pk_mov_b32 v[4:5], s[26:27], s[26:27] op_sel:[0,1]
	flat_load_dwordx2 v[12:13], v[4:5]
	s_load_dwordx2 s[0:1], s[4:5], 0x18
	s_waitcnt lgkmcnt(0)
	v_mov_b32_e32 v1, s1
	s_waitcnt vmcnt(0)
	v_add_co_u32_e32 v2, vcc, s0, v2
	v_addc_co_u32_e32 v3, vcc, v3, v1, vcc
.LBB152_2:
	s_load_dword s0, s[4:5], 0x154
	s_load_dword s7, s[4:5], 0x148
	s_waitcnt lgkmcnt(0)
	s_and_b32 s8, s0, 0xffff
	s_add_u32 s9, s24, -1
	s_mul_i32 s33, s7, s8
	s_addc_u32 s3, s25, -1
	s_lshl_b32 s58, s33, 2
	s_cmp_lg_u64 s[2:3], 0
	s_mov_b64 s[0:1], -1
	s_cbranch_scc0 .LBB152_83
; %bb.3:
	v_cvt_f32_u32_e32 v1, s58
	v_cvt_f32_ubyte0_e32 v4, 0
	s_sub_u32 s2, 0, s58
	s_subb_u32 s10, 0, 0
	v_madmk_f32 v1, v4, 0x4f800000, v1
	v_rcp_f32_e32 v1, v1
	v_mul_f32_e32 v1, 0x5f7ffffc, v1
	v_mul_f32_e32 v4, 0x2f800000, v1
	v_trunc_f32_e32 v4, v4
	v_madmk_f32 v1, v4, 0xcf800000, v1
	v_cvt_u32_f32_e32 v4, v4
	v_cvt_u32_f32_e32 v1, v1
	v_readfirstlane_b32 s11, v4
	v_readfirstlane_b32 s12, v1
	s_mul_i32 s13, s2, s11
	s_mul_hi_u32 s15, s2, s12
	s_mul_i32 s14, s10, s12
	s_add_i32 s13, s15, s13
	s_add_i32 s13, s13, s14
	s_mul_i32 s16, s2, s12
	s_mul_hi_u32 s14, s12, s13
	s_mul_i32 s15, s12, s13
	s_mul_hi_u32 s12, s12, s16
	s_add_u32 s12, s12, s15
	s_addc_u32 s14, 0, s14
	s_mul_hi_u32 s17, s11, s16
	s_mul_i32 s16, s11, s16
	s_add_u32 s12, s12, s16
	s_mul_hi_u32 s15, s11, s13
	s_addc_u32 s12, s14, s17
	s_addc_u32 s14, s15, 0
	s_mul_i32 s13, s11, s13
	s_add_u32 s12, s12, s13
	s_addc_u32 s13, 0, s14
	v_add_co_u32_e32 v1, vcc, s12, v1
	s_cmp_lg_u64 vcc, 0
	s_addc_u32 s11, s11, s13
	v_readfirstlane_b32 s13, v1
	s_mul_i32 s12, s2, s11
	s_mul_hi_u32 s14, s2, s13
	s_add_i32 s12, s14, s12
	s_mul_i32 s10, s10, s13
	s_add_i32 s12, s12, s10
	s_mul_i32 s2, s2, s13
	s_mul_hi_u32 s14, s11, s2
	s_mul_i32 s15, s11, s2
	s_mul_i32 s17, s13, s12
	s_mul_hi_u32 s2, s13, s2
	s_mul_hi_u32 s16, s13, s12
	s_add_u32 s2, s2, s17
	s_addc_u32 s13, 0, s16
	s_add_u32 s2, s2, s15
	s_mul_hi_u32 s10, s11, s12
	s_addc_u32 s2, s13, s14
	s_addc_u32 s10, s10, 0
	s_mul_i32 s12, s11, s12
	s_add_u32 s2, s2, s12
	s_addc_u32 s10, 0, s10
	v_add_co_u32_e32 v1, vcc, s2, v1
	s_cmp_lg_u64 vcc, 0
	s_addc_u32 s12, s11, s10
	s_ashr_i32 s10, s3, 31
	s_add_u32 s2, s9, s10
	s_mov_b32 s11, s10
	s_addc_u32 s3, s3, s10
	s_xor_b64 s[2:3], s[2:3], s[10:11]
	v_readfirstlane_b32 s15, v1
	s_mul_i32 s14, s2, s12
	s_mul_hi_u32 s16, s2, s15
	s_mul_hi_u32 s13, s2, s12
	s_add_u32 s14, s16, s14
	s_addc_u32 s13, 0, s13
	s_mul_hi_u32 s17, s3, s15
	s_mul_i32 s15, s3, s15
	s_add_u32 s14, s14, s15
	s_mul_hi_u32 s16, s3, s12
	s_addc_u32 s13, s13, s17
	s_addc_u32 s14, s16, 0
	s_mul_i32 s12, s3, s12
	s_add_u32 s12, s13, s12
	s_addc_u32 s13, 0, s14
	s_add_u32 s14, s12, 1
	s_addc_u32 s15, s13, 0
	s_add_u32 s16, s12, 2
	s_mul_i32 s18, s58, s13
	s_mul_hi_u32 s19, s58, s12
	s_addc_u32 s17, s13, 0
	s_add_i32 s19, s19, s18
	s_mul_i32 s18, s58, s12
	v_mov_b32_e32 v1, s18
	v_sub_co_u32_e32 v1, vcc, s2, v1
	s_cmp_lg_u64 vcc, 0
	s_subb_u32 s2, s3, s19
	v_subrev_co_u32_e32 v4, vcc, s58, v1
	s_cmp_lg_u64 vcc, 0
	s_subb_u32 s3, s2, 0
	v_readfirstlane_b32 s18, v4
	s_cmp_ge_u32 s18, s58
	s_cselect_b32 s18, -1, 0
	s_cmp_eq_u32 s3, 0
	s_cselect_b32 s3, s18, -1
	s_cmp_lg_u32 s3, 0
	s_cselect_b32 s3, s17, s15
	v_readfirstlane_b32 s15, v1
	s_cselect_b32 s14, s16, s14
	s_cmp_ge_u32 s15, s58
	s_cselect_b32 s15, -1, 0
	s_cmp_eq_u32 s2, 0
	s_cselect_b32 s2, s15, -1
	s_cmp_lg_u32 s2, 0
	s_cselect_b32 s3, s3, s13
	s_cselect_b32 s2, s14, s12
	s_xor_b64 s[2:3], s[2:3], s[10:11]
	s_sub_u32 s2, s2, s10
	s_subb_u32 s3, s3, s10
	s_cbranch_execnz .LBB152_5
.LBB152_4:
	v_cvt_f32_u32_e32 v1, s58
	s_sub_i32 s0, 0, s58
	s_mov_b32 s3, 0
	v_rcp_iflag_f32_e32 v1, v1
	v_mul_f32_e32 v1, 0x4f7ffffe, v1
	v_cvt_u32_f32_e32 v1, v1
	v_readfirstlane_b32 s1, v1
	s_mul_i32 s0, s0, s1
	s_mul_hi_u32 s0, s1, s0
	s_add_i32 s1, s1, s0
	s_mul_hi_u32 s0, s9, s1
	s_mul_i32 s2, s0, s58
	s_sub_i32 s2, s9, s2
	s_add_i32 s1, s0, 1
	s_sub_i32 s9, s2, s58
	s_cmp_ge_u32 s2, s58
	s_cselect_b32 s0, s1, s0
	s_cselect_b32 s2, s9, s2
	s_add_i32 s1, s0, 1
	s_cmp_ge_u32 s2, s58
	s_cselect_b32 s2, s1, s0
.LBB152_5:
	v_mov_b32_e32 v1, 0
	v_mov_b32_e32 v4, s6
	v_mad_u64_u32 v[14:15], s[0:1], s8, v4, v[0:1]
	s_add_u32 s0, s2, 1
	s_addc_u32 s1, s3, 0
	s_mul_hi_u32 s2, s7, s8
	s_mul_i32 s1, s33, s1
	s_mul_hi_u32 s3, s33, s0
	s_add_i32 s1, s3, s1
	s_mul_i32 s2, s2, s0
	s_add_i32 s1, s1, s2
	s_mul_i32 s0, s33, s0
	s_lshl_b64 s[26:27], s[0:1], 2
	v_cmp_gt_i64_e32 vcc, s[26:27], v[14:15]
	s_and_saveexec_b64 s[0:1], vcc
	s_cbranch_execz .LBB152_82
; %bb.6:
	s_mov_b32 s0, 0x5384540f
	v_mov_b32_e32 v0, v13
	v_add_co_u32_e32 v22, vcc, s0, v12
	s_mov_b32 s0, 0x646e171e
	v_add_co_u32_e32 v23, vcc, s0, v0
	s_mov_b32 s0, 0x1715609d
	;; [unrolled: 2-line block ×6, first 2 shown]
	v_alignbit_b32 v29, v3, v2, 2
	s_mov_b32 s60, 0xd2511f53
	v_add_co_u32_e32 v28, vcc, s0, v12
	v_mad_u64_u32 v[4:5], s[0:1], v29, s60, 0
	v_xor_b32_e32 v1, v5, v13
	v_xor_b32_e32 v1, v1, v15
	s_mov_b32 s61, 0xcd9e8d57
	v_mad_u64_u32 v[6:7], s[0:1], v1, s61, 0
	v_xor_b32_e32 v1, v28, v7
	v_mad_u64_u32 v[8:9], s[0:1], v14, s61, 0
	v_and_b32_e32 v18, 3, v2
	v_xor_b32_e32 v1, v1, v8
	v_xor_b32_e32 v2, v12, v9
	v_lshrrev_b32_e32 v30, 2, v3
	v_mad_u64_u32 v[10:11], s[0:1], v1, s60, 0
	v_xor_b32_e32 v2, v2, v30
	v_xor_b32_e32 v1, v27, v11
	v_mad_u64_u32 v[2:3], s[0:1], v2, s60, 0
	v_xor_b32_e32 v1, v1, v2
	v_mad_u64_u32 v[8:9], s[0:1], v1, s61, 0
	s_mov_b32 s0, 0xbb67ae85
	v_add_co_u32_e32 v31, vcc, s0, v0
	v_xor_b32_e32 v2, v31, v3
	v_xor_b32_e32 v2, v2, v4
	v_xor_b32_e32 v1, v26, v9
	v_mad_u64_u32 v[2:3], s[0:1], v2, s61, 0
	v_xor_b32_e32 v1, v1, v2
	v_mad_u64_u32 v[4:5], s[0:1], v1, s60, 0
	s_mov_b32 s0, 0x3c6ef372
	v_add_co_u32_e32 v32, vcc, s0, v12
	v_xor_b32_e32 v2, v32, v3
	;; [unrolled: 8-line block ×6, first 2 shown]
	v_add_co_u32_e32 v21, vcc, 0xdb3d7428, v0
	v_xor_b32_e32 v2, v2, v6
	v_xor_b32_e32 v1, v21, v5
	v_mad_u64_u32 v[2:3], s[0:1], v2, s60, 0
	v_xor_b32_e32 v1, v1, v2
	v_mad_u64_u32 v[6:7], s[0:1], v1, s61, 0
	s_mov_b32 s0, 0x1fd5c5a3
	v_add_co_u32_e32 v37, vcc, s0, v0
	v_xor_b32_e32 v0, v37, v3
	v_xor_b32_e32 v0, v0, v10
	v_mad_u64_u32 v[0:1], s[0:1], v0, s61, 0
	s_mov_b32 s0, 0xf1bbcdc8
	s_load_dwordx8 s[8:15], s[4:5], 0x30
	v_add_co_u32_e32 v38, vcc, s0, v12
	v_xor_b32_e32 v1, v38, v1
	v_xor_b32_e32 v1, v1, v8
	s_add_u32 s34, s4, 48
	v_mad_u64_u32 v[8:9], s[0:1], v1, s60, 0
	s_addc_u32 s35, s5, 0
	s_waitcnt lgkmcnt(0)
	s_add_i32 s0, s8, -1
	s_cmp_gt_u32 s0, 1
	s_cselect_b64 s[40:41], -1, 0
	s_cmp_lg_u32 s8, 0
	s_cselect_b64 s[42:43], -1, 0
	s_add_u32 s44, s4, 0xf4
	s_addc_u32 s45, s5, 0
	s_load_dwordx2 s[46:47], s[4:5], 0xf4
	s_load_dwordx4 s[28:31], s[4:5], 0x138
	s_min_u32 s1, s0, 15
	s_cmp_gt_u32 s8, 1
	s_cselect_b64 s[48:49], -1, 0
	s_add_i32 s1, s1, 1
	s_mov_b32 s8, s13
	s_lshl_b32 s13, s33, 1
	s_and_b32 s64, s1, 3
	s_cmp_lg_u32 s0, 2
	s_waitcnt lgkmcnt(0)
	v_cvt_f32_f64_e32 v39, s[30:31]
	s_cselect_b64 s[30:31], -1, 0
	s_and_b32 s65, s1, 28
	s_mov_b32 s59, 0
	v_add_u32_e32 v19, 0x8ff34781, v12
	v_add_u32_e32 v20, 0x96a522ad, v13
	v_xor_b32_e32 v0, v7, v0
	v_xor_b32_e32 v1, v9, v4
	s_cmp_lg_u32 s64, 0
	v_xor_b32_e32 v0, v19, v0
	v_xor_b32_e32 v2, v20, v1
	v_mov_b32_e32 v1, v6
	v_mov_b32_e32 v3, v8
	s_mov_b32 s15, s59
	s_mul_i32 s62, s33, 3
	s_mov_b32 s63, s59
	s_mov_b64 s[50:51], 0
	s_cselect_b64 s[52:53], -1, 0
	v_mov_b32_e32 v40, 0x3c00
	v_mov_b32_e32 v41, v14
	;; [unrolled: 1-line block ×3, first 2 shown]
	s_branch .LBB152_9
.LBB152_7:                              ;   in Loop: Header=BB152_9 Depth=1
	v_cvt_f32_u32_e32 v0, v3
	v_mov_b32_e32 v1, 0x2f800000
	v_fmac_f32_e32 v1, 0x2f800000, v0
	v_cmp_lt_f32_e32 vcc, v1, v39
	v_cndmask_b32_e32 v0, 0, v40, vcc
	global_store_short v8, v0, s[28:29]
.LBB152_8:                              ;   in Loop: Header=BB152_9 Depth=1
	s_or_b64 exec, exec, s[36:37]
	v_add_co_u32_e32 v14, vcc, s58, v14
	v_addc_co_u32_e32 v15, vcc, 0, v15, vcc
	v_mov_b32_e32 v7, v16
	v_cmp_le_i64_e32 vcc, s[26:27], v[14:15]
	v_pk_mov_b32 v[0:1], v[4:5], v[4:5] op_sel:[0,1]
	s_or_b64 s[50:51], vcc, s[50:51]
	v_pk_mov_b32 v[2:3], v[6:7], v[6:7] op_sel:[0,1]
	s_barrier
	s_andn2_b64 exec, exec, s[50:51]
	s_cbranch_execz .LBB152_82
.LBB152_9:                              ; =>This Loop Header: Depth=1
                                        ;     Child Loop BB152_24 Depth 2
                                        ;     Child Loop BB152_30 Depth 2
	;; [unrolled: 1-line block ×8, first 2 shown]
	v_add_co_u32_e32 v29, vcc, 1, v29
	v_cndmask_b32_e64 v4, 0, 1, vcc
	v_addc_co_u32_e32 v30, vcc, 0, v30, vcc
	v_cmp_eq_u32_e32 vcc, 0, v30
	v_cndmask_b32_e32 v4, 0, v4, vcc
	v_add_u32_e32 v41, v4, v41
	v_cmp_eq_u32_e32 vcc, 0, v41
	v_cndmask_b32_e32 v4, 0, v4, vcc
	v_add_u32_e32 v42, v4, v42
	v_mad_u64_u32 v[4:5], s[0:1], v29, s60, 0
	v_mad_u64_u32 v[6:7], s[0:1], v41, s61, 0
	v_xor_b32_e32 v5, v5, v13
	v_xor_b32_e32 v7, v7, v12
	v_xor_b32_e32 v5, v42, v5
	v_xor_b32_e32 v7, v30, v7
	v_mad_u64_u32 v[10:11], s[0:1], v5, s61, 0
	v_mad_u64_u32 v[8:9], s[0:1], v7, s60, 0
	v_xor_b32_e32 v5, v28, v11
	v_xor_b32_e32 v5, v5, v6
	v_xor_b32_e32 v6, v31, v9
	v_xor_b32_e32 v6, v6, v4
	;; [unrolled: 6-line block ×10, first 2 shown]
	v_mov_b32_e32 v5, v10
	v_mov_b32_e32 v6, v11
	v_cmp_lt_i32_e32 vcc, 1, v18
	s_and_saveexec_b64 s[0:1], vcc
	s_xor_b64 s[0:1], exec, s[0:1]
	s_cbranch_execz .LBB152_15
; %bb.10:                               ;   in Loop: Header=BB152_9 Depth=1
	v_cmp_lt_i32_e32 vcc, 2, v18
	s_and_saveexec_b64 s[2:3], vcc
	s_xor_b64 s[2:3], exec, s[2:3]
; %bb.11:                               ;   in Loop: Header=BB152_9 Depth=1
	v_mov_b32_e32 v8, v3
	v_mov_b32_e32 v9, v4
	v_pk_mov_b32 v[0:1], v[8:9], v[8:9] op_sel:[0,1]
	v_pk_mov_b32 v[2:3], v[10:11], v[10:11] op_sel:[0,1]
                                        ; implicit-def: $vgpr10_vgpr11
; %bb.12:                               ;   in Loop: Header=BB152_9 Depth=1
	s_andn2_saveexec_b64 s[2:3], s[2:3]
; %bb.13:                               ;   in Loop: Header=BB152_9 Depth=1
	v_mov_b32_e32 v0, v2
	v_mov_b32_e32 v1, v3
	;; [unrolled: 1-line block ×4, first 2 shown]
; %bb.14:                               ;   in Loop: Header=BB152_9 Depth=1
	s_or_b64 exec, exec, s[2:3]
.LBB152_15:                             ;   in Loop: Header=BB152_9 Depth=1
	s_andn2_saveexec_b64 s[0:1], s[0:1]
	s_cbranch_execz .LBB152_19
; %bb.16:                               ;   in Loop: Header=BB152_9 Depth=1
	v_cmp_eq_u32_e32 vcc, 1, v18
	s_and_saveexec_b64 s[2:3], vcc
; %bb.17:                               ;   in Loop: Header=BB152_9 Depth=1
	v_mov_b32_e32 v0, v1
	v_mov_b32_e32 v1, v2
	;; [unrolled: 1-line block ×4, first 2 shown]
; %bb.18:                               ;   in Loop: Header=BB152_9 Depth=1
	s_or_b64 exec, exec, s[2:3]
.LBB152_19:                             ;   in Loop: Header=BB152_9 Depth=1
	s_or_b64 exec, exec, s[0:1]
	v_cndmask_b32_e64 v7, 0, 1, s[40:41]
	v_cmp_gt_i64_e32 vcc, s[24:25], v[14:15]
	v_cmp_ne_u32_e64 s[0:1], 1, v7
	s_and_saveexec_b64 s[2:3], vcc
	s_cbranch_execz .LBB152_35
; %bb.20:                               ;   in Loop: Header=BB152_9 Depth=1
	s_and_b64 vcc, exec, s[0:1]
	s_cbranch_vccnz .LBB152_26
; %bb.21:                               ;   in Loop: Header=BB152_9 Depth=1
	s_andn2_b64 vcc, exec, s[42:43]
	s_cbranch_vccnz .LBB152_27
; %bb.22:                               ;   in Loop: Header=BB152_9 Depth=1
	s_mov_b32 s6, 0
	s_andn2_b64 vcc, exec, s[30:31]
	v_mov_b32_e32 v8, 0
	s_cbranch_vccnz .LBB152_28
; %bb.23:                               ;   in Loop: Header=BB152_9 Depth=1
	s_mov_b32 s66, 0
	v_mov_b32_e32 v8, 0
	s_mov_b64 s[54:55], s[34:35]
	s_mov_b64 s[56:57], s[44:45]
	v_mov_b32_e32 v7, v14
.LBB152_24:                             ;   Parent Loop BB152_9 Depth=1
                                        ; =>  This Inner Loop Header: Depth=2
	s_load_dwordx8 s[16:23], s[54:55], 0x4
	s_load_dwordx4 s[4:7], s[54:55], 0x24
	s_load_dwordx4 s[36:39], s[56:57], 0x0
	s_add_u32 s54, s54, 48
	s_addc_u32 s55, s55, 0
	s_waitcnt lgkmcnt(0)
	v_mul_hi_u32 v9, s17, v7
	v_add_u32_e32 v9, v7, v9
	v_lshrrev_b32_e32 v9, s18, v9
	v_mul_lo_u32 v10, v9, s16
	v_mul_hi_u32 v11, s20, v9
	v_sub_u32_e32 v7, v7, v10
	v_add_u32_e32 v10, v9, v11
	v_lshrrev_b32_e32 v10, s21, v10
	v_mul_lo_u32 v11, v10, s19
	v_mul_hi_u32 v17, s23, v10
	v_sub_u32_e32 v9, v9, v11
	v_add_u32_e32 v11, v10, v17
	v_mul_lo_u32 v7, v7, s36
	v_mul_lo_u32 v9, v9, s37
	v_lshrrev_b32_e32 v11, s4, v11
	v_add3_u32 v8, v7, v8, v9
	v_mul_lo_u32 v7, v11, s22
	v_mul_hi_u32 v9, s6, v11
	v_sub_u32_e32 v7, v10, v7
	v_add_u32_e32 v9, v11, v9
	v_mul_lo_u32 v10, v7, s38
	v_lshrrev_b32_e32 v7, s7, v9
	s_add_i32 s66, s66, 4
	v_mul_lo_u32 v9, v7, s5
	s_add_u32 s56, s56, 16
	v_sub_u32_e32 v9, v11, v9
	s_addc_u32 s57, s57, 0
	v_mul_lo_u32 v9, v9, s39
	s_cmp_lg_u32 s65, s66
	v_add3_u32 v8, v10, v8, v9
	s_cbranch_scc1 .LBB152_24
; %bb.25:                               ;   in Loop: Header=BB152_9 Depth=1
	s_mov_b32 s6, s65
	s_andn2_b64 vcc, exec, s[52:53]
	s_cbranch_vccz .LBB152_29
	s_branch .LBB152_31
.LBB152_26:                             ;   in Loop: Header=BB152_9 Depth=1
                                        ; implicit-def: $vgpr8
	s_branch .LBB152_32
.LBB152_27:                             ;   in Loop: Header=BB152_9 Depth=1
	v_mov_b32_e32 v8, 0
	s_branch .LBB152_31
.LBB152_28:                             ;   in Loop: Header=BB152_9 Depth=1
	v_mov_b32_e32 v7, v14
	s_andn2_b64 vcc, exec, s[52:53]
	s_cbranch_vccnz .LBB152_31
.LBB152_29:                             ;   in Loop: Header=BB152_9 Depth=1
	s_lshl_b32 s4, s6, 2
	s_add_u32 s4, s44, s4
	s_addc_u32 s5, s45, 0
	s_mul_i32 s6, s6, 12
	s_add_u32 s6, s34, s6
	s_addc_u32 s7, s35, 0
	s_mov_b32 s16, s64
.LBB152_30:                             ;   Parent Loop BB152_9 Depth=1
                                        ; =>  This Inner Loop Header: Depth=2
	s_load_dwordx2 s[18:19], s[6:7], 0x4
	s_load_dword s17, s[6:7], 0xc
	s_load_dword s20, s[4:5], 0x0
	s_add_u32 s6, s6, 12
	s_addc_u32 s7, s7, 0
	s_waitcnt lgkmcnt(0)
	v_mul_hi_u32 v9, s19, v7
	v_add_u32_e32 v9, v7, v9
	v_lshrrev_b32_e32 v9, s17, v9
	s_add_u32 s4, s4, 4
	v_mul_lo_u32 v10, v9, s18
	s_addc_u32 s5, s5, 0
	s_add_i32 s16, s16, -1
	v_sub_u32_e32 v10, v7, v10
	s_cmp_lg_u32 s16, 0
	v_mov_b32_e32 v7, v9
	v_mad_u64_u32 v[8:9], s[18:19], v10, s20, v[8:9]
	s_cbranch_scc1 .LBB152_30
.LBB152_31:                             ;   in Loop: Header=BB152_9 Depth=1
	s_cbranch_execnz .LBB152_34
.LBB152_32:                             ;   in Loop: Header=BB152_9 Depth=1
	v_mul_hi_u32 v7, v14, s10
	v_add_u32_e32 v7, v7, v14
	v_lshrrev_b32_e32 v7, s11, v7
	v_mul_lo_u32 v8, v7, s9
	v_sub_u32_e32 v8, v14, v8
	s_andn2_b64 vcc, exec, s[48:49]
	v_mul_lo_u32 v8, v8, s46
	s_cbranch_vccnz .LBB152_34
; %bb.33:                               ;   in Loop: Header=BB152_9 Depth=1
	v_mul_hi_u32 v9, s8, v7
	v_add_u32_e32 v9, v7, v9
	v_lshrrev_b32_e32 v9, s14, v9
	v_mul_lo_u32 v9, v9, s12
	v_sub_u32_e32 v7, v7, v9
	v_mad_u64_u32 v[8:9], s[4:5], v7, s47, v[8:9]
.LBB152_34:                             ;   in Loop: Header=BB152_9 Depth=1
	v_cvt_f32_u32_e32 v0, v0
	v_mov_b32_e32 v7, 0x2f800000
	v_fmac_f32_e32 v7, 0x2f800000, v0
	v_cmp_lt_f32_e32 vcc, v7, v39
	v_cndmask_b32_e32 v0, 0, v40, vcc
	global_store_short v8, v0, s[28:29]
.LBB152_35:                             ;   in Loop: Header=BB152_9 Depth=1
	s_or_b64 exec, exec, s[2:3]
	v_mov_b32_e32 v0, s59
	v_add_co_u32_e32 v8, vcc, s33, v14
	v_addc_co_u32_e32 v9, vcc, v15, v0, vcc
	v_cmp_gt_i64_e32 vcc, s[24:25], v[8:9]
	s_and_saveexec_b64 s[2:3], vcc
	s_cbranch_execz .LBB152_51
; %bb.36:                               ;   in Loop: Header=BB152_9 Depth=1
	s_and_b64 vcc, exec, s[0:1]
	s_cbranch_vccnz .LBB152_42
; %bb.37:                               ;   in Loop: Header=BB152_9 Depth=1
	s_andn2_b64 vcc, exec, s[42:43]
	s_cbranch_vccnz .LBB152_43
; %bb.38:                               ;   in Loop: Header=BB152_9 Depth=1
	s_mov_b32 s6, 0
	s_andn2_b64 vcc, exec, s[30:31]
	v_mov_b32_e32 v10, 0
	s_cbranch_vccnz .LBB152_44
; %bb.39:                               ;   in Loop: Header=BB152_9 Depth=1
	s_mov_b32 s66, 0
	v_mov_b32_e32 v10, 0
	s_mov_b64 s[54:55], s[34:35]
	s_mov_b64 s[56:57], s[44:45]
	v_mov_b32_e32 v0, v8
.LBB152_40:                             ;   Parent Loop BB152_9 Depth=1
                                        ; =>  This Inner Loop Header: Depth=2
	s_load_dwordx8 s[16:23], s[54:55], 0x4
	s_load_dwordx4 s[4:7], s[54:55], 0x24
	s_load_dwordx4 s[36:39], s[56:57], 0x0
	s_add_u32 s54, s54, 48
	s_addc_u32 s55, s55, 0
	s_waitcnt lgkmcnt(0)
	v_mul_hi_u32 v7, s17, v0
	v_add_u32_e32 v7, v0, v7
	v_lshrrev_b32_e32 v7, s18, v7
	v_mul_lo_u32 v9, v7, s16
	v_mul_hi_u32 v11, s20, v7
	v_sub_u32_e32 v0, v0, v9
	v_add_u32_e32 v9, v7, v11
	v_lshrrev_b32_e32 v9, s21, v9
	v_mul_lo_u32 v11, v9, s19
	v_mul_hi_u32 v17, s23, v9
	v_sub_u32_e32 v7, v7, v11
	v_add_u32_e32 v11, v9, v17
	v_mul_lo_u32 v0, v0, s36
	v_mul_lo_u32 v7, v7, s37
	v_lshrrev_b32_e32 v11, s4, v11
	v_add3_u32 v7, v0, v10, v7
	v_mul_lo_u32 v0, v11, s22
	v_mul_hi_u32 v10, s6, v11
	v_sub_u32_e32 v0, v9, v0
	v_add_u32_e32 v9, v11, v10
	v_mul_lo_u32 v10, v0, s38
	v_lshrrev_b32_e32 v0, s7, v9
	s_add_i32 s66, s66, 4
	v_mul_lo_u32 v9, v0, s5
	s_add_u32 s56, s56, 16
	v_sub_u32_e32 v9, v11, v9
	s_addc_u32 s57, s57, 0
	v_mul_lo_u32 v9, v9, s39
	s_cmp_eq_u32 s65, s66
	v_add3_u32 v10, v10, v7, v9
	s_cbranch_scc0 .LBB152_40
; %bb.41:                               ;   in Loop: Header=BB152_9 Depth=1
	s_mov_b32 s6, s65
	s_andn2_b64 vcc, exec, s[52:53]
	s_cbranch_vccz .LBB152_45
	s_branch .LBB152_47
.LBB152_42:                             ;   in Loop: Header=BB152_9 Depth=1
                                        ; implicit-def: $vgpr10
	s_branch .LBB152_48
.LBB152_43:                             ;   in Loop: Header=BB152_9 Depth=1
	v_mov_b32_e32 v10, 0
	s_branch .LBB152_47
.LBB152_44:                             ;   in Loop: Header=BB152_9 Depth=1
	v_mov_b32_e32 v0, v8
	s_andn2_b64 vcc, exec, s[52:53]
	s_cbranch_vccnz .LBB152_47
.LBB152_45:                             ;   in Loop: Header=BB152_9 Depth=1
	s_lshl_b32 s4, s6, 2
	s_add_u32 s4, s44, s4
	s_addc_u32 s5, s45, 0
	s_mul_i32 s6, s6, 12
	s_add_u32 s6, s34, s6
	s_addc_u32 s7, s35, 0
	s_mov_b32 s16, s64
.LBB152_46:                             ;   Parent Loop BB152_9 Depth=1
                                        ; =>  This Inner Loop Header: Depth=2
	s_load_dwordx2 s[18:19], s[6:7], 0x4
	s_load_dword s17, s[6:7], 0xc
	s_load_dword s20, s[4:5], 0x0
	s_add_u32 s6, s6, 12
	s_addc_u32 s7, s7, 0
	s_waitcnt lgkmcnt(0)
	v_mul_hi_u32 v7, s19, v0
	v_add_u32_e32 v7, v0, v7
	v_lshrrev_b32_e32 v7, s17, v7
	s_add_u32 s4, s4, 4
	v_mul_lo_u32 v9, v7, s18
	s_addc_u32 s5, s5, 0
	s_add_i32 s16, s16, -1
	v_sub_u32_e32 v9, v0, v9
	s_cmp_lg_u32 s16, 0
	v_mov_b32_e32 v0, v7
	v_mad_u64_u32 v[10:11], s[18:19], v9, s20, v[10:11]
	s_cbranch_scc1 .LBB152_46
.LBB152_47:                             ;   in Loop: Header=BB152_9 Depth=1
	s_cbranch_execnz .LBB152_50
.LBB152_48:                             ;   in Loop: Header=BB152_9 Depth=1
	v_mul_hi_u32 v0, v8, s10
	v_add_u32_e32 v0, v0, v8
	v_lshrrev_b32_e32 v0, s11, v0
	v_mul_lo_u32 v7, v0, s9
	v_sub_u32_e32 v7, v8, v7
	s_andn2_b64 vcc, exec, s[48:49]
	v_mul_lo_u32 v10, v7, s46
	s_cbranch_vccnz .LBB152_50
; %bb.49:                               ;   in Loop: Header=BB152_9 Depth=1
	v_mul_hi_u32 v7, s8, v0
	v_add_u32_e32 v7, v0, v7
	v_lshrrev_b32_e32 v7, s14, v7
	v_mul_lo_u32 v7, v7, s12
	v_sub_u32_e32 v0, v0, v7
	v_mad_u64_u32 v[10:11], s[4:5], v0, s47, v[10:11]
.LBB152_50:                             ;   in Loop: Header=BB152_9 Depth=1
	v_cvt_f32_u32_e32 v0, v1
	v_mov_b32_e32 v1, 0x2f800000
	v_fmac_f32_e32 v1, 0x2f800000, v0
	v_cmp_lt_f32_e32 vcc, v1, v39
	v_cndmask_b32_e32 v0, 0, v40, vcc
	global_store_short v10, v0, s[28:29]
.LBB152_51:                             ;   in Loop: Header=BB152_9 Depth=1
	s_or_b64 exec, exec, s[2:3]
	v_mov_b32_e32 v1, s15
	v_add_co_u32_e32 v0, vcc, s13, v14
	v_addc_co_u32_e32 v1, vcc, v15, v1, vcc
	v_cmp_gt_i64_e32 vcc, s[24:25], v[0:1]
	s_and_saveexec_b64 s[2:3], vcc
	s_cbranch_execz .LBB152_67
; %bb.52:                               ;   in Loop: Header=BB152_9 Depth=1
	s_and_b64 vcc, exec, s[0:1]
	s_cbranch_vccnz .LBB152_58
; %bb.53:                               ;   in Loop: Header=BB152_9 Depth=1
	s_andn2_b64 vcc, exec, s[42:43]
	s_cbranch_vccnz .LBB152_59
; %bb.54:                               ;   in Loop: Header=BB152_9 Depth=1
	s_mov_b32 s6, 0
	s_andn2_b64 vcc, exec, s[30:31]
	v_mov_b32_e32 v8, 0
	s_cbranch_vccnz .LBB152_60
; %bb.55:                               ;   in Loop: Header=BB152_9 Depth=1
	s_mov_b32 s66, 0
	v_mov_b32_e32 v8, 0
	s_mov_b64 s[54:55], s[34:35]
	s_mov_b64 s[56:57], s[44:45]
	v_mov_b32_e32 v1, v0
.LBB152_56:                             ;   Parent Loop BB152_9 Depth=1
                                        ; =>  This Inner Loop Header: Depth=2
	s_load_dwordx8 s[16:23], s[54:55], 0x4
	s_load_dwordx4 s[4:7], s[54:55], 0x24
	s_load_dwordx4 s[36:39], s[56:57], 0x0
	s_add_u32 s54, s54, 48
	s_addc_u32 s55, s55, 0
	s_waitcnt lgkmcnt(0)
	v_mul_hi_u32 v7, s17, v1
	v_add_u32_e32 v7, v1, v7
	v_lshrrev_b32_e32 v7, s18, v7
	v_mul_lo_u32 v9, v7, s16
	v_mul_hi_u32 v10, s20, v7
	v_sub_u32_e32 v1, v1, v9
	v_add_u32_e32 v9, v7, v10
	v_lshrrev_b32_e32 v9, s21, v9
	v_mul_lo_u32 v10, v9, s19
	v_mul_hi_u32 v11, s23, v9
	v_sub_u32_e32 v7, v7, v10
	v_add_u32_e32 v10, v9, v11
	v_mul_lo_u32 v1, v1, s36
	v_mul_lo_u32 v7, v7, s37
	v_lshrrev_b32_e32 v10, s4, v10
	v_add3_u32 v7, v1, v8, v7
	v_mul_lo_u32 v1, v10, s22
	v_mul_hi_u32 v8, s6, v10
	v_sub_u32_e32 v1, v9, v1
	v_add_u32_e32 v8, v10, v8
	v_mul_lo_u32 v9, v1, s38
	v_lshrrev_b32_e32 v1, s7, v8
	s_add_i32 s66, s66, 4
	v_mul_lo_u32 v8, v1, s5
	s_add_u32 s56, s56, 16
	v_sub_u32_e32 v8, v10, v8
	s_addc_u32 s57, s57, 0
	v_mul_lo_u32 v8, v8, s39
	s_cmp_eq_u32 s65, s66
	v_add3_u32 v8, v9, v7, v8
	s_cbranch_scc0 .LBB152_56
; %bb.57:                               ;   in Loop: Header=BB152_9 Depth=1
	s_mov_b32 s6, s65
	s_andn2_b64 vcc, exec, s[52:53]
	s_cbranch_vccz .LBB152_61
	s_branch .LBB152_63
.LBB152_58:                             ;   in Loop: Header=BB152_9 Depth=1
                                        ; implicit-def: $vgpr8
	s_branch .LBB152_64
.LBB152_59:                             ;   in Loop: Header=BB152_9 Depth=1
	v_mov_b32_e32 v8, 0
	s_branch .LBB152_63
.LBB152_60:                             ;   in Loop: Header=BB152_9 Depth=1
	v_mov_b32_e32 v1, v0
	s_andn2_b64 vcc, exec, s[52:53]
	s_cbranch_vccnz .LBB152_63
.LBB152_61:                             ;   in Loop: Header=BB152_9 Depth=1
	s_lshl_b32 s4, s6, 2
	s_add_u32 s4, s44, s4
	s_addc_u32 s5, s45, 0
	s_mul_i32 s6, s6, 12
	s_add_u32 s6, s34, s6
	s_addc_u32 s7, s35, 0
	s_mov_b32 s16, s64
.LBB152_62:                             ;   Parent Loop BB152_9 Depth=1
                                        ; =>  This Inner Loop Header: Depth=2
	s_load_dwordx2 s[18:19], s[6:7], 0x4
	s_load_dword s17, s[6:7], 0xc
	s_load_dword s20, s[4:5], 0x0
	s_add_u32 s6, s6, 12
	s_addc_u32 s7, s7, 0
	s_waitcnt lgkmcnt(0)
	v_mul_hi_u32 v7, s19, v1
	v_add_u32_e32 v7, v1, v7
	v_lshrrev_b32_e32 v7, s17, v7
	s_add_u32 s4, s4, 4
	v_mul_lo_u32 v9, v7, s18
	s_addc_u32 s5, s5, 0
	s_add_i32 s16, s16, -1
	v_sub_u32_e32 v9, v1, v9
	s_cmp_lg_u32 s16, 0
	v_mov_b32_e32 v1, v7
	v_mad_u64_u32 v[8:9], s[18:19], v9, s20, v[8:9]
	s_cbranch_scc1 .LBB152_62
.LBB152_63:                             ;   in Loop: Header=BB152_9 Depth=1
	s_cbranch_execnz .LBB152_66
.LBB152_64:                             ;   in Loop: Header=BB152_9 Depth=1
	v_mul_hi_u32 v1, v0, s10
	v_add_u32_e32 v1, v1, v0
	v_lshrrev_b32_e32 v1, s11, v1
	v_mul_lo_u32 v7, v1, s9
	v_sub_u32_e32 v0, v0, v7
	s_andn2_b64 vcc, exec, s[48:49]
	v_mul_lo_u32 v8, v0, s46
	s_cbranch_vccnz .LBB152_66
; %bb.65:                               ;   in Loop: Header=BB152_9 Depth=1
	v_mul_hi_u32 v0, s8, v1
	v_add_u32_e32 v0, v1, v0
	v_lshrrev_b32_e32 v0, s14, v0
	v_mul_lo_u32 v0, v0, s12
	v_sub_u32_e32 v0, v1, v0
	v_mad_u64_u32 v[8:9], s[4:5], v0, s47, v[8:9]
.LBB152_66:                             ;   in Loop: Header=BB152_9 Depth=1
	v_cvt_f32_u32_e32 v0, v2
	v_mov_b32_e32 v1, 0x2f800000
	v_fmac_f32_e32 v1, 0x2f800000, v0
	v_cmp_lt_f32_e32 vcc, v1, v39
	v_cndmask_b32_e32 v0, 0, v40, vcc
	global_store_short v8, v0, s[28:29]
.LBB152_67:                             ;   in Loop: Header=BB152_9 Depth=1
	s_or_b64 exec, exec, s[2:3]
	v_mov_b32_e32 v1, s63
	v_add_co_u32_e32 v0, vcc, s62, v14
	v_addc_co_u32_e32 v1, vcc, v15, v1, vcc
	v_cmp_gt_i64_e32 vcc, s[24:25], v[0:1]
	s_and_saveexec_b64 s[36:37], vcc
	s_cbranch_execz .LBB152_8
; %bb.68:                               ;   in Loop: Header=BB152_9 Depth=1
	s_and_b64 vcc, exec, s[0:1]
	s_cbranch_vccnz .LBB152_74
; %bb.69:                               ;   in Loop: Header=BB152_9 Depth=1
	s_andn2_b64 vcc, exec, s[42:43]
	s_cbranch_vccnz .LBB152_75
; %bb.70:                               ;   in Loop: Header=BB152_9 Depth=1
	s_mov_b32 s2, 0
	s_andn2_b64 vcc, exec, s[30:31]
	v_mov_b32_e32 v8, 0
	s_cbranch_vccnz .LBB152_76
; %bb.71:                               ;   in Loop: Header=BB152_9 Depth=1
	s_mov_b32 s56, 0
	v_mov_b32_e32 v8, 0
	s_mov_b64 s[38:39], s[34:35]
	s_mov_b64 s[54:55], s[44:45]
	v_mov_b32_e32 v1, v0
.LBB152_72:                             ;   Parent Loop BB152_9 Depth=1
                                        ; =>  This Inner Loop Header: Depth=2
	s_load_dwordx8 s[0:7], s[38:39], 0x4
	s_load_dwordx4 s[16:19], s[38:39], 0x24
	s_load_dwordx4 s[20:23], s[54:55], 0x0
	s_add_u32 s38, s38, 48
	s_addc_u32 s39, s39, 0
	s_waitcnt lgkmcnt(0)
	v_mul_hi_u32 v2, s1, v1
	v_add_u32_e32 v2, v1, v2
	v_lshrrev_b32_e32 v2, s2, v2
	v_mul_lo_u32 v7, v2, s0
	v_mul_hi_u32 v9, s4, v2
	v_sub_u32_e32 v1, v1, v7
	v_add_u32_e32 v7, v2, v9
	v_lshrrev_b32_e32 v7, s5, v7
	v_mul_lo_u32 v9, v7, s3
	v_mul_hi_u32 v10, s7, v7
	v_sub_u32_e32 v2, v2, v9
	v_add_u32_e32 v9, v7, v10
	v_mul_lo_u32 v1, v1, s20
	v_mul_lo_u32 v2, v2, s21
	v_lshrrev_b32_e32 v9, s16, v9
	v_add3_u32 v2, v1, v8, v2
	v_mul_lo_u32 v1, v9, s6
	v_mul_hi_u32 v8, s18, v9
	v_sub_u32_e32 v1, v7, v1
	v_add_u32_e32 v7, v9, v8
	v_mul_lo_u32 v8, v1, s22
	v_lshrrev_b32_e32 v1, s19, v7
	s_add_i32 s56, s56, 4
	v_mul_lo_u32 v7, v1, s17
	s_add_u32 s54, s54, 16
	v_sub_u32_e32 v7, v9, v7
	s_addc_u32 s55, s55, 0
	v_mul_lo_u32 v7, v7, s23
	s_cmp_eq_u32 s65, s56
	v_add3_u32 v8, v8, v2, v7
	s_cbranch_scc0 .LBB152_72
; %bb.73:                               ;   in Loop: Header=BB152_9 Depth=1
	s_mov_b32 s2, s65
	s_andn2_b64 vcc, exec, s[52:53]
	s_cbranch_vccz .LBB152_77
	s_branch .LBB152_79
.LBB152_74:                             ;   in Loop: Header=BB152_9 Depth=1
                                        ; implicit-def: $vgpr8
	s_branch .LBB152_80
.LBB152_75:                             ;   in Loop: Header=BB152_9 Depth=1
	v_mov_b32_e32 v8, 0
	s_branch .LBB152_79
.LBB152_76:                             ;   in Loop: Header=BB152_9 Depth=1
	v_mov_b32_e32 v1, v0
	s_andn2_b64 vcc, exec, s[52:53]
	s_cbranch_vccnz .LBB152_79
.LBB152_77:                             ;   in Loop: Header=BB152_9 Depth=1
	s_lshl_b32 s0, s2, 2
	s_add_u32 s0, s44, s0
	s_addc_u32 s1, s45, 0
	s_mul_i32 s2, s2, 12
	s_add_u32 s2, s34, s2
	s_addc_u32 s3, s35, 0
	s_mov_b32 s4, s64
.LBB152_78:                             ;   Parent Loop BB152_9 Depth=1
                                        ; =>  This Inner Loop Header: Depth=2
	s_load_dwordx2 s[6:7], s[2:3], 0x4
	s_load_dword s5, s[2:3], 0xc
	s_load_dword s16, s[0:1], 0x0
	s_add_u32 s2, s2, 12
	s_addc_u32 s3, s3, 0
	s_waitcnt lgkmcnt(0)
	v_mul_hi_u32 v2, s7, v1
	v_add_u32_e32 v2, v1, v2
	v_lshrrev_b32_e32 v2, s5, v2
	s_add_u32 s0, s0, 4
	v_mul_lo_u32 v7, v2, s6
	s_addc_u32 s1, s1, 0
	s_add_i32 s4, s4, -1
	v_sub_u32_e32 v7, v1, v7
	s_cmp_lg_u32 s4, 0
	v_mov_b32_e32 v1, v2
	v_mad_u64_u32 v[8:9], s[6:7], v7, s16, v[8:9]
	s_cbranch_scc1 .LBB152_78
.LBB152_79:                             ;   in Loop: Header=BB152_9 Depth=1
	s_cbranch_execnz .LBB152_7
.LBB152_80:                             ;   in Loop: Header=BB152_9 Depth=1
	v_mul_hi_u32 v1, v0, s10
	v_add_u32_e32 v1, v1, v0
	v_lshrrev_b32_e32 v1, s11, v1
	v_mul_lo_u32 v2, v1, s9
	v_sub_u32_e32 v0, v0, v2
	s_andn2_b64 vcc, exec, s[48:49]
	v_mul_lo_u32 v8, v0, s46
	s_cbranch_vccnz .LBB152_7
; %bb.81:                               ;   in Loop: Header=BB152_9 Depth=1
	v_mul_hi_u32 v0, s8, v1
	v_add_u32_e32 v0, v1, v0
	v_lshrrev_b32_e32 v0, s14, v0
	v_mul_lo_u32 v0, v0, s12
	v_sub_u32_e32 v0, v1, v0
	v_mad_u64_u32 v[8:9], s[0:1], v0, s47, v[8:9]
	s_branch .LBB152_7
.LBB152_82:
	s_endpgm
.LBB152_83:
                                        ; implicit-def: $sgpr2_sgpr3
	s_andn2_b64 vcc, exec, s[0:1]
	s_cbranch_vccz .LBB152_4
	s_branch .LBB152_5
	.section	.rodata,"a",@progbits
	.p2align	6, 0x0
	.amdhsa_kernel _ZN2at6native12_GLOBAL__N_143distribution_elementwise_grid_stride_kernelIfLi4EZNS0_9templates4cuda21uniform_and_transformIN3c104HalfEfPNS_17CUDAGeneratorImplEZZZNS4_16bernoulli_kernelIS9_EEvRNS_18TensorIteratorBaseEdT_ENKUlvE_clEvENKUlvE6_clEvEUlfE_EEvSC_T1_T2_EUlP25hiprandStatePhilox4_32_10E0_ZNS1_27distribution_nullary_kernelIS7_f15HIP_vector_typeIfLj4EES9_SL_SG_EEvSC_SI_RKT3_T4_EUlifE0_EEvlNS_15PhiloxCudaStateESH_SI_
		.amdhsa_group_segment_fixed_size 0
		.amdhsa_private_segment_fixed_size 0
		.amdhsa_kernarg_size 584
		.amdhsa_user_sgpr_count 6
		.amdhsa_user_sgpr_private_segment_buffer 1
		.amdhsa_user_sgpr_dispatch_ptr 0
		.amdhsa_user_sgpr_queue_ptr 0
		.amdhsa_user_sgpr_kernarg_segment_ptr 1
		.amdhsa_user_sgpr_dispatch_id 0
		.amdhsa_user_sgpr_flat_scratch_init 0
		.amdhsa_user_sgpr_kernarg_preload_length 0
		.amdhsa_user_sgpr_kernarg_preload_offset 0
		.amdhsa_user_sgpr_private_segment_size 0
		.amdhsa_uses_dynamic_stack 0
		.amdhsa_system_sgpr_private_segment_wavefront_offset 0
		.amdhsa_system_sgpr_workgroup_id_x 1
		.amdhsa_system_sgpr_workgroup_id_y 0
		.amdhsa_system_sgpr_workgroup_id_z 0
		.amdhsa_system_sgpr_workgroup_info 0
		.amdhsa_system_vgpr_workitem_id 0
		.amdhsa_next_free_vgpr 43
		.amdhsa_next_free_sgpr 67
		.amdhsa_accum_offset 44
		.amdhsa_reserve_vcc 1
		.amdhsa_reserve_flat_scratch 0
		.amdhsa_float_round_mode_32 0
		.amdhsa_float_round_mode_16_64 0
		.amdhsa_float_denorm_mode_32 3
		.amdhsa_float_denorm_mode_16_64 3
		.amdhsa_dx10_clamp 1
		.amdhsa_ieee_mode 1
		.amdhsa_fp16_overflow 0
		.amdhsa_tg_split 0
		.amdhsa_exception_fp_ieee_invalid_op 0
		.amdhsa_exception_fp_denorm_src 0
		.amdhsa_exception_fp_ieee_div_zero 0
		.amdhsa_exception_fp_ieee_overflow 0
		.amdhsa_exception_fp_ieee_underflow 0
		.amdhsa_exception_fp_ieee_inexact 0
		.amdhsa_exception_int_div_zero 0
	.end_amdhsa_kernel
	.section	.text._ZN2at6native12_GLOBAL__N_143distribution_elementwise_grid_stride_kernelIfLi4EZNS0_9templates4cuda21uniform_and_transformIN3c104HalfEfPNS_17CUDAGeneratorImplEZZZNS4_16bernoulli_kernelIS9_EEvRNS_18TensorIteratorBaseEdT_ENKUlvE_clEvENKUlvE6_clEvEUlfE_EEvSC_T1_T2_EUlP25hiprandStatePhilox4_32_10E0_ZNS1_27distribution_nullary_kernelIS7_f15HIP_vector_typeIfLj4EES9_SL_SG_EEvSC_SI_RKT3_T4_EUlifE0_EEvlNS_15PhiloxCudaStateESH_SI_,"axG",@progbits,_ZN2at6native12_GLOBAL__N_143distribution_elementwise_grid_stride_kernelIfLi4EZNS0_9templates4cuda21uniform_and_transformIN3c104HalfEfPNS_17CUDAGeneratorImplEZZZNS4_16bernoulli_kernelIS9_EEvRNS_18TensorIteratorBaseEdT_ENKUlvE_clEvENKUlvE6_clEvEUlfE_EEvSC_T1_T2_EUlP25hiprandStatePhilox4_32_10E0_ZNS1_27distribution_nullary_kernelIS7_f15HIP_vector_typeIfLj4EES9_SL_SG_EEvSC_SI_RKT3_T4_EUlifE0_EEvlNS_15PhiloxCudaStateESH_SI_,comdat
.Lfunc_end152:
	.size	_ZN2at6native12_GLOBAL__N_143distribution_elementwise_grid_stride_kernelIfLi4EZNS0_9templates4cuda21uniform_and_transformIN3c104HalfEfPNS_17CUDAGeneratorImplEZZZNS4_16bernoulli_kernelIS9_EEvRNS_18TensorIteratorBaseEdT_ENKUlvE_clEvENKUlvE6_clEvEUlfE_EEvSC_T1_T2_EUlP25hiprandStatePhilox4_32_10E0_ZNS1_27distribution_nullary_kernelIS7_f15HIP_vector_typeIfLj4EES9_SL_SG_EEvSC_SI_RKT3_T4_EUlifE0_EEvlNS_15PhiloxCudaStateESH_SI_, .Lfunc_end152-_ZN2at6native12_GLOBAL__N_143distribution_elementwise_grid_stride_kernelIfLi4EZNS0_9templates4cuda21uniform_and_transformIN3c104HalfEfPNS_17CUDAGeneratorImplEZZZNS4_16bernoulli_kernelIS9_EEvRNS_18TensorIteratorBaseEdT_ENKUlvE_clEvENKUlvE6_clEvEUlfE_EEvSC_T1_T2_EUlP25hiprandStatePhilox4_32_10E0_ZNS1_27distribution_nullary_kernelIS7_f15HIP_vector_typeIfLj4EES9_SL_SG_EEvSC_SI_RKT3_T4_EUlifE0_EEvlNS_15PhiloxCudaStateESH_SI_
                                        ; -- End function
	.section	.AMDGPU.csdata,"",@progbits
; Kernel info:
; codeLenInByte = 4424
; NumSgprs: 71
; NumVgprs: 43
; NumAgprs: 0
; TotalNumVgprs: 43
; ScratchSize: 0
; MemoryBound: 0
; FloatMode: 240
; IeeeMode: 1
; LDSByteSize: 0 bytes/workgroup (compile time only)
; SGPRBlocks: 8
; VGPRBlocks: 5
; NumSGPRsForWavesPerEU: 71
; NumVGPRsForWavesPerEU: 43
; AccumOffset: 44
; Occupancy: 8
; WaveLimiterHint : 1
; COMPUTE_PGM_RSRC2:SCRATCH_EN: 0
; COMPUTE_PGM_RSRC2:USER_SGPR: 6
; COMPUTE_PGM_RSRC2:TRAP_HANDLER: 0
; COMPUTE_PGM_RSRC2:TGID_X_EN: 1
; COMPUTE_PGM_RSRC2:TGID_Y_EN: 0
; COMPUTE_PGM_RSRC2:TGID_Z_EN: 0
; COMPUTE_PGM_RSRC2:TIDIG_COMP_CNT: 0
; COMPUTE_PGM_RSRC3_GFX90A:ACCUM_OFFSET: 10
; COMPUTE_PGM_RSRC3_GFX90A:TG_SPLIT: 0
	.section	.text._ZN2at6native12_GLOBAL__N_143distribution_elementwise_grid_stride_kernelIfLi4EZNS0_9templates4cuda21uniform_and_transformIN3c108BFloat16EfPNS_17CUDAGeneratorImplEZZZNS4_16bernoulli_kernelIS9_EEvRNS_18TensorIteratorBaseEdT_ENKUlvE_clEvENKUlvE7_clEvEUlfE_EEvSC_T1_T2_EUlP25hiprandStatePhilox4_32_10E_ZNS1_27distribution_nullary_kernelIS7_f15HIP_vector_typeIdLj2EES9_SL_SG_EEvSC_SI_RKT3_T4_EUlifE_EEvlNS_15PhiloxCudaStateESH_SI_,"axG",@progbits,_ZN2at6native12_GLOBAL__N_143distribution_elementwise_grid_stride_kernelIfLi4EZNS0_9templates4cuda21uniform_and_transformIN3c108BFloat16EfPNS_17CUDAGeneratorImplEZZZNS4_16bernoulli_kernelIS9_EEvRNS_18TensorIteratorBaseEdT_ENKUlvE_clEvENKUlvE7_clEvEUlfE_EEvSC_T1_T2_EUlP25hiprandStatePhilox4_32_10E_ZNS1_27distribution_nullary_kernelIS7_f15HIP_vector_typeIdLj2EES9_SL_SG_EEvSC_SI_RKT3_T4_EUlifE_EEvlNS_15PhiloxCudaStateESH_SI_,comdat
	.globl	_ZN2at6native12_GLOBAL__N_143distribution_elementwise_grid_stride_kernelIfLi4EZNS0_9templates4cuda21uniform_and_transformIN3c108BFloat16EfPNS_17CUDAGeneratorImplEZZZNS4_16bernoulli_kernelIS9_EEvRNS_18TensorIteratorBaseEdT_ENKUlvE_clEvENKUlvE7_clEvEUlfE_EEvSC_T1_T2_EUlP25hiprandStatePhilox4_32_10E_ZNS1_27distribution_nullary_kernelIS7_f15HIP_vector_typeIdLj2EES9_SL_SG_EEvSC_SI_RKT3_T4_EUlifE_EEvlNS_15PhiloxCudaStateESH_SI_ ; -- Begin function _ZN2at6native12_GLOBAL__N_143distribution_elementwise_grid_stride_kernelIfLi4EZNS0_9templates4cuda21uniform_and_transformIN3c108BFloat16EfPNS_17CUDAGeneratorImplEZZZNS4_16bernoulli_kernelIS9_EEvRNS_18TensorIteratorBaseEdT_ENKUlvE_clEvENKUlvE7_clEvEUlfE_EEvSC_T1_T2_EUlP25hiprandStatePhilox4_32_10E_ZNS1_27distribution_nullary_kernelIS7_f15HIP_vector_typeIdLj2EES9_SL_SG_EEvSC_SI_RKT3_T4_EUlifE_EEvlNS_15PhiloxCudaStateESH_SI_
	.p2align	8
	.type	_ZN2at6native12_GLOBAL__N_143distribution_elementwise_grid_stride_kernelIfLi4EZNS0_9templates4cuda21uniform_and_transformIN3c108BFloat16EfPNS_17CUDAGeneratorImplEZZZNS4_16bernoulli_kernelIS9_EEvRNS_18TensorIteratorBaseEdT_ENKUlvE_clEvENKUlvE7_clEvEUlfE_EEvSC_T1_T2_EUlP25hiprandStatePhilox4_32_10E_ZNS1_27distribution_nullary_kernelIS7_f15HIP_vector_typeIdLj2EES9_SL_SG_EEvSC_SI_RKT3_T4_EUlifE_EEvlNS_15PhiloxCudaStateESH_SI_,@function
_ZN2at6native12_GLOBAL__N_143distribution_elementwise_grid_stride_kernelIfLi4EZNS0_9templates4cuda21uniform_and_transformIN3c108BFloat16EfPNS_17CUDAGeneratorImplEZZZNS4_16bernoulli_kernelIS9_EEvRNS_18TensorIteratorBaseEdT_ENKUlvE_clEvENKUlvE7_clEvEUlfE_EEvSC_T1_T2_EUlP25hiprandStatePhilox4_32_10E_ZNS1_27distribution_nullary_kernelIS7_f15HIP_vector_typeIdLj2EES9_SL_SG_EEvSC_SI_RKT3_T4_EUlifE_EEvlNS_15PhiloxCudaStateESH_SI_: ; @_ZN2at6native12_GLOBAL__N_143distribution_elementwise_grid_stride_kernelIfLi4EZNS0_9templates4cuda21uniform_and_transformIN3c108BFloat16EfPNS_17CUDAGeneratorImplEZZZNS4_16bernoulli_kernelIS9_EEvRNS_18TensorIteratorBaseEdT_ENKUlvE_clEvENKUlvE7_clEvEUlfE_EEvSC_T1_T2_EUlP25hiprandStatePhilox4_32_10E_ZNS1_27distribution_nullary_kernelIS7_f15HIP_vector_typeIdLj2EES9_SL_SG_EEvSC_SI_RKT3_T4_EUlifE_EEvlNS_15PhiloxCudaStateESH_SI_
; %bb.0:
	s_load_dword s7, s[4:5], 0x20
	s_load_dwordx2 s[10:11], s[4:5], 0x10
	s_load_dwordx4 s[0:3], s[4:5], 0x0
	s_mov_b32 s8, 0
	s_waitcnt lgkmcnt(0)
	s_bitcmp0_b32 s7, 0
	v_pk_mov_b32 v[2:3], s[10:11], s[10:11] op_sel:[0,1]
	v_pk_mov_b32 v[14:15], s[2:3], s[2:3] op_sel:[0,1]
	s_cbranch_scc1 .LBB153_2
; %bb.1:
	v_pk_mov_b32 v[2:3], s[10:11], s[10:11] op_sel:[0,1]
	flat_load_dwordx2 v[2:3], v[2:3]
	v_pk_mov_b32 v[4:5], s[2:3], s[2:3] op_sel:[0,1]
	flat_load_dwordx2 v[14:15], v[4:5]
	s_load_dwordx2 s[2:3], s[4:5], 0x18
	s_waitcnt lgkmcnt(0)
	v_mov_b32_e32 v1, s3
	s_waitcnt vmcnt(0)
	v_add_co_u32_e32 v2, vcc, s2, v2
	v_addc_co_u32_e32 v3, vcc, v3, v1, vcc
.LBB153_2:
	s_load_dword s2, s[4:5], 0x54
	s_load_dword s17, s[4:5], 0x48
	s_waitcnt lgkmcnt(0)
	s_and_b32 s7, s2, 0xffff
	s_add_u32 s10, s0, -1
	s_mul_i32 s12, s17, s7
	s_addc_u32 s9, s1, -1
	s_lshl_b32 s13, s12, 2
	s_cmp_lg_u64 s[8:9], 0
	s_mov_b64 s[2:3], -1
	s_cbranch_scc0 .LBB153_23
; %bb.3:
	v_cvt_f32_u32_e32 v1, s13
	v_cvt_f32_ubyte0_e32 v4, 0
	s_sub_u32 s8, 0, s13
	s_subb_u32 s11, 0, 0
	v_madmk_f32 v1, v4, 0x4f800000, v1
	v_rcp_f32_e32 v1, v1
	v_mul_f32_e32 v1, 0x5f7ffffc, v1
	v_mul_f32_e32 v4, 0x2f800000, v1
	v_trunc_f32_e32 v4, v4
	v_madmk_f32 v1, v4, 0xcf800000, v1
	v_cvt_u32_f32_e32 v4, v4
	v_cvt_u32_f32_e32 v1, v1
	v_readfirstlane_b32 s14, v4
	v_readfirstlane_b32 s15, v1
	s_mul_i32 s16, s8, s14
	s_mul_hi_u32 s19, s8, s15
	s_mul_i32 s18, s11, s15
	s_add_i32 s16, s19, s16
	s_add_i32 s16, s16, s18
	s_mul_i32 s20, s8, s15
	s_mul_hi_u32 s18, s15, s16
	s_mul_i32 s19, s15, s16
	s_mul_hi_u32 s15, s15, s20
	s_add_u32 s15, s15, s19
	s_addc_u32 s18, 0, s18
	s_mul_hi_u32 s21, s14, s20
	s_mul_i32 s20, s14, s20
	s_add_u32 s15, s15, s20
	s_mul_hi_u32 s19, s14, s16
	s_addc_u32 s15, s18, s21
	s_addc_u32 s18, s19, 0
	s_mul_i32 s16, s14, s16
	s_add_u32 s15, s15, s16
	s_addc_u32 s16, 0, s18
	v_add_co_u32_e32 v1, vcc, s15, v1
	s_cmp_lg_u64 vcc, 0
	s_addc_u32 s14, s14, s16
	v_readfirstlane_b32 s16, v1
	s_mul_i32 s15, s8, s14
	s_mul_hi_u32 s18, s8, s16
	s_add_i32 s15, s18, s15
	s_mul_i32 s11, s11, s16
	s_add_i32 s15, s15, s11
	s_mul_i32 s8, s8, s16
	s_mul_hi_u32 s18, s14, s8
	s_mul_i32 s19, s14, s8
	s_mul_i32 s21, s16, s15
	s_mul_hi_u32 s8, s16, s8
	s_mul_hi_u32 s20, s16, s15
	s_add_u32 s8, s8, s21
	s_addc_u32 s16, 0, s20
	s_add_u32 s8, s8, s19
	s_mul_hi_u32 s11, s14, s15
	s_addc_u32 s8, s16, s18
	s_addc_u32 s11, s11, 0
	s_mul_i32 s15, s14, s15
	s_add_u32 s8, s8, s15
	s_addc_u32 s11, 0, s11
	v_add_co_u32_e32 v1, vcc, s8, v1
	s_cmp_lg_u64 vcc, 0
	s_addc_u32 s11, s14, s11
	s_ashr_i32 s14, s9, 31
	s_add_u32 s8, s10, s14
	s_mov_b32 s15, s14
	s_addc_u32 s9, s9, s14
	s_xor_b64 s[8:9], s[8:9], s[14:15]
	v_readfirstlane_b32 s19, v1
	s_mul_i32 s18, s8, s11
	s_mul_hi_u32 s20, s8, s19
	s_mul_hi_u32 s16, s8, s11
	s_add_u32 s18, s20, s18
	s_addc_u32 s16, 0, s16
	s_mul_hi_u32 s21, s9, s19
	s_mul_i32 s19, s9, s19
	s_add_u32 s18, s18, s19
	s_mul_hi_u32 s20, s9, s11
	s_addc_u32 s16, s16, s21
	s_addc_u32 s18, s20, 0
	s_mul_i32 s11, s9, s11
	s_add_u32 s11, s16, s11
	s_addc_u32 s16, 0, s18
	s_add_u32 s18, s11, 1
	s_addc_u32 s19, s16, 0
	s_add_u32 s20, s11, 2
	s_mul_i32 s22, s13, s16
	s_mul_hi_u32 s23, s13, s11
	s_addc_u32 s21, s16, 0
	s_add_i32 s23, s23, s22
	s_mul_i32 s22, s13, s11
	v_mov_b32_e32 v1, s22
	v_sub_co_u32_e32 v1, vcc, s8, v1
	s_cmp_lg_u64 vcc, 0
	s_subb_u32 s8, s9, s23
	v_subrev_co_u32_e32 v4, vcc, s13, v1
	s_cmp_lg_u64 vcc, 0
	s_subb_u32 s9, s8, 0
	v_readfirstlane_b32 s22, v4
	s_cmp_ge_u32 s22, s13
	s_cselect_b32 s22, -1, 0
	s_cmp_eq_u32 s9, 0
	s_cselect_b32 s9, s22, -1
	s_cmp_lg_u32 s9, 0
	s_cselect_b32 s9, s21, s19
	v_readfirstlane_b32 s19, v1
	s_cselect_b32 s18, s20, s18
	s_cmp_ge_u32 s19, s13
	s_cselect_b32 s19, -1, 0
	s_cmp_eq_u32 s8, 0
	s_cselect_b32 s8, s19, -1
	s_cmp_lg_u32 s8, 0
	s_cselect_b32 s9, s9, s16
	s_cselect_b32 s8, s18, s11
	s_xor_b64 s[8:9], s[8:9], s[14:15]
	s_sub_u32 s8, s8, s14
	s_subb_u32 s9, s9, s14
	s_cbranch_execnz .LBB153_5
.LBB153_4:
	v_cvt_f32_u32_e32 v1, s13
	s_sub_i32 s2, 0, s13
	s_mov_b32 s9, 0
	v_rcp_iflag_f32_e32 v1, v1
	v_mul_f32_e32 v1, 0x4f7ffffe, v1
	v_cvt_u32_f32_e32 v1, v1
	v_readfirstlane_b32 s3, v1
	s_mul_i32 s2, s2, s3
	s_mul_hi_u32 s2, s3, s2
	s_add_i32 s3, s3, s2
	s_mul_hi_u32 s2, s10, s3
	s_mul_i32 s8, s2, s13
	s_sub_i32 s8, s10, s8
	s_add_i32 s3, s2, 1
	s_sub_i32 s10, s8, s13
	s_cmp_ge_u32 s8, s13
	s_cselect_b32 s2, s3, s2
	s_cselect_b32 s8, s10, s8
	s_add_i32 s3, s2, 1
	s_cmp_ge_u32 s8, s13
	s_cselect_b32 s8, s3, s2
.LBB153_5:
	v_mov_b32_e32 v1, 0
	v_mov_b32_e32 v4, s6
	v_mad_u64_u32 v[16:17], s[2:3], s7, v4, v[0:1]
	s_add_u32 s2, s8, 1
	s_addc_u32 s3, s9, 0
	s_mul_hi_u32 s8, s17, s7
	s_mul_i32 s3, s12, s3
	s_mul_hi_u32 s9, s12, s2
	s_add_i32 s3, s9, s3
	s_mul_i32 s8, s8, s2
	s_add_i32 s3, s3, s8
	s_mul_i32 s2, s12, s2
	s_lshl_b64 s[2:3], s[2:3], 2
	v_cmp_gt_i64_e32 vcc, s[2:3], v[16:17]
	s_and_saveexec_b64 s[8:9], vcc
	s_cbranch_execz .LBB153_22
; %bb.6:
	s_load_dwordx2 s[8:9], s[4:5], 0x30
	s_load_dword s19, s[4:5], 0x38
	s_load_dwordx2 s[10:11], s[4:5], 0x40
	s_mov_b32 s4, 0x5384540f
	v_mov_b32_e32 v4, v15
	v_add_co_u32_e32 v22, vcc, s4, v14
	s_mov_b32 s4, 0x646e171e
	v_add_co_u32_e32 v23, vcc, s4, v4
	s_mov_b32 s4, 0x1715609d
	;; [unrolled: 2-line block ×6, first 2 shown]
	v_alignbit_b32 v29, v3, v2, 2
	s_mov_b32 s15, 0xd2511f53
	v_add_co_u32_e32 v28, vcc, s4, v14
	v_mad_u64_u32 v[6:7], s[4:5], v29, s15, 0
	v_xor_b32_e32 v1, v7, v15
	v_xor_b32_e32 v1, v1, v17
	s_mov_b32 s16, 0xcd9e8d57
	v_mad_u64_u32 v[8:9], s[4:5], v1, s16, 0
	v_xor_b32_e32 v1, v28, v9
	v_mad_u64_u32 v[10:11], s[4:5], v16, s16, 0
	v_and_b32_e32 v18, 3, v2
	v_xor_b32_e32 v1, v1, v10
	v_xor_b32_e32 v2, v14, v11
	v_lshrrev_b32_e32 v30, 2, v3
	v_mad_u64_u32 v[12:13], s[4:5], v1, s15, 0
	v_xor_b32_e32 v2, v2, v30
	v_xor_b32_e32 v1, v27, v13
	v_mad_u64_u32 v[2:3], s[4:5], v2, s15, 0
	v_xor_b32_e32 v1, v1, v2
	v_mad_u64_u32 v[10:11], s[4:5], v1, s16, 0
	s_mov_b32 s4, 0xbb67ae85
	v_add_co_u32_e32 v31, vcc, s4, v4
	v_xor_b32_e32 v2, v31, v3
	v_xor_b32_e32 v2, v2, v6
	v_xor_b32_e32 v1, v26, v11
	v_mad_u64_u32 v[2:3], s[4:5], v2, s16, 0
	v_xor_b32_e32 v1, v1, v2
	v_mad_u64_u32 v[6:7], s[4:5], v1, s15, 0
	s_mov_b32 s4, 0x3c6ef372
	v_add_co_u32_e32 v32, vcc, s4, v14
	v_xor_b32_e32 v2, v32, v3
	;; [unrolled: 8-line block ×6, first 2 shown]
	v_add_co_u32_e32 v21, vcc, 0xdb3d7428, v4
	v_xor_b32_e32 v2, v2, v8
	v_xor_b32_e32 v1, v21, v7
	v_mad_u64_u32 v[2:3], s[4:5], v2, s15, 0
	v_xor_b32_e32 v1, v1, v2
	v_mad_u64_u32 v[8:9], s[4:5], v1, s16, 0
	s_mov_b32 s4, 0x1fd5c5a3
	v_add_co_u32_e32 v37, vcc, s4, v4
	v_xor_b32_e32 v1, v37, v3
	v_xor_b32_e32 v1, v1, v12
	v_mad_u64_u32 v[2:3], s[4:5], v1, s16, 0
	s_mov_b32 s4, 0xf1bbcdc8
	v_add_u32_e32 v19, 0x8ff34781, v14
	v_xor_b32_e32 v1, v9, v2
	v_add_co_u32_e32 v38, vcc, s4, v14
	v_xor_b32_e32 v2, v19, v1
	v_xor_b32_e32 v1, v38, v3
	;; [unrolled: 1-line block ×3, first 2 shown]
	v_mad_u64_u32 v[10:11], s[4:5], v1, s15, 0
	v_add_u32_e32 v20, 0x96a522ad, v15
	v_xor_b32_e32 v1, v11, v6
	s_mul_i32 s4, s6, s7
	v_xor_b32_e32 v4, v20, v1
	v_add_u32_e32 v1, s4, v0
	s_waitcnt lgkmcnt(0)
	s_mul_i32 s4, s17, s19
	s_mul_i32 s4, s4, s7
	s_lshl_b32 s18, s4, 2
	s_add_i32 s4, s6, s17
	s_mul_i32 s4, s4, s7
	s_mov_b32 s14, 0
	v_add_u32_e32 v0, s4, v0
	v_mov_b32_e32 v3, v8
	v_mov_b32_e32 v5, v10
	v_cvt_f32_f64_e32 v39, s[10:11]
	v_mul_lo_u32 v40, s19, v1
	v_mul_lo_u32 v41, s19, v0
	s_mov_b64 s[4:5], 0
	s_mov_b32 s17, s14
	v_mov_b32_e32 v42, v16
	v_mov_b32_e32 v43, v17
	s_branch .LBB153_8
.LBB153_7:                              ;   in Loop: Header=BB153_8 Depth=1
	s_or_b64 exec, exec, s[6:7]
	v_add_co_u32_e32 v16, vcc, s13, v16
	v_addc_co_u32_e32 v17, vcc, 0, v17, vcc
	v_mov_b32_e32 v9, v0
	s_add_i32 s17, s17, s18
	v_cmp_le_i64_e32 vcc, s[2:3], v[16:17]
	v_pk_mov_b32 v[2:3], v[6:7], v[6:7] op_sel:[0,1]
	s_or_b64 s[4:5], vcc, s[4:5]
	v_pk_mov_b32 v[4:5], v[8:9], v[8:9] op_sel:[0,1]
	s_barrier
	s_andn2_b64 exec, exec, s[4:5]
	s_cbranch_execz .LBB153_22
.LBB153_8:                              ; =>This Inner Loop Header: Depth=1
	v_add_co_u32_e32 v29, vcc, 1, v29
	v_cndmask_b32_e64 v0, 0, 1, vcc
	v_addc_co_u32_e32 v30, vcc, 0, v30, vcc
	v_cmp_eq_u32_e32 vcc, 0, v30
	v_cndmask_b32_e32 v0, 0, v0, vcc
	v_add_u32_e32 v42, v0, v42
	v_cmp_eq_u32_e32 vcc, 0, v42
	v_cndmask_b32_e32 v0, 0, v0, vcc
	v_add_u32_e32 v43, v0, v43
	v_mad_u64_u32 v[0:1], s[6:7], v29, s15, 0
	v_mad_u64_u32 v[6:7], s[6:7], v42, s16, 0
	v_xor_b32_e32 v1, v1, v15
	v_xor_b32_e32 v7, v7, v14
	v_xor_b32_e32 v1, v43, v1
	v_xor_b32_e32 v7, v30, v7
	v_mad_u64_u32 v[10:11], s[6:7], v1, s16, 0
	v_mad_u64_u32 v[8:9], s[6:7], v7, s15, 0
	v_xor_b32_e32 v1, v28, v11
	v_xor_b32_e32 v1, v1, v6
	v_xor_b32_e32 v6, v31, v9
	v_xor_b32_e32 v6, v6, v0
	;; [unrolled: 6-line block ×10, first 2 shown]
	v_mov_b32_e32 v7, v12
	v_mov_b32_e32 v8, v13
	v_cmp_lt_i32_e32 vcc, 1, v18
	s_and_saveexec_b64 s[6:7], vcc
	s_xor_b64 s[6:7], exec, s[6:7]
	s_cbranch_execnz .LBB153_14
; %bb.9:                                ;   in Loop: Header=BB153_8 Depth=1
	s_andn2_saveexec_b64 s[6:7], s[6:7]
	s_cbranch_execnz .LBB153_19
.LBB153_10:                             ;   in Loop: Header=BB153_8 Depth=1
	s_or_b64 exec, exec, s[6:7]
	v_cmp_gt_i64_e32 vcc, s[0:1], v[16:17]
	s_and_saveexec_b64 s[6:7], vcc
	s_cbranch_execz .LBB153_12
.LBB153_11:                             ;   in Loop: Header=BB153_8 Depth=1
	v_lshrrev_b32_e32 v1, 11, v3
	v_cvt_f64_u32_e32 v[10:11], v1
	v_ldexp_f64 v[10:11], v[10:11], 32
	v_cvt_f64_u32_e32 v[2:3], v2
	v_add_f64 v[2:3], v[10:11], v[2:3]
	v_mov_b32_e32 v10, 0
	v_mov_b32_e32 v11, 0x3ca00000
	v_fmac_f64_e32 v[10:11], 0x3ca00000, v[2:3]
	v_add_u32_e32 v2, s17, v40
	v_ashrrev_i32_e32 v3, 31, v2
	v_mov_b32_e32 v9, s9
	v_add_co_u32_e32 v2, vcc, s8, v2
	v_cvt_f32_f64_e32 v1, v[10:11]
	v_addc_co_u32_e32 v3, vcc, v9, v3, vcc
	v_cmp_gt_f32_e32 vcc, v39, v1
	v_cndmask_b32_e64 v1, 0, 1.0, vcc
	global_store_short_d16_hi v[2:3], v1, off
.LBB153_12:                             ;   in Loop: Header=BB153_8 Depth=1
	s_or_b64 exec, exec, s[6:7]
	v_mov_b32_e32 v1, s14
	v_add_co_u32_e32 v2, vcc, s12, v16
	v_addc_co_u32_e32 v3, vcc, v1, v17, vcc
	v_cmp_gt_i64_e32 vcc, s[0:1], v[2:3]
	s_and_saveexec_b64 s[6:7], vcc
	s_cbranch_execz .LBB153_7
; %bb.13:                               ;   in Loop: Header=BB153_8 Depth=1
	v_lshrrev_b32_e32 v1, 11, v5
	v_cvt_f64_u32_e32 v[2:3], v1
	v_ldexp_f64 v[2:3], v[2:3], 32
	v_cvt_f64_u32_e32 v[4:5], v4
	v_add_f64 v[2:3], v[2:3], v[4:5]
	v_mov_b32_e32 v4, 0
	v_mov_b32_e32 v5, 0x3ca00000
	v_fmac_f64_e32 v[4:5], 0x3ca00000, v[2:3]
	v_add_u32_e32 v2, s17, v41
	v_cvt_f32_f64_e32 v1, v[4:5]
	v_ashrrev_i32_e32 v3, 31, v2
	v_mov_b32_e32 v4, s9
	v_add_co_u32_e32 v2, vcc, s8, v2
	v_addc_co_u32_e32 v3, vcc, v4, v3, vcc
	v_cmp_gt_f32_e32 vcc, v39, v1
	v_cndmask_b32_e64 v1, 0, 1.0, vcc
	global_store_short_d16_hi v[2:3], v1, off
	s_branch .LBB153_7
.LBB153_14:                             ;   in Loop: Header=BB153_8 Depth=1
	v_cmp_lt_i32_e32 vcc, 2, v18
	s_and_saveexec_b64 s[10:11], vcc
	s_xor_b64 s[10:11], exec, s[10:11]
; %bb.15:                               ;   in Loop: Header=BB153_8 Depth=1
	v_mov_b32_e32 v10, v5
	v_mov_b32_e32 v11, v6
	v_pk_mov_b32 v[2:3], v[10:11], v[10:11] op_sel:[0,1]
	v_pk_mov_b32 v[4:5], v[12:13], v[12:13] op_sel:[0,1]
                                        ; implicit-def: $vgpr12_vgpr13
; %bb.16:                               ;   in Loop: Header=BB153_8 Depth=1
	s_andn2_saveexec_b64 s[10:11], s[10:11]
; %bb.17:                               ;   in Loop: Header=BB153_8 Depth=1
	v_mov_b32_e32 v2, v4
	v_mov_b32_e32 v3, v5
	v_mov_b32_e32 v4, v6
	v_mov_b32_e32 v5, v12
; %bb.18:                               ;   in Loop: Header=BB153_8 Depth=1
	s_or_b64 exec, exec, s[10:11]
	s_andn2_saveexec_b64 s[6:7], s[6:7]
	s_cbranch_execz .LBB153_10
.LBB153_19:                             ;   in Loop: Header=BB153_8 Depth=1
	v_cmp_eq_u32_e32 vcc, 1, v18
	s_and_saveexec_b64 s[10:11], vcc
; %bb.20:                               ;   in Loop: Header=BB153_8 Depth=1
	v_mov_b32_e32 v2, v3
	v_mov_b32_e32 v3, v4
	;; [unrolled: 1-line block ×4, first 2 shown]
; %bb.21:                               ;   in Loop: Header=BB153_8 Depth=1
	s_or_b64 exec, exec, s[10:11]
	s_or_b64 exec, exec, s[6:7]
	v_cmp_gt_i64_e32 vcc, s[0:1], v[16:17]
	s_and_saveexec_b64 s[6:7], vcc
	s_cbranch_execnz .LBB153_11
	s_branch .LBB153_12
.LBB153_22:
	s_endpgm
.LBB153_23:
                                        ; implicit-def: $sgpr8_sgpr9
	s_andn2_b64 vcc, exec, s[2:3]
	s_cbranch_vccz .LBB153_4
	s_branch .LBB153_5
	.section	.rodata,"a",@progbits
	.p2align	6, 0x0
	.amdhsa_kernel _ZN2at6native12_GLOBAL__N_143distribution_elementwise_grid_stride_kernelIfLi4EZNS0_9templates4cuda21uniform_and_transformIN3c108BFloat16EfPNS_17CUDAGeneratorImplEZZZNS4_16bernoulli_kernelIS9_EEvRNS_18TensorIteratorBaseEdT_ENKUlvE_clEvENKUlvE7_clEvEUlfE_EEvSC_T1_T2_EUlP25hiprandStatePhilox4_32_10E_ZNS1_27distribution_nullary_kernelIS7_f15HIP_vector_typeIdLj2EES9_SL_SG_EEvSC_SI_RKT3_T4_EUlifE_EEvlNS_15PhiloxCudaStateESH_SI_
		.amdhsa_group_segment_fixed_size 0
		.amdhsa_private_segment_fixed_size 0
		.amdhsa_kernarg_size 328
		.amdhsa_user_sgpr_count 6
		.amdhsa_user_sgpr_private_segment_buffer 1
		.amdhsa_user_sgpr_dispatch_ptr 0
		.amdhsa_user_sgpr_queue_ptr 0
		.amdhsa_user_sgpr_kernarg_segment_ptr 1
		.amdhsa_user_sgpr_dispatch_id 0
		.amdhsa_user_sgpr_flat_scratch_init 0
		.amdhsa_user_sgpr_kernarg_preload_length 0
		.amdhsa_user_sgpr_kernarg_preload_offset 0
		.amdhsa_user_sgpr_private_segment_size 0
		.amdhsa_uses_dynamic_stack 0
		.amdhsa_system_sgpr_private_segment_wavefront_offset 0
		.amdhsa_system_sgpr_workgroup_id_x 1
		.amdhsa_system_sgpr_workgroup_id_y 0
		.amdhsa_system_sgpr_workgroup_id_z 0
		.amdhsa_system_sgpr_workgroup_info 0
		.amdhsa_system_vgpr_workitem_id 0
		.amdhsa_next_free_vgpr 46
		.amdhsa_next_free_sgpr 24
		.amdhsa_accum_offset 48
		.amdhsa_reserve_vcc 1
		.amdhsa_reserve_flat_scratch 0
		.amdhsa_float_round_mode_32 0
		.amdhsa_float_round_mode_16_64 0
		.amdhsa_float_denorm_mode_32 3
		.amdhsa_float_denorm_mode_16_64 3
		.amdhsa_dx10_clamp 1
		.amdhsa_ieee_mode 1
		.amdhsa_fp16_overflow 0
		.amdhsa_tg_split 0
		.amdhsa_exception_fp_ieee_invalid_op 0
		.amdhsa_exception_fp_denorm_src 0
		.amdhsa_exception_fp_ieee_div_zero 0
		.amdhsa_exception_fp_ieee_overflow 0
		.amdhsa_exception_fp_ieee_underflow 0
		.amdhsa_exception_fp_ieee_inexact 0
		.amdhsa_exception_int_div_zero 0
	.end_amdhsa_kernel
	.section	.text._ZN2at6native12_GLOBAL__N_143distribution_elementwise_grid_stride_kernelIfLi4EZNS0_9templates4cuda21uniform_and_transformIN3c108BFloat16EfPNS_17CUDAGeneratorImplEZZZNS4_16bernoulli_kernelIS9_EEvRNS_18TensorIteratorBaseEdT_ENKUlvE_clEvENKUlvE7_clEvEUlfE_EEvSC_T1_T2_EUlP25hiprandStatePhilox4_32_10E_ZNS1_27distribution_nullary_kernelIS7_f15HIP_vector_typeIdLj2EES9_SL_SG_EEvSC_SI_RKT3_T4_EUlifE_EEvlNS_15PhiloxCudaStateESH_SI_,"axG",@progbits,_ZN2at6native12_GLOBAL__N_143distribution_elementwise_grid_stride_kernelIfLi4EZNS0_9templates4cuda21uniform_and_transformIN3c108BFloat16EfPNS_17CUDAGeneratorImplEZZZNS4_16bernoulli_kernelIS9_EEvRNS_18TensorIteratorBaseEdT_ENKUlvE_clEvENKUlvE7_clEvEUlfE_EEvSC_T1_T2_EUlP25hiprandStatePhilox4_32_10E_ZNS1_27distribution_nullary_kernelIS7_f15HIP_vector_typeIdLj2EES9_SL_SG_EEvSC_SI_RKT3_T4_EUlifE_EEvlNS_15PhiloxCudaStateESH_SI_,comdat
.Lfunc_end153:
	.size	_ZN2at6native12_GLOBAL__N_143distribution_elementwise_grid_stride_kernelIfLi4EZNS0_9templates4cuda21uniform_and_transformIN3c108BFloat16EfPNS_17CUDAGeneratorImplEZZZNS4_16bernoulli_kernelIS9_EEvRNS_18TensorIteratorBaseEdT_ENKUlvE_clEvENKUlvE7_clEvEUlfE_EEvSC_T1_T2_EUlP25hiprandStatePhilox4_32_10E_ZNS1_27distribution_nullary_kernelIS7_f15HIP_vector_typeIdLj2EES9_SL_SG_EEvSC_SI_RKT3_T4_EUlifE_EEvlNS_15PhiloxCudaStateESH_SI_, .Lfunc_end153-_ZN2at6native12_GLOBAL__N_143distribution_elementwise_grid_stride_kernelIfLi4EZNS0_9templates4cuda21uniform_and_transformIN3c108BFloat16EfPNS_17CUDAGeneratorImplEZZZNS4_16bernoulli_kernelIS9_EEvRNS_18TensorIteratorBaseEdT_ENKUlvE_clEvENKUlvE7_clEvEUlfE_EEvSC_T1_T2_EUlP25hiprandStatePhilox4_32_10E_ZNS1_27distribution_nullary_kernelIS7_f15HIP_vector_typeIdLj2EES9_SL_SG_EEvSC_SI_RKT3_T4_EUlifE_EEvlNS_15PhiloxCudaStateESH_SI_
                                        ; -- End function
	.section	.AMDGPU.csdata,"",@progbits
; Kernel info:
; codeLenInByte = 2300
; NumSgprs: 28
; NumVgprs: 46
; NumAgprs: 0
; TotalNumVgprs: 46
; ScratchSize: 0
; MemoryBound: 0
; FloatMode: 240
; IeeeMode: 1
; LDSByteSize: 0 bytes/workgroup (compile time only)
; SGPRBlocks: 3
; VGPRBlocks: 5
; NumSGPRsForWavesPerEU: 28
; NumVGPRsForWavesPerEU: 46
; AccumOffset: 48
; Occupancy: 8
; WaveLimiterHint : 0
; COMPUTE_PGM_RSRC2:SCRATCH_EN: 0
; COMPUTE_PGM_RSRC2:USER_SGPR: 6
; COMPUTE_PGM_RSRC2:TRAP_HANDLER: 0
; COMPUTE_PGM_RSRC2:TGID_X_EN: 1
; COMPUTE_PGM_RSRC2:TGID_Y_EN: 0
; COMPUTE_PGM_RSRC2:TGID_Z_EN: 0
; COMPUTE_PGM_RSRC2:TIDIG_COMP_CNT: 0
; COMPUTE_PGM_RSRC3_GFX90A:ACCUM_OFFSET: 11
; COMPUTE_PGM_RSRC3_GFX90A:TG_SPLIT: 0
	.section	.text._ZN2at6native12_GLOBAL__N_143distribution_elementwise_grid_stride_kernelIfLi4EZNS0_9templates4cuda21uniform_and_transformIN3c108BFloat16EfPNS_17CUDAGeneratorImplEZZZNS4_16bernoulli_kernelIS9_EEvRNS_18TensorIteratorBaseEdT_ENKUlvE_clEvENKUlvE7_clEvEUlfE_EEvSC_T1_T2_EUlP25hiprandStatePhilox4_32_10E_ZNS1_27distribution_nullary_kernelIS7_f15HIP_vector_typeIdLj2EES9_SL_SG_EEvSC_SI_RKT3_T4_EUlifE0_EEvlNS_15PhiloxCudaStateESH_SI_,"axG",@progbits,_ZN2at6native12_GLOBAL__N_143distribution_elementwise_grid_stride_kernelIfLi4EZNS0_9templates4cuda21uniform_and_transformIN3c108BFloat16EfPNS_17CUDAGeneratorImplEZZZNS4_16bernoulli_kernelIS9_EEvRNS_18TensorIteratorBaseEdT_ENKUlvE_clEvENKUlvE7_clEvEUlfE_EEvSC_T1_T2_EUlP25hiprandStatePhilox4_32_10E_ZNS1_27distribution_nullary_kernelIS7_f15HIP_vector_typeIdLj2EES9_SL_SG_EEvSC_SI_RKT3_T4_EUlifE0_EEvlNS_15PhiloxCudaStateESH_SI_,comdat
	.globl	_ZN2at6native12_GLOBAL__N_143distribution_elementwise_grid_stride_kernelIfLi4EZNS0_9templates4cuda21uniform_and_transformIN3c108BFloat16EfPNS_17CUDAGeneratorImplEZZZNS4_16bernoulli_kernelIS9_EEvRNS_18TensorIteratorBaseEdT_ENKUlvE_clEvENKUlvE7_clEvEUlfE_EEvSC_T1_T2_EUlP25hiprandStatePhilox4_32_10E_ZNS1_27distribution_nullary_kernelIS7_f15HIP_vector_typeIdLj2EES9_SL_SG_EEvSC_SI_RKT3_T4_EUlifE0_EEvlNS_15PhiloxCudaStateESH_SI_ ; -- Begin function _ZN2at6native12_GLOBAL__N_143distribution_elementwise_grid_stride_kernelIfLi4EZNS0_9templates4cuda21uniform_and_transformIN3c108BFloat16EfPNS_17CUDAGeneratorImplEZZZNS4_16bernoulli_kernelIS9_EEvRNS_18TensorIteratorBaseEdT_ENKUlvE_clEvENKUlvE7_clEvEUlfE_EEvSC_T1_T2_EUlP25hiprandStatePhilox4_32_10E_ZNS1_27distribution_nullary_kernelIS7_f15HIP_vector_typeIdLj2EES9_SL_SG_EEvSC_SI_RKT3_T4_EUlifE0_EEvlNS_15PhiloxCudaStateESH_SI_
	.p2align	8
	.type	_ZN2at6native12_GLOBAL__N_143distribution_elementwise_grid_stride_kernelIfLi4EZNS0_9templates4cuda21uniform_and_transformIN3c108BFloat16EfPNS_17CUDAGeneratorImplEZZZNS4_16bernoulli_kernelIS9_EEvRNS_18TensorIteratorBaseEdT_ENKUlvE_clEvENKUlvE7_clEvEUlfE_EEvSC_T1_T2_EUlP25hiprandStatePhilox4_32_10E_ZNS1_27distribution_nullary_kernelIS7_f15HIP_vector_typeIdLj2EES9_SL_SG_EEvSC_SI_RKT3_T4_EUlifE0_EEvlNS_15PhiloxCudaStateESH_SI_,@function
_ZN2at6native12_GLOBAL__N_143distribution_elementwise_grid_stride_kernelIfLi4EZNS0_9templates4cuda21uniform_and_transformIN3c108BFloat16EfPNS_17CUDAGeneratorImplEZZZNS4_16bernoulli_kernelIS9_EEvRNS_18TensorIteratorBaseEdT_ENKUlvE_clEvENKUlvE7_clEvEUlfE_EEvSC_T1_T2_EUlP25hiprandStatePhilox4_32_10E_ZNS1_27distribution_nullary_kernelIS7_f15HIP_vector_typeIdLj2EES9_SL_SG_EEvSC_SI_RKT3_T4_EUlifE0_EEvlNS_15PhiloxCudaStateESH_SI_: ; @_ZN2at6native12_GLOBAL__N_143distribution_elementwise_grid_stride_kernelIfLi4EZNS0_9templates4cuda21uniform_and_transformIN3c108BFloat16EfPNS_17CUDAGeneratorImplEZZZNS4_16bernoulli_kernelIS9_EEvRNS_18TensorIteratorBaseEdT_ENKUlvE_clEvENKUlvE7_clEvEUlfE_EEvSC_T1_T2_EUlP25hiprandStatePhilox4_32_10E_ZNS1_27distribution_nullary_kernelIS7_f15HIP_vector_typeIdLj2EES9_SL_SG_EEvSC_SI_RKT3_T4_EUlifE0_EEvlNS_15PhiloxCudaStateESH_SI_
; %bb.0:
	s_load_dword s2, s[4:5], 0x20
	s_load_dwordx2 s[0:1], s[4:5], 0x10
	s_load_dwordx4 s[24:27], s[4:5], 0x0
	s_waitcnt lgkmcnt(0)
	s_bitcmp0_b32 s2, 0
	s_mov_b32 s2, 0
	v_pk_mov_b32 v[2:3], s[0:1], s[0:1] op_sel:[0,1]
	v_pk_mov_b32 v[12:13], s[26:27], s[26:27] op_sel:[0,1]
	s_cbranch_scc1 .LBB154_2
; %bb.1:
	v_pk_mov_b32 v[2:3], s[0:1], s[0:1] op_sel:[0,1]
	flat_load_dwordx2 v[2:3], v[2:3]
	v_pk_mov_b32 v[4:5], s[26:27], s[26:27] op_sel:[0,1]
	flat_load_dwordx2 v[12:13], v[4:5]
	s_load_dwordx2 s[0:1], s[4:5], 0x18
	s_waitcnt lgkmcnt(0)
	v_mov_b32_e32 v1, s1
	s_waitcnt vmcnt(0)
	v_add_co_u32_e32 v2, vcc, s0, v2
	v_addc_co_u32_e32 v3, vcc, v3, v1, vcc
.LBB154_2:
	s_load_dword s0, s[4:5], 0x154
	s_load_dword s7, s[4:5], 0x148
	s_waitcnt lgkmcnt(0)
	s_and_b32 s8, s0, 0xffff
	s_add_u32 s9, s24, -1
	s_mul_i32 s33, s7, s8
	s_addc_u32 s3, s25, -1
	s_lshl_b32 s58, s33, 2
	s_cmp_lg_u64 s[2:3], 0
	s_mov_b64 s[0:1], -1
	s_cbranch_scc0 .LBB154_51
; %bb.3:
	v_cvt_f32_u32_e32 v1, s58
	v_cvt_f32_ubyte0_e32 v4, 0
	s_sub_u32 s2, 0, s58
	s_subb_u32 s10, 0, 0
	v_madmk_f32 v1, v4, 0x4f800000, v1
	v_rcp_f32_e32 v1, v1
	v_mul_f32_e32 v1, 0x5f7ffffc, v1
	v_mul_f32_e32 v4, 0x2f800000, v1
	v_trunc_f32_e32 v4, v4
	v_madmk_f32 v1, v4, 0xcf800000, v1
	v_cvt_u32_f32_e32 v4, v4
	v_cvt_u32_f32_e32 v1, v1
	v_readfirstlane_b32 s11, v4
	v_readfirstlane_b32 s12, v1
	s_mul_i32 s13, s2, s11
	s_mul_hi_u32 s15, s2, s12
	s_mul_i32 s14, s10, s12
	s_add_i32 s13, s15, s13
	s_add_i32 s13, s13, s14
	s_mul_i32 s16, s2, s12
	s_mul_hi_u32 s14, s12, s13
	s_mul_i32 s15, s12, s13
	s_mul_hi_u32 s12, s12, s16
	s_add_u32 s12, s12, s15
	s_addc_u32 s14, 0, s14
	s_mul_hi_u32 s17, s11, s16
	s_mul_i32 s16, s11, s16
	s_add_u32 s12, s12, s16
	s_mul_hi_u32 s15, s11, s13
	s_addc_u32 s12, s14, s17
	s_addc_u32 s14, s15, 0
	s_mul_i32 s13, s11, s13
	s_add_u32 s12, s12, s13
	s_addc_u32 s13, 0, s14
	v_add_co_u32_e32 v1, vcc, s12, v1
	s_cmp_lg_u64 vcc, 0
	s_addc_u32 s11, s11, s13
	v_readfirstlane_b32 s13, v1
	s_mul_i32 s12, s2, s11
	s_mul_hi_u32 s14, s2, s13
	s_add_i32 s12, s14, s12
	s_mul_i32 s10, s10, s13
	s_add_i32 s12, s12, s10
	s_mul_i32 s2, s2, s13
	s_mul_hi_u32 s14, s11, s2
	s_mul_i32 s15, s11, s2
	s_mul_i32 s17, s13, s12
	s_mul_hi_u32 s2, s13, s2
	s_mul_hi_u32 s16, s13, s12
	s_add_u32 s2, s2, s17
	s_addc_u32 s13, 0, s16
	s_add_u32 s2, s2, s15
	s_mul_hi_u32 s10, s11, s12
	s_addc_u32 s2, s13, s14
	s_addc_u32 s10, s10, 0
	s_mul_i32 s12, s11, s12
	s_add_u32 s2, s2, s12
	s_addc_u32 s10, 0, s10
	v_add_co_u32_e32 v1, vcc, s2, v1
	s_cmp_lg_u64 vcc, 0
	s_addc_u32 s12, s11, s10
	s_ashr_i32 s10, s3, 31
	s_add_u32 s2, s9, s10
	s_mov_b32 s11, s10
	s_addc_u32 s3, s3, s10
	s_xor_b64 s[2:3], s[2:3], s[10:11]
	v_readfirstlane_b32 s15, v1
	s_mul_i32 s14, s2, s12
	s_mul_hi_u32 s16, s2, s15
	s_mul_hi_u32 s13, s2, s12
	s_add_u32 s14, s16, s14
	s_addc_u32 s13, 0, s13
	s_mul_hi_u32 s17, s3, s15
	s_mul_i32 s15, s3, s15
	s_add_u32 s14, s14, s15
	s_mul_hi_u32 s16, s3, s12
	s_addc_u32 s13, s13, s17
	s_addc_u32 s14, s16, 0
	s_mul_i32 s12, s3, s12
	s_add_u32 s12, s13, s12
	s_addc_u32 s13, 0, s14
	s_add_u32 s14, s12, 1
	s_addc_u32 s15, s13, 0
	s_add_u32 s16, s12, 2
	s_mul_i32 s18, s58, s13
	s_mul_hi_u32 s19, s58, s12
	s_addc_u32 s17, s13, 0
	s_add_i32 s19, s19, s18
	s_mul_i32 s18, s58, s12
	v_mov_b32_e32 v1, s18
	v_sub_co_u32_e32 v1, vcc, s2, v1
	s_cmp_lg_u64 vcc, 0
	s_subb_u32 s2, s3, s19
	v_subrev_co_u32_e32 v4, vcc, s58, v1
	s_cmp_lg_u64 vcc, 0
	s_subb_u32 s3, s2, 0
	v_readfirstlane_b32 s18, v4
	s_cmp_ge_u32 s18, s58
	s_cselect_b32 s18, -1, 0
	s_cmp_eq_u32 s3, 0
	s_cselect_b32 s3, s18, -1
	s_cmp_lg_u32 s3, 0
	s_cselect_b32 s3, s17, s15
	v_readfirstlane_b32 s15, v1
	s_cselect_b32 s14, s16, s14
	s_cmp_ge_u32 s15, s58
	s_cselect_b32 s15, -1, 0
	s_cmp_eq_u32 s2, 0
	s_cselect_b32 s2, s15, -1
	s_cmp_lg_u32 s2, 0
	s_cselect_b32 s3, s3, s13
	s_cselect_b32 s2, s14, s12
	s_xor_b64 s[2:3], s[2:3], s[10:11]
	s_sub_u32 s2, s2, s10
	s_subb_u32 s3, s3, s10
	s_cbranch_execnz .LBB154_5
.LBB154_4:
	v_cvt_f32_u32_e32 v1, s58
	s_sub_i32 s0, 0, s58
	s_mov_b32 s3, 0
	v_rcp_iflag_f32_e32 v1, v1
	v_mul_f32_e32 v1, 0x4f7ffffe, v1
	v_cvt_u32_f32_e32 v1, v1
	v_readfirstlane_b32 s1, v1
	s_mul_i32 s0, s0, s1
	s_mul_hi_u32 s0, s1, s0
	s_add_i32 s1, s1, s0
	s_mul_hi_u32 s0, s9, s1
	s_mul_i32 s2, s0, s58
	s_sub_i32 s2, s9, s2
	s_add_i32 s1, s0, 1
	s_sub_i32 s9, s2, s58
	s_cmp_ge_u32 s2, s58
	s_cselect_b32 s0, s1, s0
	s_cselect_b32 s2, s9, s2
	s_add_i32 s1, s0, 1
	s_cmp_ge_u32 s2, s58
	s_cselect_b32 s2, s1, s0
.LBB154_5:
	v_mov_b32_e32 v1, 0
	v_mov_b32_e32 v4, s6
	v_mad_u64_u32 v[14:15], s[0:1], s8, v4, v[0:1]
	s_add_u32 s0, s2, 1
	s_addc_u32 s1, s3, 0
	s_mul_hi_u32 s2, s7, s8
	s_mul_i32 s1, s33, s1
	s_mul_hi_u32 s3, s33, s0
	s_add_i32 s1, s3, s1
	s_mul_i32 s2, s2, s0
	s_add_i32 s1, s1, s2
	s_mul_i32 s0, s33, s0
	s_lshl_b64 s[26:27], s[0:1], 2
	v_cmp_gt_i64_e32 vcc, s[26:27], v[14:15]
	s_and_saveexec_b64 s[0:1], vcc
	s_cbranch_execz .LBB154_50
; %bb.6:
	s_mov_b32 s0, 0x5384540f
	v_mov_b32_e32 v0, v13
	v_add_co_u32_e32 v22, vcc, s0, v12
	s_mov_b32 s0, 0x646e171e
	v_add_co_u32_e32 v23, vcc, s0, v0
	s_mov_b32 s0, 0x1715609d
	;; [unrolled: 2-line block ×6, first 2 shown]
	v_alignbit_b32 v29, v3, v2, 2
	s_mov_b32 s60, 0xd2511f53
	v_add_co_u32_e32 v28, vcc, s0, v12
	v_mad_u64_u32 v[4:5], s[0:1], v29, s60, 0
	v_xor_b32_e32 v1, v5, v13
	v_xor_b32_e32 v1, v1, v15
	s_mov_b32 s61, 0xcd9e8d57
	v_mad_u64_u32 v[6:7], s[0:1], v1, s61, 0
	v_xor_b32_e32 v1, v28, v7
	v_mad_u64_u32 v[8:9], s[0:1], v14, s61, 0
	v_and_b32_e32 v18, 3, v2
	v_xor_b32_e32 v1, v1, v8
	v_xor_b32_e32 v2, v12, v9
	v_lshrrev_b32_e32 v30, 2, v3
	v_mad_u64_u32 v[10:11], s[0:1], v1, s60, 0
	v_xor_b32_e32 v2, v2, v30
	v_xor_b32_e32 v1, v27, v11
	v_mad_u64_u32 v[2:3], s[0:1], v2, s60, 0
	v_xor_b32_e32 v1, v1, v2
	v_mad_u64_u32 v[8:9], s[0:1], v1, s61, 0
	s_mov_b32 s0, 0xbb67ae85
	v_add_co_u32_e32 v31, vcc, s0, v0
	v_xor_b32_e32 v2, v31, v3
	v_xor_b32_e32 v2, v2, v4
	v_xor_b32_e32 v1, v26, v9
	v_mad_u64_u32 v[2:3], s[0:1], v2, s61, 0
	v_xor_b32_e32 v1, v1, v2
	v_mad_u64_u32 v[4:5], s[0:1], v1, s60, 0
	s_mov_b32 s0, 0x3c6ef372
	v_add_co_u32_e32 v32, vcc, s0, v12
	v_xor_b32_e32 v2, v32, v3
	;; [unrolled: 8-line block ×6, first 2 shown]
	v_add_co_u32_e32 v21, vcc, 0xdb3d7428, v0
	v_xor_b32_e32 v2, v2, v6
	v_xor_b32_e32 v1, v21, v5
	v_mad_u64_u32 v[2:3], s[0:1], v2, s60, 0
	v_xor_b32_e32 v1, v1, v2
	v_mad_u64_u32 v[6:7], s[0:1], v1, s61, 0
	s_mov_b32 s0, 0x1fd5c5a3
	v_add_co_u32_e32 v37, vcc, s0, v0
	v_xor_b32_e32 v0, v37, v3
	v_xor_b32_e32 v0, v0, v10
	v_mad_u64_u32 v[0:1], s[0:1], v0, s61, 0
	s_mov_b32 s0, 0xf1bbcdc8
	s_load_dwordx8 s[8:15], s[4:5], 0x30
	v_add_co_u32_e32 v38, vcc, s0, v12
	v_xor_b32_e32 v1, v38, v1
	v_xor_b32_e32 v1, v1, v8
	s_add_u32 s34, s4, 48
	v_mad_u64_u32 v[8:9], s[0:1], v1, s60, 0
	s_addc_u32 s35, s5, 0
	s_waitcnt lgkmcnt(0)
	s_add_i32 s0, s8, -1
	s_cmp_gt_u32 s0, 1
	s_cselect_b64 s[40:41], -1, 0
	s_cmp_lg_u32 s8, 0
	s_cselect_b64 s[42:43], -1, 0
	s_add_u32 s44, s4, 0xf4
	s_addc_u32 s45, s5, 0
	s_load_dwordx2 s[46:47], s[4:5], 0xf4
	s_load_dwordx4 s[28:31], s[4:5], 0x138
	s_min_u32 s1, s0, 15
	s_cmp_gt_u32 s8, 1
	s_cselect_b64 s[48:49], -1, 0
	s_add_i32 s1, s1, 1
	s_mov_b32 s8, s13
	s_and_b32 s13, s1, 3
	s_cmp_lg_u32 s0, 2
	s_waitcnt lgkmcnt(0)
	v_cvt_f32_f64_e32 v39, s[30:31]
	s_cselect_b64 s[30:31], -1, 0
	s_and_b32 s15, s1, 28
	v_add_u32_e32 v19, 0x8ff34781, v12
	v_add_u32_e32 v20, 0x96a522ad, v13
	v_xor_b32_e32 v0, v7, v0
	v_xor_b32_e32 v1, v9, v4
	s_cmp_lg_u32 s13, 0
	s_mov_b32 s59, 0
	v_xor_b32_e32 v0, v19, v0
	v_xor_b32_e32 v2, v20, v1
	v_mov_b32_e32 v1, v6
	v_mov_b32_e32 v3, v8
	s_mov_b64 s[50:51], 0
	s_cselect_b64 s[52:53], -1, 0
	v_mov_b32_e32 v40, v14
	v_mov_b32_e32 v41, v15
	s_branch .LBB154_9
.LBB154_7:                              ;   in Loop: Header=BB154_9 Depth=1
	v_lshrrev_b32_e32 v0, 11, v3
	v_cvt_f64_u32_e32 v[0:1], v0
	v_ldexp_f64 v[0:1], v[0:1], 32
	v_cvt_f64_u32_e32 v[2:3], v2
	v_add_f64 v[0:1], v[0:1], v[2:3]
	v_mov_b32_e32 v2, 0
	v_mov_b32_e32 v3, 0x3ca00000
	v_fmac_f64_e32 v[2:3], 0x3ca00000, v[0:1]
	v_cvt_f32_f64_e32 v0, v[2:3]
	v_cmp_gt_f32_e32 vcc, v39, v0
	v_cndmask_b32_e64 v0, 0, 1.0, vcc
	global_store_short_d16_hi v8, v0, s[28:29]
.LBB154_8:                              ;   in Loop: Header=BB154_9 Depth=1
	s_or_b64 exec, exec, s[36:37]
	v_add_co_u32_e32 v14, vcc, s58, v14
	v_addc_co_u32_e32 v15, vcc, 0, v15, vcc
	v_mov_b32_e32 v7, v16
	v_cmp_le_i64_e32 vcc, s[26:27], v[14:15]
	v_pk_mov_b32 v[0:1], v[4:5], v[4:5] op_sel:[0,1]
	s_or_b64 s[50:51], vcc, s[50:51]
	v_pk_mov_b32 v[2:3], v[6:7], v[6:7] op_sel:[0,1]
	s_barrier
	s_andn2_b64 exec, exec, s[50:51]
	s_cbranch_execz .LBB154_50
.LBB154_9:                              ; =>This Loop Header: Depth=1
                                        ;     Child Loop BB154_24 Depth 2
                                        ;     Child Loop BB154_30 Depth 2
	;; [unrolled: 1-line block ×4, first 2 shown]
	v_add_co_u32_e32 v29, vcc, 1, v29
	v_cndmask_b32_e64 v4, 0, 1, vcc
	v_addc_co_u32_e32 v30, vcc, 0, v30, vcc
	v_cmp_eq_u32_e32 vcc, 0, v30
	v_cndmask_b32_e32 v4, 0, v4, vcc
	v_add_u32_e32 v40, v4, v40
	v_cmp_eq_u32_e32 vcc, 0, v40
	v_cndmask_b32_e32 v4, 0, v4, vcc
	v_add_u32_e32 v41, v4, v41
	v_mad_u64_u32 v[4:5], s[0:1], v29, s60, 0
	v_mad_u64_u32 v[6:7], s[0:1], v40, s61, 0
	v_xor_b32_e32 v5, v5, v13
	v_xor_b32_e32 v7, v7, v12
	v_xor_b32_e32 v5, v41, v5
	v_xor_b32_e32 v7, v30, v7
	v_mad_u64_u32 v[10:11], s[0:1], v5, s61, 0
	v_mad_u64_u32 v[8:9], s[0:1], v7, s60, 0
	v_xor_b32_e32 v5, v28, v11
	v_xor_b32_e32 v5, v5, v6
	v_xor_b32_e32 v6, v31, v9
	v_xor_b32_e32 v6, v6, v4
	;; [unrolled: 6-line block ×10, first 2 shown]
	v_mov_b32_e32 v5, v10
	v_mov_b32_e32 v6, v11
	v_cmp_lt_i32_e32 vcc, 1, v18
	s_and_saveexec_b64 s[0:1], vcc
	s_xor_b64 s[0:1], exec, s[0:1]
	s_cbranch_execz .LBB154_15
; %bb.10:                               ;   in Loop: Header=BB154_9 Depth=1
	v_cmp_lt_i32_e32 vcc, 2, v18
	s_and_saveexec_b64 s[2:3], vcc
	s_xor_b64 s[2:3], exec, s[2:3]
; %bb.11:                               ;   in Loop: Header=BB154_9 Depth=1
	v_mov_b32_e32 v8, v3
	v_mov_b32_e32 v9, v4
	v_pk_mov_b32 v[0:1], v[8:9], v[8:9] op_sel:[0,1]
	v_pk_mov_b32 v[2:3], v[10:11], v[10:11] op_sel:[0,1]
                                        ; implicit-def: $vgpr10_vgpr11
; %bb.12:                               ;   in Loop: Header=BB154_9 Depth=1
	s_andn2_saveexec_b64 s[2:3], s[2:3]
; %bb.13:                               ;   in Loop: Header=BB154_9 Depth=1
	v_mov_b32_e32 v0, v2
	v_mov_b32_e32 v1, v3
	;; [unrolled: 1-line block ×4, first 2 shown]
; %bb.14:                               ;   in Loop: Header=BB154_9 Depth=1
	s_or_b64 exec, exec, s[2:3]
.LBB154_15:                             ;   in Loop: Header=BB154_9 Depth=1
	s_andn2_saveexec_b64 s[0:1], s[0:1]
	s_cbranch_execz .LBB154_19
; %bb.16:                               ;   in Loop: Header=BB154_9 Depth=1
	v_cmp_eq_u32_e32 vcc, 1, v18
	s_and_saveexec_b64 s[2:3], vcc
; %bb.17:                               ;   in Loop: Header=BB154_9 Depth=1
	v_mov_b32_e32 v0, v1
	v_mov_b32_e32 v1, v2
	;; [unrolled: 1-line block ×4, first 2 shown]
; %bb.18:                               ;   in Loop: Header=BB154_9 Depth=1
	s_or_b64 exec, exec, s[2:3]
.LBB154_19:                             ;   in Loop: Header=BB154_9 Depth=1
	s_or_b64 exec, exec, s[0:1]
	v_cndmask_b32_e64 v7, 0, 1, s[40:41]
	v_cmp_gt_i64_e32 vcc, s[24:25], v[14:15]
	v_cmp_ne_u32_e64 s[0:1], 1, v7
	s_and_saveexec_b64 s[2:3], vcc
	s_cbranch_execz .LBB154_35
; %bb.20:                               ;   in Loop: Header=BB154_9 Depth=1
	s_and_b64 vcc, exec, s[0:1]
	s_cbranch_vccnz .LBB154_26
; %bb.21:                               ;   in Loop: Header=BB154_9 Depth=1
	s_andn2_b64 vcc, exec, s[42:43]
	s_cbranch_vccnz .LBB154_27
; %bb.22:                               ;   in Loop: Header=BB154_9 Depth=1
	s_mov_b32 s6, 0
	s_andn2_b64 vcc, exec, s[30:31]
	v_mov_b32_e32 v8, 0
	s_cbranch_vccnz .LBB154_28
; %bb.23:                               ;   in Loop: Header=BB154_9 Depth=1
	s_mov_b32 s62, 0
	v_mov_b32_e32 v8, 0
	s_mov_b64 s[54:55], s[34:35]
	s_mov_b64 s[56:57], s[44:45]
	v_mov_b32_e32 v7, v14
.LBB154_24:                             ;   Parent Loop BB154_9 Depth=1
                                        ; =>  This Inner Loop Header: Depth=2
	s_load_dwordx8 s[16:23], s[54:55], 0x4
	s_load_dwordx4 s[4:7], s[54:55], 0x24
	s_load_dwordx4 s[36:39], s[56:57], 0x0
	s_add_u32 s54, s54, 48
	s_addc_u32 s55, s55, 0
	s_waitcnt lgkmcnt(0)
	v_mul_hi_u32 v9, s17, v7
	v_add_u32_e32 v9, v7, v9
	v_lshrrev_b32_e32 v9, s18, v9
	v_mul_lo_u32 v10, v9, s16
	v_mul_hi_u32 v11, s20, v9
	v_sub_u32_e32 v7, v7, v10
	v_add_u32_e32 v10, v9, v11
	v_lshrrev_b32_e32 v10, s21, v10
	v_mul_lo_u32 v11, v10, s19
	v_mul_hi_u32 v17, s23, v10
	v_sub_u32_e32 v9, v9, v11
	v_add_u32_e32 v11, v10, v17
	v_mul_lo_u32 v7, v7, s36
	v_mul_lo_u32 v9, v9, s37
	v_lshrrev_b32_e32 v11, s4, v11
	v_add3_u32 v8, v7, v8, v9
	v_mul_lo_u32 v7, v11, s22
	v_mul_hi_u32 v9, s6, v11
	v_sub_u32_e32 v7, v10, v7
	v_add_u32_e32 v9, v11, v9
	v_mul_lo_u32 v10, v7, s38
	v_lshrrev_b32_e32 v7, s7, v9
	s_add_i32 s62, s62, 4
	v_mul_lo_u32 v9, v7, s5
	s_add_u32 s56, s56, 16
	v_sub_u32_e32 v9, v11, v9
	s_addc_u32 s57, s57, 0
	v_mul_lo_u32 v9, v9, s39
	s_cmp_lg_u32 s15, s62
	v_add3_u32 v8, v10, v8, v9
	s_cbranch_scc1 .LBB154_24
; %bb.25:                               ;   in Loop: Header=BB154_9 Depth=1
	s_mov_b32 s6, s15
	s_andn2_b64 vcc, exec, s[52:53]
	s_cbranch_vccz .LBB154_29
	s_branch .LBB154_31
.LBB154_26:                             ;   in Loop: Header=BB154_9 Depth=1
                                        ; implicit-def: $vgpr8
	s_branch .LBB154_32
.LBB154_27:                             ;   in Loop: Header=BB154_9 Depth=1
	v_mov_b32_e32 v8, 0
	s_branch .LBB154_31
.LBB154_28:                             ;   in Loop: Header=BB154_9 Depth=1
	v_mov_b32_e32 v7, v14
	s_andn2_b64 vcc, exec, s[52:53]
	s_cbranch_vccnz .LBB154_31
.LBB154_29:                             ;   in Loop: Header=BB154_9 Depth=1
	s_lshl_b32 s4, s6, 2
	s_add_u32 s4, s44, s4
	s_addc_u32 s5, s45, 0
	s_mul_i32 s6, s6, 12
	s_add_u32 s6, s34, s6
	s_addc_u32 s7, s35, 0
	s_mov_b32 s16, s13
.LBB154_30:                             ;   Parent Loop BB154_9 Depth=1
                                        ; =>  This Inner Loop Header: Depth=2
	s_load_dwordx2 s[18:19], s[6:7], 0x4
	s_load_dword s17, s[6:7], 0xc
	s_load_dword s20, s[4:5], 0x0
	s_add_u32 s6, s6, 12
	s_addc_u32 s7, s7, 0
	s_waitcnt lgkmcnt(0)
	v_mul_hi_u32 v9, s19, v7
	v_add_u32_e32 v9, v7, v9
	v_lshrrev_b32_e32 v9, s17, v9
	s_add_u32 s4, s4, 4
	v_mul_lo_u32 v10, v9, s18
	s_addc_u32 s5, s5, 0
	s_add_i32 s16, s16, -1
	v_sub_u32_e32 v10, v7, v10
	s_cmp_lg_u32 s16, 0
	v_mov_b32_e32 v7, v9
	v_mad_u64_u32 v[8:9], s[18:19], v10, s20, v[8:9]
	s_cbranch_scc1 .LBB154_30
.LBB154_31:                             ;   in Loop: Header=BB154_9 Depth=1
	s_cbranch_execnz .LBB154_34
.LBB154_32:                             ;   in Loop: Header=BB154_9 Depth=1
	v_mul_hi_u32 v7, v14, s10
	v_add_u32_e32 v7, v7, v14
	v_lshrrev_b32_e32 v7, s11, v7
	v_mul_lo_u32 v8, v7, s9
	v_sub_u32_e32 v8, v14, v8
	s_andn2_b64 vcc, exec, s[48:49]
	v_mul_lo_u32 v8, v8, s46
	s_cbranch_vccnz .LBB154_34
; %bb.33:                               ;   in Loop: Header=BB154_9 Depth=1
	v_mul_hi_u32 v9, s8, v7
	v_add_u32_e32 v9, v7, v9
	v_lshrrev_b32_e32 v9, s14, v9
	v_mul_lo_u32 v9, v9, s12
	v_sub_u32_e32 v7, v7, v9
	v_mad_u64_u32 v[8:9], s[4:5], v7, s47, v[8:9]
.LBB154_34:                             ;   in Loop: Header=BB154_9 Depth=1
	v_lshrrev_b32_e32 v1, 11, v1
	v_cvt_f64_u32_e32 v[10:11], v1
	v_ldexp_f64 v[10:11], v[10:11], 32
	v_cvt_f64_u32_e32 v[0:1], v0
	v_add_f64 v[0:1], v[10:11], v[0:1]
	v_mov_b32_e32 v10, 0
	v_mov_b32_e32 v11, 0x3ca00000
	v_fmac_f64_e32 v[10:11], 0x3ca00000, v[0:1]
	v_cvt_f32_f64_e32 v0, v[10:11]
	v_cmp_gt_f32_e32 vcc, v39, v0
	v_cndmask_b32_e64 v0, 0, 1.0, vcc
	global_store_short_d16_hi v8, v0, s[28:29]
.LBB154_35:                             ;   in Loop: Header=BB154_9 Depth=1
	s_or_b64 exec, exec, s[2:3]
	v_mov_b32_e32 v1, s59
	v_add_co_u32_e32 v0, vcc, s33, v14
	v_addc_co_u32_e32 v1, vcc, v15, v1, vcc
	v_cmp_gt_i64_e32 vcc, s[24:25], v[0:1]
	s_and_saveexec_b64 s[36:37], vcc
	s_cbranch_execz .LBB154_8
; %bb.36:                               ;   in Loop: Header=BB154_9 Depth=1
	s_and_b64 vcc, exec, s[0:1]
	s_cbranch_vccnz .LBB154_42
; %bb.37:                               ;   in Loop: Header=BB154_9 Depth=1
	s_andn2_b64 vcc, exec, s[42:43]
	s_cbranch_vccnz .LBB154_43
; %bb.38:                               ;   in Loop: Header=BB154_9 Depth=1
	s_mov_b32 s2, 0
	s_andn2_b64 vcc, exec, s[30:31]
	v_mov_b32_e32 v8, 0
	s_cbranch_vccnz .LBB154_44
; %bb.39:                               ;   in Loop: Header=BB154_9 Depth=1
	s_mov_b32 s56, 0
	v_mov_b32_e32 v8, 0
	s_mov_b64 s[38:39], s[34:35]
	s_mov_b64 s[54:55], s[44:45]
	v_mov_b32_e32 v1, v0
.LBB154_40:                             ;   Parent Loop BB154_9 Depth=1
                                        ; =>  This Inner Loop Header: Depth=2
	s_load_dwordx8 s[0:7], s[38:39], 0x4
	s_load_dwordx4 s[16:19], s[38:39], 0x24
	s_load_dwordx4 s[20:23], s[54:55], 0x0
	s_add_u32 s38, s38, 48
	s_addc_u32 s39, s39, 0
	s_waitcnt lgkmcnt(0)
	v_mul_hi_u32 v7, s1, v1
	v_add_u32_e32 v7, v1, v7
	v_lshrrev_b32_e32 v7, s2, v7
	v_mul_lo_u32 v9, v7, s0
	v_mul_hi_u32 v10, s4, v7
	v_sub_u32_e32 v1, v1, v9
	v_add_u32_e32 v9, v7, v10
	v_lshrrev_b32_e32 v9, s5, v9
	v_mul_lo_u32 v10, v9, s3
	v_mul_hi_u32 v11, s7, v9
	v_sub_u32_e32 v7, v7, v10
	v_add_u32_e32 v10, v9, v11
	v_mul_lo_u32 v1, v1, s20
	v_mul_lo_u32 v7, v7, s21
	v_lshrrev_b32_e32 v10, s16, v10
	v_add3_u32 v7, v1, v8, v7
	v_mul_lo_u32 v1, v10, s6
	v_mul_hi_u32 v8, s18, v10
	v_sub_u32_e32 v1, v9, v1
	v_add_u32_e32 v8, v10, v8
	v_mul_lo_u32 v9, v1, s22
	v_lshrrev_b32_e32 v1, s19, v8
	s_add_i32 s56, s56, 4
	v_mul_lo_u32 v8, v1, s17
	s_add_u32 s54, s54, 16
	v_sub_u32_e32 v8, v10, v8
	s_addc_u32 s55, s55, 0
	v_mul_lo_u32 v8, v8, s23
	s_cmp_eq_u32 s15, s56
	v_add3_u32 v8, v9, v7, v8
	s_cbranch_scc0 .LBB154_40
; %bb.41:                               ;   in Loop: Header=BB154_9 Depth=1
	s_mov_b32 s2, s15
	s_andn2_b64 vcc, exec, s[52:53]
	s_cbranch_vccz .LBB154_45
	s_branch .LBB154_47
.LBB154_42:                             ;   in Loop: Header=BB154_9 Depth=1
                                        ; implicit-def: $vgpr8
	s_branch .LBB154_48
.LBB154_43:                             ;   in Loop: Header=BB154_9 Depth=1
	v_mov_b32_e32 v8, 0
	s_branch .LBB154_47
.LBB154_44:                             ;   in Loop: Header=BB154_9 Depth=1
	v_mov_b32_e32 v1, v0
	s_andn2_b64 vcc, exec, s[52:53]
	s_cbranch_vccnz .LBB154_47
.LBB154_45:                             ;   in Loop: Header=BB154_9 Depth=1
	s_lshl_b32 s0, s2, 2
	s_add_u32 s0, s44, s0
	s_addc_u32 s1, s45, 0
	s_mul_i32 s2, s2, 12
	s_add_u32 s2, s34, s2
	s_addc_u32 s3, s35, 0
	s_mov_b32 s4, s13
.LBB154_46:                             ;   Parent Loop BB154_9 Depth=1
                                        ; =>  This Inner Loop Header: Depth=2
	s_load_dwordx2 s[6:7], s[2:3], 0x4
	s_load_dword s5, s[2:3], 0xc
	s_load_dword s16, s[0:1], 0x0
	s_add_u32 s2, s2, 12
	s_addc_u32 s3, s3, 0
	s_waitcnt lgkmcnt(0)
	v_mul_hi_u32 v7, s7, v1
	v_add_u32_e32 v7, v1, v7
	v_lshrrev_b32_e32 v7, s5, v7
	s_add_u32 s0, s0, 4
	v_mul_lo_u32 v9, v7, s6
	s_addc_u32 s1, s1, 0
	s_add_i32 s4, s4, -1
	v_sub_u32_e32 v9, v1, v9
	s_cmp_lg_u32 s4, 0
	v_mov_b32_e32 v1, v7
	v_mad_u64_u32 v[8:9], s[6:7], v9, s16, v[8:9]
	s_cbranch_scc1 .LBB154_46
.LBB154_47:                             ;   in Loop: Header=BB154_9 Depth=1
	s_cbranch_execnz .LBB154_7
.LBB154_48:                             ;   in Loop: Header=BB154_9 Depth=1
	v_mul_hi_u32 v1, v0, s10
	v_add_u32_e32 v1, v1, v0
	v_lshrrev_b32_e32 v1, s11, v1
	v_mul_lo_u32 v7, v1, s9
	v_sub_u32_e32 v0, v0, v7
	s_andn2_b64 vcc, exec, s[48:49]
	v_mul_lo_u32 v8, v0, s46
	s_cbranch_vccnz .LBB154_7
; %bb.49:                               ;   in Loop: Header=BB154_9 Depth=1
	v_mul_hi_u32 v0, s8, v1
	v_add_u32_e32 v0, v1, v0
	v_lshrrev_b32_e32 v0, s14, v0
	v_mul_lo_u32 v0, v0, s12
	v_sub_u32_e32 v0, v1, v0
	v_mad_u64_u32 v[8:9], s[0:1], v0, s47, v[8:9]
	s_branch .LBB154_7
.LBB154_50:
	s_endpgm
.LBB154_51:
                                        ; implicit-def: $sgpr2_sgpr3
	s_andn2_b64 vcc, exec, s[0:1]
	s_cbranch_vccz .LBB154_4
	s_branch .LBB154_5
	.section	.rodata,"a",@progbits
	.p2align	6, 0x0
	.amdhsa_kernel _ZN2at6native12_GLOBAL__N_143distribution_elementwise_grid_stride_kernelIfLi4EZNS0_9templates4cuda21uniform_and_transformIN3c108BFloat16EfPNS_17CUDAGeneratorImplEZZZNS4_16bernoulli_kernelIS9_EEvRNS_18TensorIteratorBaseEdT_ENKUlvE_clEvENKUlvE7_clEvEUlfE_EEvSC_T1_T2_EUlP25hiprandStatePhilox4_32_10E_ZNS1_27distribution_nullary_kernelIS7_f15HIP_vector_typeIdLj2EES9_SL_SG_EEvSC_SI_RKT3_T4_EUlifE0_EEvlNS_15PhiloxCudaStateESH_SI_
		.amdhsa_group_segment_fixed_size 0
		.amdhsa_private_segment_fixed_size 0
		.amdhsa_kernarg_size 584
		.amdhsa_user_sgpr_count 6
		.amdhsa_user_sgpr_private_segment_buffer 1
		.amdhsa_user_sgpr_dispatch_ptr 0
		.amdhsa_user_sgpr_queue_ptr 0
		.amdhsa_user_sgpr_kernarg_segment_ptr 1
		.amdhsa_user_sgpr_dispatch_id 0
		.amdhsa_user_sgpr_flat_scratch_init 0
		.amdhsa_user_sgpr_kernarg_preload_length 0
		.amdhsa_user_sgpr_kernarg_preload_offset 0
		.amdhsa_user_sgpr_private_segment_size 0
		.amdhsa_uses_dynamic_stack 0
		.amdhsa_system_sgpr_private_segment_wavefront_offset 0
		.amdhsa_system_sgpr_workgroup_id_x 1
		.amdhsa_system_sgpr_workgroup_id_y 0
		.amdhsa_system_sgpr_workgroup_id_z 0
		.amdhsa_system_sgpr_workgroup_info 0
		.amdhsa_system_vgpr_workitem_id 0
		.amdhsa_next_free_vgpr 42
		.amdhsa_next_free_sgpr 63
		.amdhsa_accum_offset 44
		.amdhsa_reserve_vcc 1
		.amdhsa_reserve_flat_scratch 0
		.amdhsa_float_round_mode_32 0
		.amdhsa_float_round_mode_16_64 0
		.amdhsa_float_denorm_mode_32 3
		.amdhsa_float_denorm_mode_16_64 3
		.amdhsa_dx10_clamp 1
		.amdhsa_ieee_mode 1
		.amdhsa_fp16_overflow 0
		.amdhsa_tg_split 0
		.amdhsa_exception_fp_ieee_invalid_op 0
		.amdhsa_exception_fp_denorm_src 0
		.amdhsa_exception_fp_ieee_div_zero 0
		.amdhsa_exception_fp_ieee_overflow 0
		.amdhsa_exception_fp_ieee_underflow 0
		.amdhsa_exception_fp_ieee_inexact 0
		.amdhsa_exception_int_div_zero 0
	.end_amdhsa_kernel
	.section	.text._ZN2at6native12_GLOBAL__N_143distribution_elementwise_grid_stride_kernelIfLi4EZNS0_9templates4cuda21uniform_and_transformIN3c108BFloat16EfPNS_17CUDAGeneratorImplEZZZNS4_16bernoulli_kernelIS9_EEvRNS_18TensorIteratorBaseEdT_ENKUlvE_clEvENKUlvE7_clEvEUlfE_EEvSC_T1_T2_EUlP25hiprandStatePhilox4_32_10E_ZNS1_27distribution_nullary_kernelIS7_f15HIP_vector_typeIdLj2EES9_SL_SG_EEvSC_SI_RKT3_T4_EUlifE0_EEvlNS_15PhiloxCudaStateESH_SI_,"axG",@progbits,_ZN2at6native12_GLOBAL__N_143distribution_elementwise_grid_stride_kernelIfLi4EZNS0_9templates4cuda21uniform_and_transformIN3c108BFloat16EfPNS_17CUDAGeneratorImplEZZZNS4_16bernoulli_kernelIS9_EEvRNS_18TensorIteratorBaseEdT_ENKUlvE_clEvENKUlvE7_clEvEUlfE_EEvSC_T1_T2_EUlP25hiprandStatePhilox4_32_10E_ZNS1_27distribution_nullary_kernelIS7_f15HIP_vector_typeIdLj2EES9_SL_SG_EEvSC_SI_RKT3_T4_EUlifE0_EEvlNS_15PhiloxCudaStateESH_SI_,comdat
.Lfunc_end154:
	.size	_ZN2at6native12_GLOBAL__N_143distribution_elementwise_grid_stride_kernelIfLi4EZNS0_9templates4cuda21uniform_and_transformIN3c108BFloat16EfPNS_17CUDAGeneratorImplEZZZNS4_16bernoulli_kernelIS9_EEvRNS_18TensorIteratorBaseEdT_ENKUlvE_clEvENKUlvE7_clEvEUlfE_EEvSC_T1_T2_EUlP25hiprandStatePhilox4_32_10E_ZNS1_27distribution_nullary_kernelIS7_f15HIP_vector_typeIdLj2EES9_SL_SG_EEvSC_SI_RKT3_T4_EUlifE0_EEvlNS_15PhiloxCudaStateESH_SI_, .Lfunc_end154-_ZN2at6native12_GLOBAL__N_143distribution_elementwise_grid_stride_kernelIfLi4EZNS0_9templates4cuda21uniform_and_transformIN3c108BFloat16EfPNS_17CUDAGeneratorImplEZZZNS4_16bernoulli_kernelIS9_EEvRNS_18TensorIteratorBaseEdT_ENKUlvE_clEvENKUlvE7_clEvEUlfE_EEvSC_T1_T2_EUlP25hiprandStatePhilox4_32_10E_ZNS1_27distribution_nullary_kernelIS7_f15HIP_vector_typeIdLj2EES9_SL_SG_EEvSC_SI_RKT3_T4_EUlifE0_EEvlNS_15PhiloxCudaStateESH_SI_
                                        ; -- End function
	.section	.AMDGPU.csdata,"",@progbits
; Kernel info:
; codeLenInByte = 3312
; NumSgprs: 67
; NumVgprs: 42
; NumAgprs: 0
; TotalNumVgprs: 42
; ScratchSize: 0
; MemoryBound: 0
; FloatMode: 240
; IeeeMode: 1
; LDSByteSize: 0 bytes/workgroup (compile time only)
; SGPRBlocks: 8
; VGPRBlocks: 5
; NumSGPRsForWavesPerEU: 67
; NumVGPRsForWavesPerEU: 42
; AccumOffset: 44
; Occupancy: 8
; WaveLimiterHint : 1
; COMPUTE_PGM_RSRC2:SCRATCH_EN: 0
; COMPUTE_PGM_RSRC2:USER_SGPR: 6
; COMPUTE_PGM_RSRC2:TRAP_HANDLER: 0
; COMPUTE_PGM_RSRC2:TGID_X_EN: 1
; COMPUTE_PGM_RSRC2:TGID_Y_EN: 0
; COMPUTE_PGM_RSRC2:TGID_Z_EN: 0
; COMPUTE_PGM_RSRC2:TIDIG_COMP_CNT: 0
; COMPUTE_PGM_RSRC3_GFX90A:ACCUM_OFFSET: 10
; COMPUTE_PGM_RSRC3_GFX90A:TG_SPLIT: 0
	.section	.text._ZN2at6native12_GLOBAL__N_143distribution_elementwise_grid_stride_kernelIfLi4EZNS0_9templates4cuda21uniform_and_transformIN3c108BFloat16EfPNS_17CUDAGeneratorImplEZZZNS4_16bernoulli_kernelIS9_EEvRNS_18TensorIteratorBaseEdT_ENKUlvE_clEvENKUlvE7_clEvEUlfE_EEvSC_T1_T2_EUlP25hiprandStatePhilox4_32_10E0_ZNS1_27distribution_nullary_kernelIS7_f15HIP_vector_typeIfLj4EES9_SL_SG_EEvSC_SI_RKT3_T4_EUlifE_EEvlNS_15PhiloxCudaStateESH_SI_,"axG",@progbits,_ZN2at6native12_GLOBAL__N_143distribution_elementwise_grid_stride_kernelIfLi4EZNS0_9templates4cuda21uniform_and_transformIN3c108BFloat16EfPNS_17CUDAGeneratorImplEZZZNS4_16bernoulli_kernelIS9_EEvRNS_18TensorIteratorBaseEdT_ENKUlvE_clEvENKUlvE7_clEvEUlfE_EEvSC_T1_T2_EUlP25hiprandStatePhilox4_32_10E0_ZNS1_27distribution_nullary_kernelIS7_f15HIP_vector_typeIfLj4EES9_SL_SG_EEvSC_SI_RKT3_T4_EUlifE_EEvlNS_15PhiloxCudaStateESH_SI_,comdat
	.globl	_ZN2at6native12_GLOBAL__N_143distribution_elementwise_grid_stride_kernelIfLi4EZNS0_9templates4cuda21uniform_and_transformIN3c108BFloat16EfPNS_17CUDAGeneratorImplEZZZNS4_16bernoulli_kernelIS9_EEvRNS_18TensorIteratorBaseEdT_ENKUlvE_clEvENKUlvE7_clEvEUlfE_EEvSC_T1_T2_EUlP25hiprandStatePhilox4_32_10E0_ZNS1_27distribution_nullary_kernelIS7_f15HIP_vector_typeIfLj4EES9_SL_SG_EEvSC_SI_RKT3_T4_EUlifE_EEvlNS_15PhiloxCudaStateESH_SI_ ; -- Begin function _ZN2at6native12_GLOBAL__N_143distribution_elementwise_grid_stride_kernelIfLi4EZNS0_9templates4cuda21uniform_and_transformIN3c108BFloat16EfPNS_17CUDAGeneratorImplEZZZNS4_16bernoulli_kernelIS9_EEvRNS_18TensorIteratorBaseEdT_ENKUlvE_clEvENKUlvE7_clEvEUlfE_EEvSC_T1_T2_EUlP25hiprandStatePhilox4_32_10E0_ZNS1_27distribution_nullary_kernelIS7_f15HIP_vector_typeIfLj4EES9_SL_SG_EEvSC_SI_RKT3_T4_EUlifE_EEvlNS_15PhiloxCudaStateESH_SI_
	.p2align	8
	.type	_ZN2at6native12_GLOBAL__N_143distribution_elementwise_grid_stride_kernelIfLi4EZNS0_9templates4cuda21uniform_and_transformIN3c108BFloat16EfPNS_17CUDAGeneratorImplEZZZNS4_16bernoulli_kernelIS9_EEvRNS_18TensorIteratorBaseEdT_ENKUlvE_clEvENKUlvE7_clEvEUlfE_EEvSC_T1_T2_EUlP25hiprandStatePhilox4_32_10E0_ZNS1_27distribution_nullary_kernelIS7_f15HIP_vector_typeIfLj4EES9_SL_SG_EEvSC_SI_RKT3_T4_EUlifE_EEvlNS_15PhiloxCudaStateESH_SI_,@function
_ZN2at6native12_GLOBAL__N_143distribution_elementwise_grid_stride_kernelIfLi4EZNS0_9templates4cuda21uniform_and_transformIN3c108BFloat16EfPNS_17CUDAGeneratorImplEZZZNS4_16bernoulli_kernelIS9_EEvRNS_18TensorIteratorBaseEdT_ENKUlvE_clEvENKUlvE7_clEvEUlfE_EEvSC_T1_T2_EUlP25hiprandStatePhilox4_32_10E0_ZNS1_27distribution_nullary_kernelIS7_f15HIP_vector_typeIfLj4EES9_SL_SG_EEvSC_SI_RKT3_T4_EUlifE_EEvlNS_15PhiloxCudaStateESH_SI_: ; @_ZN2at6native12_GLOBAL__N_143distribution_elementwise_grid_stride_kernelIfLi4EZNS0_9templates4cuda21uniform_and_transformIN3c108BFloat16EfPNS_17CUDAGeneratorImplEZZZNS4_16bernoulli_kernelIS9_EEvRNS_18TensorIteratorBaseEdT_ENKUlvE_clEvENKUlvE7_clEvEUlfE_EEvSC_T1_T2_EUlP25hiprandStatePhilox4_32_10E0_ZNS1_27distribution_nullary_kernelIS7_f15HIP_vector_typeIfLj4EES9_SL_SG_EEvSC_SI_RKT3_T4_EUlifE_EEvlNS_15PhiloxCudaStateESH_SI_
; %bb.0:
	s_load_dword s7, s[4:5], 0x20
	s_load_dwordx2 s[10:11], s[4:5], 0x10
	s_load_dwordx4 s[0:3], s[4:5], 0x0
	s_mov_b32 s8, 0
	s_waitcnt lgkmcnt(0)
	s_bitcmp0_b32 s7, 0
	v_pk_mov_b32 v[2:3], s[10:11], s[10:11] op_sel:[0,1]
	v_pk_mov_b32 v[14:15], s[2:3], s[2:3] op_sel:[0,1]
	s_cbranch_scc1 .LBB155_2
; %bb.1:
	v_pk_mov_b32 v[2:3], s[10:11], s[10:11] op_sel:[0,1]
	flat_load_dwordx2 v[2:3], v[2:3]
	v_pk_mov_b32 v[4:5], s[2:3], s[2:3] op_sel:[0,1]
	flat_load_dwordx2 v[14:15], v[4:5]
	s_load_dwordx2 s[2:3], s[4:5], 0x18
	s_waitcnt lgkmcnt(0)
	v_mov_b32_e32 v1, s3
	s_waitcnt vmcnt(0)
	v_add_co_u32_e32 v2, vcc, s2, v2
	v_addc_co_u32_e32 v3, vcc, v3, v1, vcc
.LBB155_2:
	s_load_dword s2, s[4:5], 0x54
	s_load_dword s17, s[4:5], 0x48
	s_waitcnt lgkmcnt(0)
	s_and_b32 s7, s2, 0xffff
	s_add_u32 s10, s0, -1
	s_mul_i32 s12, s17, s7
	s_addc_u32 s9, s1, -1
	s_lshl_b32 s13, s12, 2
	s_cmp_lg_u64 s[8:9], 0
	s_mov_b64 s[2:3], -1
	s_cbranch_scc0 .LBB155_27
; %bb.3:
	v_cvt_f32_u32_e32 v1, s13
	v_cvt_f32_ubyte0_e32 v4, 0
	s_sub_u32 s8, 0, s13
	s_subb_u32 s11, 0, 0
	v_madmk_f32 v1, v4, 0x4f800000, v1
	v_rcp_f32_e32 v1, v1
	v_mul_f32_e32 v1, 0x5f7ffffc, v1
	v_mul_f32_e32 v4, 0x2f800000, v1
	v_trunc_f32_e32 v4, v4
	v_madmk_f32 v1, v4, 0xcf800000, v1
	v_cvt_u32_f32_e32 v4, v4
	v_cvt_u32_f32_e32 v1, v1
	v_readfirstlane_b32 s14, v4
	v_readfirstlane_b32 s15, v1
	s_mul_i32 s16, s8, s14
	s_mul_hi_u32 s19, s8, s15
	s_mul_i32 s18, s11, s15
	s_add_i32 s16, s19, s16
	s_add_i32 s16, s16, s18
	s_mul_i32 s20, s8, s15
	s_mul_hi_u32 s18, s15, s16
	s_mul_i32 s19, s15, s16
	s_mul_hi_u32 s15, s15, s20
	s_add_u32 s15, s15, s19
	s_addc_u32 s18, 0, s18
	s_mul_hi_u32 s21, s14, s20
	s_mul_i32 s20, s14, s20
	s_add_u32 s15, s15, s20
	s_mul_hi_u32 s19, s14, s16
	s_addc_u32 s15, s18, s21
	s_addc_u32 s18, s19, 0
	s_mul_i32 s16, s14, s16
	s_add_u32 s15, s15, s16
	s_addc_u32 s16, 0, s18
	v_add_co_u32_e32 v1, vcc, s15, v1
	s_cmp_lg_u64 vcc, 0
	s_addc_u32 s14, s14, s16
	v_readfirstlane_b32 s16, v1
	s_mul_i32 s15, s8, s14
	s_mul_hi_u32 s18, s8, s16
	s_add_i32 s15, s18, s15
	s_mul_i32 s11, s11, s16
	s_add_i32 s15, s15, s11
	s_mul_i32 s8, s8, s16
	s_mul_hi_u32 s18, s14, s8
	s_mul_i32 s19, s14, s8
	s_mul_i32 s21, s16, s15
	s_mul_hi_u32 s8, s16, s8
	s_mul_hi_u32 s20, s16, s15
	s_add_u32 s8, s8, s21
	s_addc_u32 s16, 0, s20
	s_add_u32 s8, s8, s19
	s_mul_hi_u32 s11, s14, s15
	s_addc_u32 s8, s16, s18
	s_addc_u32 s11, s11, 0
	s_mul_i32 s15, s14, s15
	s_add_u32 s8, s8, s15
	s_addc_u32 s11, 0, s11
	v_add_co_u32_e32 v1, vcc, s8, v1
	s_cmp_lg_u64 vcc, 0
	s_addc_u32 s11, s14, s11
	s_ashr_i32 s14, s9, 31
	s_add_u32 s8, s10, s14
	s_mov_b32 s15, s14
	s_addc_u32 s9, s9, s14
	s_xor_b64 s[8:9], s[8:9], s[14:15]
	v_readfirstlane_b32 s19, v1
	s_mul_i32 s18, s8, s11
	s_mul_hi_u32 s20, s8, s19
	s_mul_hi_u32 s16, s8, s11
	s_add_u32 s18, s20, s18
	s_addc_u32 s16, 0, s16
	s_mul_hi_u32 s21, s9, s19
	s_mul_i32 s19, s9, s19
	s_add_u32 s18, s18, s19
	s_mul_hi_u32 s20, s9, s11
	s_addc_u32 s16, s16, s21
	s_addc_u32 s18, s20, 0
	s_mul_i32 s11, s9, s11
	s_add_u32 s11, s16, s11
	s_addc_u32 s16, 0, s18
	s_add_u32 s18, s11, 1
	s_addc_u32 s19, s16, 0
	s_add_u32 s20, s11, 2
	s_mul_i32 s22, s13, s16
	s_mul_hi_u32 s23, s13, s11
	s_addc_u32 s21, s16, 0
	s_add_i32 s23, s23, s22
	s_mul_i32 s22, s13, s11
	v_mov_b32_e32 v1, s22
	v_sub_co_u32_e32 v1, vcc, s8, v1
	s_cmp_lg_u64 vcc, 0
	s_subb_u32 s8, s9, s23
	v_subrev_co_u32_e32 v4, vcc, s13, v1
	s_cmp_lg_u64 vcc, 0
	s_subb_u32 s9, s8, 0
	v_readfirstlane_b32 s22, v4
	s_cmp_ge_u32 s22, s13
	s_cselect_b32 s22, -1, 0
	s_cmp_eq_u32 s9, 0
	s_cselect_b32 s9, s22, -1
	s_cmp_lg_u32 s9, 0
	s_cselect_b32 s9, s21, s19
	v_readfirstlane_b32 s19, v1
	s_cselect_b32 s18, s20, s18
	s_cmp_ge_u32 s19, s13
	s_cselect_b32 s19, -1, 0
	s_cmp_eq_u32 s8, 0
	s_cselect_b32 s8, s19, -1
	s_cmp_lg_u32 s8, 0
	s_cselect_b32 s9, s9, s16
	s_cselect_b32 s8, s18, s11
	s_xor_b64 s[8:9], s[8:9], s[14:15]
	s_sub_u32 s8, s8, s14
	s_subb_u32 s9, s9, s14
	s_cbranch_execnz .LBB155_5
.LBB155_4:
	v_cvt_f32_u32_e32 v1, s13
	s_sub_i32 s2, 0, s13
	s_mov_b32 s9, 0
	v_rcp_iflag_f32_e32 v1, v1
	v_mul_f32_e32 v1, 0x4f7ffffe, v1
	v_cvt_u32_f32_e32 v1, v1
	v_readfirstlane_b32 s3, v1
	s_mul_i32 s2, s2, s3
	s_mul_hi_u32 s2, s3, s2
	s_add_i32 s3, s3, s2
	s_mul_hi_u32 s2, s10, s3
	s_mul_i32 s8, s2, s13
	s_sub_i32 s8, s10, s8
	s_add_i32 s3, s2, 1
	s_sub_i32 s10, s8, s13
	s_cmp_ge_u32 s8, s13
	s_cselect_b32 s2, s3, s2
	s_cselect_b32 s8, s10, s8
	s_add_i32 s3, s2, 1
	s_cmp_ge_u32 s8, s13
	s_cselect_b32 s8, s3, s2
.LBB155_5:
	v_mov_b32_e32 v1, 0
	v_mov_b32_e32 v4, s6
	v_mad_u64_u32 v[16:17], s[2:3], s7, v4, v[0:1]
	s_add_u32 s2, s8, 1
	s_addc_u32 s3, s9, 0
	s_mul_hi_u32 s8, s17, s7
	s_mul_i32 s3, s12, s3
	s_mul_hi_u32 s9, s12, s2
	s_add_i32 s3, s9, s3
	s_mul_i32 s8, s8, s2
	s_add_i32 s3, s3, s8
	s_mul_i32 s2, s12, s2
	s_lshl_b64 s[2:3], s[2:3], 2
	v_cmp_gt_i64_e32 vcc, s[2:3], v[16:17]
	s_and_saveexec_b64 s[8:9], vcc
	s_cbranch_execz .LBB155_26
; %bb.6:
	s_load_dwordx2 s[8:9], s[4:5], 0x30
	s_load_dword s23, s[4:5], 0x38
	s_load_dwordx2 s[10:11], s[4:5], 0x40
	s_mov_b32 s4, 0x5384540f
	v_mov_b32_e32 v4, v15
	v_add_co_u32_e32 v22, vcc, s4, v14
	s_mov_b32 s4, 0x646e171e
	v_add_co_u32_e32 v23, vcc, s4, v4
	s_mov_b32 s4, 0x1715609d
	;; [unrolled: 2-line block ×6, first 2 shown]
	v_alignbit_b32 v29, v3, v2, 2
	s_mov_b32 s15, 0xd2511f53
	v_add_co_u32_e32 v28, vcc, s4, v14
	v_mad_u64_u32 v[6:7], s[4:5], v29, s15, 0
	v_xor_b32_e32 v1, v7, v15
	v_xor_b32_e32 v1, v1, v17
	s_mov_b32 s16, 0xcd9e8d57
	v_mad_u64_u32 v[8:9], s[4:5], v1, s16, 0
	v_xor_b32_e32 v1, v28, v9
	v_mad_u64_u32 v[10:11], s[4:5], v16, s16, 0
	v_and_b32_e32 v18, 3, v2
	v_xor_b32_e32 v1, v1, v10
	v_xor_b32_e32 v2, v14, v11
	v_lshrrev_b32_e32 v30, 2, v3
	v_mad_u64_u32 v[12:13], s[4:5], v1, s15, 0
	v_xor_b32_e32 v2, v2, v30
	v_xor_b32_e32 v1, v27, v13
	v_mad_u64_u32 v[2:3], s[4:5], v2, s15, 0
	v_xor_b32_e32 v1, v1, v2
	v_mad_u64_u32 v[10:11], s[4:5], v1, s16, 0
	s_mov_b32 s4, 0xbb67ae85
	v_add_co_u32_e32 v31, vcc, s4, v4
	v_xor_b32_e32 v2, v31, v3
	v_xor_b32_e32 v2, v2, v6
	v_xor_b32_e32 v1, v26, v11
	v_mad_u64_u32 v[2:3], s[4:5], v2, s16, 0
	v_xor_b32_e32 v1, v1, v2
	v_mad_u64_u32 v[6:7], s[4:5], v1, s15, 0
	s_mov_b32 s4, 0x3c6ef372
	v_add_co_u32_e32 v32, vcc, s4, v14
	v_xor_b32_e32 v2, v32, v3
	;; [unrolled: 8-line block ×6, first 2 shown]
	v_add_co_u32_e32 v21, vcc, 0xdb3d7428, v4
	v_xor_b32_e32 v2, v2, v8
	v_xor_b32_e32 v1, v21, v7
	v_mad_u64_u32 v[2:3], s[4:5], v2, s15, 0
	v_xor_b32_e32 v1, v1, v2
	v_mad_u64_u32 v[8:9], s[4:5], v1, s16, 0
	s_mov_b32 s4, 0x1fd5c5a3
	v_add_co_u32_e32 v37, vcc, s4, v4
	v_xor_b32_e32 v1, v37, v3
	v_xor_b32_e32 v1, v1, v12
	v_mad_u64_u32 v[2:3], s[4:5], v1, s16, 0
	s_mov_b32 s4, 0xf1bbcdc8
	v_add_u32_e32 v19, 0x8ff34781, v14
	v_xor_b32_e32 v1, v9, v2
	v_add_co_u32_e32 v38, vcc, s4, v14
	v_xor_b32_e32 v2, v19, v1
	v_xor_b32_e32 v1, v38, v3
	;; [unrolled: 1-line block ×3, first 2 shown]
	v_mad_u64_u32 v[10:11], s[4:5], v1, s15, 0
	v_add_u32_e32 v20, 0x96a522ad, v15
	v_xor_b32_e32 v1, v11, v6
	s_mul_i32 s4, s6, s7
	v_xor_b32_e32 v4, v20, v1
	v_add_u32_e32 v1, s4, v0
	s_waitcnt lgkmcnt(0)
	s_mul_i32 s4, s17, s23
	s_mul_i32 s4, s4, s7
	s_lshl_b32 s22, s4, 2
	s_mul_i32 s4, s17, 3
	s_add_i32 s4, s6, s4
	s_mul_i32 s4, s4, s7
	v_mul_lo_u32 v40, s23, v1
	v_add_u32_e32 v1, s4, v0
	s_lshl_b32 s4, s17, 1
	s_add_i32 s4, s6, s4
	s_mul_i32 s4, s4, s7
	v_mul_lo_u32 v41, s23, v1
	v_add_u32_e32 v1, s4, v0
	s_add_i32 s4, s6, s17
	s_mul_i32 s4, s4, s7
	s_mov_b32 s14, 0
	v_add_u32_e32 v0, s4, v0
	v_mov_b32_e32 v3, v8
	v_mov_b32_e32 v5, v10
	v_cvt_f32_f64_e32 v39, s[10:11]
	s_lshl_b32 s18, s12, 1
	s_mov_b32 s19, s14
	s_mul_i32 s20, s12, 3
	s_mov_b32 s21, s14
	v_mul_lo_u32 v42, s23, v1
	v_mul_lo_u32 v43, s23, v0
	s_mov_b64 s[4:5], 0
	s_mov_b32 s17, s14
	v_mov_b32_e32 v44, v16
	v_mov_b32_e32 v45, v17
	s_branch .LBB155_8
.LBB155_7:                              ;   in Loop: Header=BB155_8 Depth=1
	s_or_b64 exec, exec, s[6:7]
	v_add_co_u32_e32 v16, vcc, s13, v16
	v_addc_co_u32_e32 v17, vcc, 0, v17, vcc
	v_mov_b32_e32 v9, v0
	s_add_i32 s17, s17, s22
	v_cmp_le_i64_e32 vcc, s[2:3], v[16:17]
	v_pk_mov_b32 v[2:3], v[6:7], v[6:7] op_sel:[0,1]
	s_or_b64 s[4:5], vcc, s[4:5]
	v_pk_mov_b32 v[4:5], v[8:9], v[8:9] op_sel:[0,1]
	s_barrier
	s_andn2_b64 exec, exec, s[4:5]
	s_cbranch_execz .LBB155_26
.LBB155_8:                              ; =>This Inner Loop Header: Depth=1
	v_add_co_u32_e32 v29, vcc, 1, v29
	v_cndmask_b32_e64 v0, 0, 1, vcc
	v_addc_co_u32_e32 v30, vcc, 0, v30, vcc
	v_cmp_eq_u32_e32 vcc, 0, v30
	v_cndmask_b32_e32 v0, 0, v0, vcc
	v_add_u32_e32 v44, v0, v44
	v_cmp_eq_u32_e32 vcc, 0, v44
	v_cndmask_b32_e32 v0, 0, v0, vcc
	v_add_u32_e32 v45, v0, v45
	v_mad_u64_u32 v[0:1], s[6:7], v29, s15, 0
	v_mad_u64_u32 v[6:7], s[6:7], v44, s16, 0
	v_xor_b32_e32 v1, v1, v15
	v_xor_b32_e32 v7, v7, v14
	v_xor_b32_e32 v1, v45, v1
	v_xor_b32_e32 v7, v30, v7
	v_mad_u64_u32 v[10:11], s[6:7], v1, s16, 0
	v_mad_u64_u32 v[8:9], s[6:7], v7, s15, 0
	v_xor_b32_e32 v1, v28, v11
	v_xor_b32_e32 v1, v1, v6
	v_xor_b32_e32 v6, v31, v9
	v_xor_b32_e32 v6, v6, v0
	;; [unrolled: 6-line block ×10, first 2 shown]
	v_mov_b32_e32 v7, v12
	v_mov_b32_e32 v8, v13
	v_cmp_lt_i32_e32 vcc, 1, v18
	s_and_saveexec_b64 s[6:7], vcc
	s_xor_b64 s[6:7], exec, s[6:7]
	s_cbranch_execnz .LBB155_18
; %bb.9:                                ;   in Loop: Header=BB155_8 Depth=1
	s_andn2_saveexec_b64 s[6:7], s[6:7]
	s_cbranch_execnz .LBB155_23
.LBB155_10:                             ;   in Loop: Header=BB155_8 Depth=1
	s_or_b64 exec, exec, s[6:7]
	v_cmp_gt_i64_e32 vcc, s[0:1], v[16:17]
	s_and_saveexec_b64 s[6:7], vcc
	s_cbranch_execz .LBB155_12
.LBB155_11:                             ;   in Loop: Header=BB155_8 Depth=1
	v_cvt_f32_u32_e32 v1, v2
	v_mov_b32_e32 v2, 0x2f800000
	v_add_u32_e32 v9, s17, v40
	v_ashrrev_i32_e32 v11, 31, v9
	v_fmac_f32_e32 v2, 0x2f800000, v1
	v_mov_b32_e32 v1, s9
	v_add_co_u32_e32 v10, vcc, s8, v9
	v_addc_co_u32_e32 v11, vcc, v1, v11, vcc
	v_cmp_lt_f32_e32 vcc, v2, v39
	v_cndmask_b32_e64 v1, 0, 1.0, vcc
	global_store_short_d16_hi v[10:11], v1, off
.LBB155_12:                             ;   in Loop: Header=BB155_8 Depth=1
	s_or_b64 exec, exec, s[6:7]
	v_mov_b32_e32 v1, s14
	v_add_co_u32_e32 v10, vcc, s12, v16
	v_addc_co_u32_e32 v11, vcc, v1, v17, vcc
	v_cmp_gt_i64_e32 vcc, s[0:1], v[10:11]
	s_and_saveexec_b64 s[6:7], vcc
	s_cbranch_execz .LBB155_14
; %bb.13:                               ;   in Loop: Header=BB155_8 Depth=1
	v_cvt_f32_u32_e32 v1, v3
	v_mov_b32_e32 v9, 0x2f800000
	v_add_u32_e32 v2, s17, v43
	v_ashrrev_i32_e32 v3, 31, v2
	v_fmac_f32_e32 v9, 0x2f800000, v1
	v_mov_b32_e32 v1, s9
	v_add_co_u32_e32 v2, vcc, s8, v2
	v_addc_co_u32_e32 v3, vcc, v1, v3, vcc
	v_cmp_lt_f32_e32 vcc, v9, v39
	v_cndmask_b32_e64 v1, 0, 1.0, vcc
	global_store_short_d16_hi v[2:3], v1, off
.LBB155_14:                             ;   in Loop: Header=BB155_8 Depth=1
	s_or_b64 exec, exec, s[6:7]
	v_mov_b32_e32 v1, s19
	v_add_co_u32_e32 v2, vcc, s18, v16
	v_addc_co_u32_e32 v3, vcc, v1, v17, vcc
	v_cmp_gt_i64_e32 vcc, s[0:1], v[2:3]
	s_and_saveexec_b64 s[6:7], vcc
	s_cbranch_execz .LBB155_16
; %bb.15:                               ;   in Loop: Header=BB155_8 Depth=1
	v_cvt_f32_u32_e32 v1, v4
	v_mov_b32_e32 v4, 0x2f800000
	v_add_u32_e32 v2, s17, v42
	v_ashrrev_i32_e32 v3, 31, v2
	v_fmac_f32_e32 v4, 0x2f800000, v1
	v_mov_b32_e32 v1, s9
	v_add_co_u32_e32 v2, vcc, s8, v2
	v_addc_co_u32_e32 v3, vcc, v1, v3, vcc
	v_cmp_lt_f32_e32 vcc, v4, v39
	v_cndmask_b32_e64 v1, 0, 1.0, vcc
	global_store_short_d16_hi v[2:3], v1, off
.LBB155_16:                             ;   in Loop: Header=BB155_8 Depth=1
	s_or_b64 exec, exec, s[6:7]
	v_mov_b32_e32 v1, s21
	v_add_co_u32_e32 v2, vcc, s20, v16
	v_addc_co_u32_e32 v3, vcc, v1, v17, vcc
	v_cmp_gt_i64_e32 vcc, s[0:1], v[2:3]
	s_and_saveexec_b64 s[6:7], vcc
	s_cbranch_execz .LBB155_7
; %bb.17:                               ;   in Loop: Header=BB155_8 Depth=1
	v_cvt_f32_u32_e32 v1, v5
	v_mov_b32_e32 v4, 0x2f800000
	v_add_u32_e32 v2, s17, v41
	v_ashrrev_i32_e32 v3, 31, v2
	v_fmac_f32_e32 v4, 0x2f800000, v1
	v_mov_b32_e32 v1, s9
	v_add_co_u32_e32 v2, vcc, s8, v2
	v_addc_co_u32_e32 v3, vcc, v1, v3, vcc
	v_cmp_lt_f32_e32 vcc, v4, v39
	v_cndmask_b32_e64 v1, 0, 1.0, vcc
	global_store_short_d16_hi v[2:3], v1, off
	s_branch .LBB155_7
.LBB155_18:                             ;   in Loop: Header=BB155_8 Depth=1
	v_cmp_lt_i32_e32 vcc, 2, v18
	s_and_saveexec_b64 s[10:11], vcc
	s_xor_b64 s[10:11], exec, s[10:11]
; %bb.19:                               ;   in Loop: Header=BB155_8 Depth=1
	v_mov_b32_e32 v10, v5
	v_mov_b32_e32 v11, v6
	v_pk_mov_b32 v[2:3], v[10:11], v[10:11] op_sel:[0,1]
	v_pk_mov_b32 v[4:5], v[12:13], v[12:13] op_sel:[0,1]
                                        ; implicit-def: $vgpr12_vgpr13
; %bb.20:                               ;   in Loop: Header=BB155_8 Depth=1
	s_andn2_saveexec_b64 s[10:11], s[10:11]
; %bb.21:                               ;   in Loop: Header=BB155_8 Depth=1
	v_mov_b32_e32 v2, v4
	v_mov_b32_e32 v3, v5
	;; [unrolled: 1-line block ×4, first 2 shown]
; %bb.22:                               ;   in Loop: Header=BB155_8 Depth=1
	s_or_b64 exec, exec, s[10:11]
	s_andn2_saveexec_b64 s[6:7], s[6:7]
	s_cbranch_execz .LBB155_10
.LBB155_23:                             ;   in Loop: Header=BB155_8 Depth=1
	v_cmp_eq_u32_e32 vcc, 1, v18
	s_and_saveexec_b64 s[10:11], vcc
; %bb.24:                               ;   in Loop: Header=BB155_8 Depth=1
	v_mov_b32_e32 v2, v3
	v_mov_b32_e32 v3, v4
	;; [unrolled: 1-line block ×4, first 2 shown]
; %bb.25:                               ;   in Loop: Header=BB155_8 Depth=1
	s_or_b64 exec, exec, s[10:11]
	s_or_b64 exec, exec, s[6:7]
	v_cmp_gt_i64_e32 vcc, s[0:1], v[16:17]
	s_and_saveexec_b64 s[6:7], vcc
	s_cbranch_execnz .LBB155_11
	s_branch .LBB155_12
.LBB155_26:
	s_endpgm
.LBB155_27:
                                        ; implicit-def: $sgpr8_sgpr9
	s_andn2_b64 vcc, exec, s[2:3]
	s_cbranch_vccz .LBB155_4
	s_branch .LBB155_5
	.section	.rodata,"a",@progbits
	.p2align	6, 0x0
	.amdhsa_kernel _ZN2at6native12_GLOBAL__N_143distribution_elementwise_grid_stride_kernelIfLi4EZNS0_9templates4cuda21uniform_and_transformIN3c108BFloat16EfPNS_17CUDAGeneratorImplEZZZNS4_16bernoulli_kernelIS9_EEvRNS_18TensorIteratorBaseEdT_ENKUlvE_clEvENKUlvE7_clEvEUlfE_EEvSC_T1_T2_EUlP25hiprandStatePhilox4_32_10E0_ZNS1_27distribution_nullary_kernelIS7_f15HIP_vector_typeIfLj4EES9_SL_SG_EEvSC_SI_RKT3_T4_EUlifE_EEvlNS_15PhiloxCudaStateESH_SI_
		.amdhsa_group_segment_fixed_size 0
		.amdhsa_private_segment_fixed_size 0
		.amdhsa_kernarg_size 328
		.amdhsa_user_sgpr_count 6
		.amdhsa_user_sgpr_private_segment_buffer 1
		.amdhsa_user_sgpr_dispatch_ptr 0
		.amdhsa_user_sgpr_queue_ptr 0
		.amdhsa_user_sgpr_kernarg_segment_ptr 1
		.amdhsa_user_sgpr_dispatch_id 0
		.amdhsa_user_sgpr_flat_scratch_init 0
		.amdhsa_user_sgpr_kernarg_preload_length 0
		.amdhsa_user_sgpr_kernarg_preload_offset 0
		.amdhsa_user_sgpr_private_segment_size 0
		.amdhsa_uses_dynamic_stack 0
		.amdhsa_system_sgpr_private_segment_wavefront_offset 0
		.amdhsa_system_sgpr_workgroup_id_x 1
		.amdhsa_system_sgpr_workgroup_id_y 0
		.amdhsa_system_sgpr_workgroup_id_z 0
		.amdhsa_system_sgpr_workgroup_info 0
		.amdhsa_system_vgpr_workitem_id 0
		.amdhsa_next_free_vgpr 48
		.amdhsa_next_free_sgpr 24
		.amdhsa_accum_offset 48
		.amdhsa_reserve_vcc 1
		.amdhsa_reserve_flat_scratch 0
		.amdhsa_float_round_mode_32 0
		.amdhsa_float_round_mode_16_64 0
		.amdhsa_float_denorm_mode_32 3
		.amdhsa_float_denorm_mode_16_64 3
		.amdhsa_dx10_clamp 1
		.amdhsa_ieee_mode 1
		.amdhsa_fp16_overflow 0
		.amdhsa_tg_split 0
		.amdhsa_exception_fp_ieee_invalid_op 0
		.amdhsa_exception_fp_denorm_src 0
		.amdhsa_exception_fp_ieee_div_zero 0
		.amdhsa_exception_fp_ieee_overflow 0
		.amdhsa_exception_fp_ieee_underflow 0
		.amdhsa_exception_fp_ieee_inexact 0
		.amdhsa_exception_int_div_zero 0
	.end_amdhsa_kernel
	.section	.text._ZN2at6native12_GLOBAL__N_143distribution_elementwise_grid_stride_kernelIfLi4EZNS0_9templates4cuda21uniform_and_transformIN3c108BFloat16EfPNS_17CUDAGeneratorImplEZZZNS4_16bernoulli_kernelIS9_EEvRNS_18TensorIteratorBaseEdT_ENKUlvE_clEvENKUlvE7_clEvEUlfE_EEvSC_T1_T2_EUlP25hiprandStatePhilox4_32_10E0_ZNS1_27distribution_nullary_kernelIS7_f15HIP_vector_typeIfLj4EES9_SL_SG_EEvSC_SI_RKT3_T4_EUlifE_EEvlNS_15PhiloxCudaStateESH_SI_,"axG",@progbits,_ZN2at6native12_GLOBAL__N_143distribution_elementwise_grid_stride_kernelIfLi4EZNS0_9templates4cuda21uniform_and_transformIN3c108BFloat16EfPNS_17CUDAGeneratorImplEZZZNS4_16bernoulli_kernelIS9_EEvRNS_18TensorIteratorBaseEdT_ENKUlvE_clEvENKUlvE7_clEvEUlfE_EEvSC_T1_T2_EUlP25hiprandStatePhilox4_32_10E0_ZNS1_27distribution_nullary_kernelIS7_f15HIP_vector_typeIfLj4EES9_SL_SG_EEvSC_SI_RKT3_T4_EUlifE_EEvlNS_15PhiloxCudaStateESH_SI_,comdat
.Lfunc_end155:
	.size	_ZN2at6native12_GLOBAL__N_143distribution_elementwise_grid_stride_kernelIfLi4EZNS0_9templates4cuda21uniform_and_transformIN3c108BFloat16EfPNS_17CUDAGeneratorImplEZZZNS4_16bernoulli_kernelIS9_EEvRNS_18TensorIteratorBaseEdT_ENKUlvE_clEvENKUlvE7_clEvEUlfE_EEvSC_T1_T2_EUlP25hiprandStatePhilox4_32_10E0_ZNS1_27distribution_nullary_kernelIS7_f15HIP_vector_typeIfLj4EES9_SL_SG_EEvSC_SI_RKT3_T4_EUlifE_EEvlNS_15PhiloxCudaStateESH_SI_, .Lfunc_end155-_ZN2at6native12_GLOBAL__N_143distribution_elementwise_grid_stride_kernelIfLi4EZNS0_9templates4cuda21uniform_and_transformIN3c108BFloat16EfPNS_17CUDAGeneratorImplEZZZNS4_16bernoulli_kernelIS9_EEvRNS_18TensorIteratorBaseEdT_ENKUlvE_clEvENKUlvE7_clEvEUlfE_EEvSC_T1_T2_EUlP25hiprandStatePhilox4_32_10E0_ZNS1_27distribution_nullary_kernelIS7_f15HIP_vector_typeIfLj4EES9_SL_SG_EEvSC_SI_RKT3_T4_EUlifE_EEvlNS_15PhiloxCudaStateESH_SI_
                                        ; -- End function
	.section	.AMDGPU.csdata,"",@progbits
; Kernel info:
; codeLenInByte = 2476
; NumSgprs: 28
; NumVgprs: 48
; NumAgprs: 0
; TotalNumVgprs: 48
; ScratchSize: 0
; MemoryBound: 0
; FloatMode: 240
; IeeeMode: 1
; LDSByteSize: 0 bytes/workgroup (compile time only)
; SGPRBlocks: 3
; VGPRBlocks: 5
; NumSGPRsForWavesPerEU: 28
; NumVGPRsForWavesPerEU: 48
; AccumOffset: 48
; Occupancy: 8
; WaveLimiterHint : 0
; COMPUTE_PGM_RSRC2:SCRATCH_EN: 0
; COMPUTE_PGM_RSRC2:USER_SGPR: 6
; COMPUTE_PGM_RSRC2:TRAP_HANDLER: 0
; COMPUTE_PGM_RSRC2:TGID_X_EN: 1
; COMPUTE_PGM_RSRC2:TGID_Y_EN: 0
; COMPUTE_PGM_RSRC2:TGID_Z_EN: 0
; COMPUTE_PGM_RSRC2:TIDIG_COMP_CNT: 0
; COMPUTE_PGM_RSRC3_GFX90A:ACCUM_OFFSET: 11
; COMPUTE_PGM_RSRC3_GFX90A:TG_SPLIT: 0
	.section	.text._ZN2at6native12_GLOBAL__N_143distribution_elementwise_grid_stride_kernelIfLi4EZNS0_9templates4cuda21uniform_and_transformIN3c108BFloat16EfPNS_17CUDAGeneratorImplEZZZNS4_16bernoulli_kernelIS9_EEvRNS_18TensorIteratorBaseEdT_ENKUlvE_clEvENKUlvE7_clEvEUlfE_EEvSC_T1_T2_EUlP25hiprandStatePhilox4_32_10E0_ZNS1_27distribution_nullary_kernelIS7_f15HIP_vector_typeIfLj4EES9_SL_SG_EEvSC_SI_RKT3_T4_EUlifE0_EEvlNS_15PhiloxCudaStateESH_SI_,"axG",@progbits,_ZN2at6native12_GLOBAL__N_143distribution_elementwise_grid_stride_kernelIfLi4EZNS0_9templates4cuda21uniform_and_transformIN3c108BFloat16EfPNS_17CUDAGeneratorImplEZZZNS4_16bernoulli_kernelIS9_EEvRNS_18TensorIteratorBaseEdT_ENKUlvE_clEvENKUlvE7_clEvEUlfE_EEvSC_T1_T2_EUlP25hiprandStatePhilox4_32_10E0_ZNS1_27distribution_nullary_kernelIS7_f15HIP_vector_typeIfLj4EES9_SL_SG_EEvSC_SI_RKT3_T4_EUlifE0_EEvlNS_15PhiloxCudaStateESH_SI_,comdat
	.globl	_ZN2at6native12_GLOBAL__N_143distribution_elementwise_grid_stride_kernelIfLi4EZNS0_9templates4cuda21uniform_and_transformIN3c108BFloat16EfPNS_17CUDAGeneratorImplEZZZNS4_16bernoulli_kernelIS9_EEvRNS_18TensorIteratorBaseEdT_ENKUlvE_clEvENKUlvE7_clEvEUlfE_EEvSC_T1_T2_EUlP25hiprandStatePhilox4_32_10E0_ZNS1_27distribution_nullary_kernelIS7_f15HIP_vector_typeIfLj4EES9_SL_SG_EEvSC_SI_RKT3_T4_EUlifE0_EEvlNS_15PhiloxCudaStateESH_SI_ ; -- Begin function _ZN2at6native12_GLOBAL__N_143distribution_elementwise_grid_stride_kernelIfLi4EZNS0_9templates4cuda21uniform_and_transformIN3c108BFloat16EfPNS_17CUDAGeneratorImplEZZZNS4_16bernoulli_kernelIS9_EEvRNS_18TensorIteratorBaseEdT_ENKUlvE_clEvENKUlvE7_clEvEUlfE_EEvSC_T1_T2_EUlP25hiprandStatePhilox4_32_10E0_ZNS1_27distribution_nullary_kernelIS7_f15HIP_vector_typeIfLj4EES9_SL_SG_EEvSC_SI_RKT3_T4_EUlifE0_EEvlNS_15PhiloxCudaStateESH_SI_
	.p2align	8
	.type	_ZN2at6native12_GLOBAL__N_143distribution_elementwise_grid_stride_kernelIfLi4EZNS0_9templates4cuda21uniform_and_transformIN3c108BFloat16EfPNS_17CUDAGeneratorImplEZZZNS4_16bernoulli_kernelIS9_EEvRNS_18TensorIteratorBaseEdT_ENKUlvE_clEvENKUlvE7_clEvEUlfE_EEvSC_T1_T2_EUlP25hiprandStatePhilox4_32_10E0_ZNS1_27distribution_nullary_kernelIS7_f15HIP_vector_typeIfLj4EES9_SL_SG_EEvSC_SI_RKT3_T4_EUlifE0_EEvlNS_15PhiloxCudaStateESH_SI_,@function
_ZN2at6native12_GLOBAL__N_143distribution_elementwise_grid_stride_kernelIfLi4EZNS0_9templates4cuda21uniform_and_transformIN3c108BFloat16EfPNS_17CUDAGeneratorImplEZZZNS4_16bernoulli_kernelIS9_EEvRNS_18TensorIteratorBaseEdT_ENKUlvE_clEvENKUlvE7_clEvEUlfE_EEvSC_T1_T2_EUlP25hiprandStatePhilox4_32_10E0_ZNS1_27distribution_nullary_kernelIS7_f15HIP_vector_typeIfLj4EES9_SL_SG_EEvSC_SI_RKT3_T4_EUlifE0_EEvlNS_15PhiloxCudaStateESH_SI_: ; @_ZN2at6native12_GLOBAL__N_143distribution_elementwise_grid_stride_kernelIfLi4EZNS0_9templates4cuda21uniform_and_transformIN3c108BFloat16EfPNS_17CUDAGeneratorImplEZZZNS4_16bernoulli_kernelIS9_EEvRNS_18TensorIteratorBaseEdT_ENKUlvE_clEvENKUlvE7_clEvEUlfE_EEvSC_T1_T2_EUlP25hiprandStatePhilox4_32_10E0_ZNS1_27distribution_nullary_kernelIS7_f15HIP_vector_typeIfLj4EES9_SL_SG_EEvSC_SI_RKT3_T4_EUlifE0_EEvlNS_15PhiloxCudaStateESH_SI_
; %bb.0:
	s_load_dword s2, s[4:5], 0x20
	s_load_dwordx2 s[0:1], s[4:5], 0x10
	s_load_dwordx4 s[24:27], s[4:5], 0x0
	s_waitcnt lgkmcnt(0)
	s_bitcmp0_b32 s2, 0
	s_mov_b32 s2, 0
	v_pk_mov_b32 v[2:3], s[0:1], s[0:1] op_sel:[0,1]
	v_pk_mov_b32 v[12:13], s[26:27], s[26:27] op_sel:[0,1]
	s_cbranch_scc1 .LBB156_2
; %bb.1:
	v_pk_mov_b32 v[2:3], s[0:1], s[0:1] op_sel:[0,1]
	flat_load_dwordx2 v[2:3], v[2:3]
	v_pk_mov_b32 v[4:5], s[26:27], s[26:27] op_sel:[0,1]
	flat_load_dwordx2 v[12:13], v[4:5]
	s_load_dwordx2 s[0:1], s[4:5], 0x18
	s_waitcnt lgkmcnt(0)
	v_mov_b32_e32 v1, s1
	s_waitcnt vmcnt(0)
	v_add_co_u32_e32 v2, vcc, s0, v2
	v_addc_co_u32_e32 v3, vcc, v3, v1, vcc
.LBB156_2:
	s_load_dword s0, s[4:5], 0x154
	s_load_dword s7, s[4:5], 0x148
	s_waitcnt lgkmcnt(0)
	s_and_b32 s8, s0, 0xffff
	s_add_u32 s9, s24, -1
	s_mul_i32 s33, s7, s8
	s_addc_u32 s3, s25, -1
	s_lshl_b32 s58, s33, 2
	s_cmp_lg_u64 s[2:3], 0
	s_mov_b64 s[0:1], -1
	s_cbranch_scc0 .LBB156_83
; %bb.3:
	v_cvt_f32_u32_e32 v1, s58
	v_cvt_f32_ubyte0_e32 v4, 0
	s_sub_u32 s2, 0, s58
	s_subb_u32 s10, 0, 0
	v_madmk_f32 v1, v4, 0x4f800000, v1
	v_rcp_f32_e32 v1, v1
	v_mul_f32_e32 v1, 0x5f7ffffc, v1
	v_mul_f32_e32 v4, 0x2f800000, v1
	v_trunc_f32_e32 v4, v4
	v_madmk_f32 v1, v4, 0xcf800000, v1
	v_cvt_u32_f32_e32 v4, v4
	v_cvt_u32_f32_e32 v1, v1
	v_readfirstlane_b32 s11, v4
	v_readfirstlane_b32 s12, v1
	s_mul_i32 s13, s2, s11
	s_mul_hi_u32 s15, s2, s12
	s_mul_i32 s14, s10, s12
	s_add_i32 s13, s15, s13
	s_add_i32 s13, s13, s14
	s_mul_i32 s16, s2, s12
	s_mul_hi_u32 s14, s12, s13
	s_mul_i32 s15, s12, s13
	s_mul_hi_u32 s12, s12, s16
	s_add_u32 s12, s12, s15
	s_addc_u32 s14, 0, s14
	s_mul_hi_u32 s17, s11, s16
	s_mul_i32 s16, s11, s16
	s_add_u32 s12, s12, s16
	s_mul_hi_u32 s15, s11, s13
	s_addc_u32 s12, s14, s17
	s_addc_u32 s14, s15, 0
	s_mul_i32 s13, s11, s13
	s_add_u32 s12, s12, s13
	s_addc_u32 s13, 0, s14
	v_add_co_u32_e32 v1, vcc, s12, v1
	s_cmp_lg_u64 vcc, 0
	s_addc_u32 s11, s11, s13
	v_readfirstlane_b32 s13, v1
	s_mul_i32 s12, s2, s11
	s_mul_hi_u32 s14, s2, s13
	s_add_i32 s12, s14, s12
	s_mul_i32 s10, s10, s13
	s_add_i32 s12, s12, s10
	s_mul_i32 s2, s2, s13
	s_mul_hi_u32 s14, s11, s2
	s_mul_i32 s15, s11, s2
	s_mul_i32 s17, s13, s12
	s_mul_hi_u32 s2, s13, s2
	s_mul_hi_u32 s16, s13, s12
	s_add_u32 s2, s2, s17
	s_addc_u32 s13, 0, s16
	s_add_u32 s2, s2, s15
	s_mul_hi_u32 s10, s11, s12
	s_addc_u32 s2, s13, s14
	s_addc_u32 s10, s10, 0
	s_mul_i32 s12, s11, s12
	s_add_u32 s2, s2, s12
	s_addc_u32 s10, 0, s10
	v_add_co_u32_e32 v1, vcc, s2, v1
	s_cmp_lg_u64 vcc, 0
	s_addc_u32 s12, s11, s10
	s_ashr_i32 s10, s3, 31
	s_add_u32 s2, s9, s10
	s_mov_b32 s11, s10
	s_addc_u32 s3, s3, s10
	s_xor_b64 s[2:3], s[2:3], s[10:11]
	v_readfirstlane_b32 s15, v1
	s_mul_i32 s14, s2, s12
	s_mul_hi_u32 s16, s2, s15
	s_mul_hi_u32 s13, s2, s12
	s_add_u32 s14, s16, s14
	s_addc_u32 s13, 0, s13
	s_mul_hi_u32 s17, s3, s15
	s_mul_i32 s15, s3, s15
	s_add_u32 s14, s14, s15
	s_mul_hi_u32 s16, s3, s12
	s_addc_u32 s13, s13, s17
	s_addc_u32 s14, s16, 0
	s_mul_i32 s12, s3, s12
	s_add_u32 s12, s13, s12
	s_addc_u32 s13, 0, s14
	s_add_u32 s14, s12, 1
	s_addc_u32 s15, s13, 0
	s_add_u32 s16, s12, 2
	s_mul_i32 s18, s58, s13
	s_mul_hi_u32 s19, s58, s12
	s_addc_u32 s17, s13, 0
	s_add_i32 s19, s19, s18
	s_mul_i32 s18, s58, s12
	v_mov_b32_e32 v1, s18
	v_sub_co_u32_e32 v1, vcc, s2, v1
	s_cmp_lg_u64 vcc, 0
	s_subb_u32 s2, s3, s19
	v_subrev_co_u32_e32 v4, vcc, s58, v1
	s_cmp_lg_u64 vcc, 0
	s_subb_u32 s3, s2, 0
	v_readfirstlane_b32 s18, v4
	s_cmp_ge_u32 s18, s58
	s_cselect_b32 s18, -1, 0
	s_cmp_eq_u32 s3, 0
	s_cselect_b32 s3, s18, -1
	s_cmp_lg_u32 s3, 0
	s_cselect_b32 s3, s17, s15
	v_readfirstlane_b32 s15, v1
	s_cselect_b32 s14, s16, s14
	s_cmp_ge_u32 s15, s58
	s_cselect_b32 s15, -1, 0
	s_cmp_eq_u32 s2, 0
	s_cselect_b32 s2, s15, -1
	s_cmp_lg_u32 s2, 0
	s_cselect_b32 s3, s3, s13
	s_cselect_b32 s2, s14, s12
	s_xor_b64 s[2:3], s[2:3], s[10:11]
	s_sub_u32 s2, s2, s10
	s_subb_u32 s3, s3, s10
	s_cbranch_execnz .LBB156_5
.LBB156_4:
	v_cvt_f32_u32_e32 v1, s58
	s_sub_i32 s0, 0, s58
	s_mov_b32 s3, 0
	v_rcp_iflag_f32_e32 v1, v1
	v_mul_f32_e32 v1, 0x4f7ffffe, v1
	v_cvt_u32_f32_e32 v1, v1
	v_readfirstlane_b32 s1, v1
	s_mul_i32 s0, s0, s1
	s_mul_hi_u32 s0, s1, s0
	s_add_i32 s1, s1, s0
	s_mul_hi_u32 s0, s9, s1
	s_mul_i32 s2, s0, s58
	s_sub_i32 s2, s9, s2
	s_add_i32 s1, s0, 1
	s_sub_i32 s9, s2, s58
	s_cmp_ge_u32 s2, s58
	s_cselect_b32 s0, s1, s0
	s_cselect_b32 s2, s9, s2
	s_add_i32 s1, s0, 1
	s_cmp_ge_u32 s2, s58
	s_cselect_b32 s2, s1, s0
.LBB156_5:
	v_mov_b32_e32 v1, 0
	v_mov_b32_e32 v4, s6
	v_mad_u64_u32 v[14:15], s[0:1], s8, v4, v[0:1]
	s_add_u32 s0, s2, 1
	s_addc_u32 s1, s3, 0
	s_mul_hi_u32 s2, s7, s8
	s_mul_i32 s1, s33, s1
	s_mul_hi_u32 s3, s33, s0
	s_add_i32 s1, s3, s1
	s_mul_i32 s2, s2, s0
	s_add_i32 s1, s1, s2
	s_mul_i32 s0, s33, s0
	s_lshl_b64 s[26:27], s[0:1], 2
	v_cmp_gt_i64_e32 vcc, s[26:27], v[14:15]
	s_and_saveexec_b64 s[0:1], vcc
	s_cbranch_execz .LBB156_82
; %bb.6:
	s_mov_b32 s0, 0x5384540f
	v_mov_b32_e32 v0, v13
	v_add_co_u32_e32 v22, vcc, s0, v12
	s_mov_b32 s0, 0x646e171e
	v_add_co_u32_e32 v23, vcc, s0, v0
	s_mov_b32 s0, 0x1715609d
	;; [unrolled: 2-line block ×6, first 2 shown]
	v_alignbit_b32 v29, v3, v2, 2
	s_mov_b32 s60, 0xd2511f53
	v_add_co_u32_e32 v28, vcc, s0, v12
	v_mad_u64_u32 v[4:5], s[0:1], v29, s60, 0
	v_xor_b32_e32 v1, v5, v13
	v_xor_b32_e32 v1, v1, v15
	s_mov_b32 s61, 0xcd9e8d57
	v_mad_u64_u32 v[6:7], s[0:1], v1, s61, 0
	v_xor_b32_e32 v1, v28, v7
	v_mad_u64_u32 v[8:9], s[0:1], v14, s61, 0
	v_and_b32_e32 v18, 3, v2
	v_xor_b32_e32 v1, v1, v8
	v_xor_b32_e32 v2, v12, v9
	v_lshrrev_b32_e32 v30, 2, v3
	v_mad_u64_u32 v[10:11], s[0:1], v1, s60, 0
	v_xor_b32_e32 v2, v2, v30
	v_xor_b32_e32 v1, v27, v11
	v_mad_u64_u32 v[2:3], s[0:1], v2, s60, 0
	v_xor_b32_e32 v1, v1, v2
	v_mad_u64_u32 v[8:9], s[0:1], v1, s61, 0
	s_mov_b32 s0, 0xbb67ae85
	v_add_co_u32_e32 v31, vcc, s0, v0
	v_xor_b32_e32 v2, v31, v3
	v_xor_b32_e32 v2, v2, v4
	v_xor_b32_e32 v1, v26, v9
	v_mad_u64_u32 v[2:3], s[0:1], v2, s61, 0
	v_xor_b32_e32 v1, v1, v2
	v_mad_u64_u32 v[4:5], s[0:1], v1, s60, 0
	s_mov_b32 s0, 0x3c6ef372
	v_add_co_u32_e32 v32, vcc, s0, v12
	v_xor_b32_e32 v2, v32, v3
	;; [unrolled: 8-line block ×6, first 2 shown]
	v_add_co_u32_e32 v21, vcc, 0xdb3d7428, v0
	v_xor_b32_e32 v2, v2, v6
	v_xor_b32_e32 v1, v21, v5
	v_mad_u64_u32 v[2:3], s[0:1], v2, s60, 0
	v_xor_b32_e32 v1, v1, v2
	v_mad_u64_u32 v[6:7], s[0:1], v1, s61, 0
	s_mov_b32 s0, 0x1fd5c5a3
	v_add_co_u32_e32 v37, vcc, s0, v0
	v_xor_b32_e32 v0, v37, v3
	v_xor_b32_e32 v0, v0, v10
	v_mad_u64_u32 v[0:1], s[0:1], v0, s61, 0
	s_mov_b32 s0, 0xf1bbcdc8
	s_load_dwordx8 s[8:15], s[4:5], 0x30
	v_add_co_u32_e32 v38, vcc, s0, v12
	v_xor_b32_e32 v1, v38, v1
	v_xor_b32_e32 v1, v1, v8
	s_add_u32 s34, s4, 48
	v_mad_u64_u32 v[8:9], s[0:1], v1, s60, 0
	s_addc_u32 s35, s5, 0
	s_waitcnt lgkmcnt(0)
	s_add_i32 s0, s8, -1
	s_cmp_gt_u32 s0, 1
	s_cselect_b64 s[40:41], -1, 0
	s_cmp_lg_u32 s8, 0
	s_cselect_b64 s[42:43], -1, 0
	s_add_u32 s44, s4, 0xf4
	s_addc_u32 s45, s5, 0
	s_load_dwordx2 s[46:47], s[4:5], 0xf4
	s_load_dwordx4 s[28:31], s[4:5], 0x138
	s_min_u32 s1, s0, 15
	s_cmp_gt_u32 s8, 1
	s_cselect_b64 s[48:49], -1, 0
	s_add_i32 s1, s1, 1
	s_mov_b32 s8, s13
	s_lshl_b32 s13, s33, 1
	s_and_b32 s64, s1, 3
	s_cmp_lg_u32 s0, 2
	s_waitcnt lgkmcnt(0)
	v_cvt_f32_f64_e32 v39, s[30:31]
	s_cselect_b64 s[30:31], -1, 0
	s_and_b32 s65, s1, 28
	s_mov_b32 s59, 0
	v_add_u32_e32 v19, 0x8ff34781, v12
	v_add_u32_e32 v20, 0x96a522ad, v13
	v_xor_b32_e32 v0, v7, v0
	v_xor_b32_e32 v1, v9, v4
	s_cmp_lg_u32 s64, 0
	v_xor_b32_e32 v0, v19, v0
	v_xor_b32_e32 v2, v20, v1
	v_mov_b32_e32 v1, v6
	v_mov_b32_e32 v3, v8
	s_mov_b32 s15, s59
	s_mul_i32 s62, s33, 3
	s_mov_b32 s63, s59
	s_mov_b64 s[50:51], 0
	s_cselect_b64 s[52:53], -1, 0
	v_mov_b32_e32 v40, v14
	v_mov_b32_e32 v41, v15
	s_branch .LBB156_9
.LBB156_7:                              ;   in Loop: Header=BB156_9 Depth=1
	v_cvt_f32_u32_e32 v0, v3
	v_mov_b32_e32 v1, 0x2f800000
	v_fmac_f32_e32 v1, 0x2f800000, v0
	v_cmp_lt_f32_e32 vcc, v1, v39
	v_cndmask_b32_e64 v0, 0, 1.0, vcc
	global_store_short_d16_hi v8, v0, s[28:29]
.LBB156_8:                              ;   in Loop: Header=BB156_9 Depth=1
	s_or_b64 exec, exec, s[36:37]
	v_add_co_u32_e32 v14, vcc, s58, v14
	v_addc_co_u32_e32 v15, vcc, 0, v15, vcc
	v_mov_b32_e32 v7, v16
	v_cmp_le_i64_e32 vcc, s[26:27], v[14:15]
	v_pk_mov_b32 v[0:1], v[4:5], v[4:5] op_sel:[0,1]
	s_or_b64 s[50:51], vcc, s[50:51]
	v_pk_mov_b32 v[2:3], v[6:7], v[6:7] op_sel:[0,1]
	s_barrier
	s_andn2_b64 exec, exec, s[50:51]
	s_cbranch_execz .LBB156_82
.LBB156_9:                              ; =>This Loop Header: Depth=1
                                        ;     Child Loop BB156_24 Depth 2
                                        ;     Child Loop BB156_30 Depth 2
	;; [unrolled: 1-line block ×8, first 2 shown]
	v_add_co_u32_e32 v29, vcc, 1, v29
	v_cndmask_b32_e64 v4, 0, 1, vcc
	v_addc_co_u32_e32 v30, vcc, 0, v30, vcc
	v_cmp_eq_u32_e32 vcc, 0, v30
	v_cndmask_b32_e32 v4, 0, v4, vcc
	v_add_u32_e32 v40, v4, v40
	v_cmp_eq_u32_e32 vcc, 0, v40
	v_cndmask_b32_e32 v4, 0, v4, vcc
	v_add_u32_e32 v41, v4, v41
	v_mad_u64_u32 v[4:5], s[0:1], v29, s60, 0
	v_mad_u64_u32 v[6:7], s[0:1], v40, s61, 0
	v_xor_b32_e32 v5, v5, v13
	v_xor_b32_e32 v7, v7, v12
	v_xor_b32_e32 v5, v41, v5
	v_xor_b32_e32 v7, v30, v7
	v_mad_u64_u32 v[10:11], s[0:1], v5, s61, 0
	v_mad_u64_u32 v[8:9], s[0:1], v7, s60, 0
	v_xor_b32_e32 v5, v28, v11
	v_xor_b32_e32 v5, v5, v6
	v_xor_b32_e32 v6, v31, v9
	v_xor_b32_e32 v6, v6, v4
	;; [unrolled: 6-line block ×10, first 2 shown]
	v_mov_b32_e32 v5, v10
	v_mov_b32_e32 v6, v11
	v_cmp_lt_i32_e32 vcc, 1, v18
	s_and_saveexec_b64 s[0:1], vcc
	s_xor_b64 s[0:1], exec, s[0:1]
	s_cbranch_execz .LBB156_15
; %bb.10:                               ;   in Loop: Header=BB156_9 Depth=1
	v_cmp_lt_i32_e32 vcc, 2, v18
	s_and_saveexec_b64 s[2:3], vcc
	s_xor_b64 s[2:3], exec, s[2:3]
; %bb.11:                               ;   in Loop: Header=BB156_9 Depth=1
	v_mov_b32_e32 v8, v3
	v_mov_b32_e32 v9, v4
	v_pk_mov_b32 v[0:1], v[8:9], v[8:9] op_sel:[0,1]
	v_pk_mov_b32 v[2:3], v[10:11], v[10:11] op_sel:[0,1]
                                        ; implicit-def: $vgpr10_vgpr11
; %bb.12:                               ;   in Loop: Header=BB156_9 Depth=1
	s_andn2_saveexec_b64 s[2:3], s[2:3]
; %bb.13:                               ;   in Loop: Header=BB156_9 Depth=1
	v_mov_b32_e32 v0, v2
	v_mov_b32_e32 v1, v3
	;; [unrolled: 1-line block ×4, first 2 shown]
; %bb.14:                               ;   in Loop: Header=BB156_9 Depth=1
	s_or_b64 exec, exec, s[2:3]
.LBB156_15:                             ;   in Loop: Header=BB156_9 Depth=1
	s_andn2_saveexec_b64 s[0:1], s[0:1]
	s_cbranch_execz .LBB156_19
; %bb.16:                               ;   in Loop: Header=BB156_9 Depth=1
	v_cmp_eq_u32_e32 vcc, 1, v18
	s_and_saveexec_b64 s[2:3], vcc
; %bb.17:                               ;   in Loop: Header=BB156_9 Depth=1
	v_mov_b32_e32 v0, v1
	v_mov_b32_e32 v1, v2
	;; [unrolled: 1-line block ×4, first 2 shown]
; %bb.18:                               ;   in Loop: Header=BB156_9 Depth=1
	s_or_b64 exec, exec, s[2:3]
.LBB156_19:                             ;   in Loop: Header=BB156_9 Depth=1
	s_or_b64 exec, exec, s[0:1]
	v_cndmask_b32_e64 v7, 0, 1, s[40:41]
	v_cmp_gt_i64_e32 vcc, s[24:25], v[14:15]
	v_cmp_ne_u32_e64 s[0:1], 1, v7
	s_and_saveexec_b64 s[2:3], vcc
	s_cbranch_execz .LBB156_35
; %bb.20:                               ;   in Loop: Header=BB156_9 Depth=1
	s_and_b64 vcc, exec, s[0:1]
	s_cbranch_vccnz .LBB156_26
; %bb.21:                               ;   in Loop: Header=BB156_9 Depth=1
	s_andn2_b64 vcc, exec, s[42:43]
	s_cbranch_vccnz .LBB156_27
; %bb.22:                               ;   in Loop: Header=BB156_9 Depth=1
	s_mov_b32 s6, 0
	s_andn2_b64 vcc, exec, s[30:31]
	v_mov_b32_e32 v8, 0
	s_cbranch_vccnz .LBB156_28
; %bb.23:                               ;   in Loop: Header=BB156_9 Depth=1
	s_mov_b32 s66, 0
	v_mov_b32_e32 v8, 0
	s_mov_b64 s[54:55], s[34:35]
	s_mov_b64 s[56:57], s[44:45]
	v_mov_b32_e32 v7, v14
.LBB156_24:                             ;   Parent Loop BB156_9 Depth=1
                                        ; =>  This Inner Loop Header: Depth=2
	s_load_dwordx8 s[16:23], s[54:55], 0x4
	s_load_dwordx4 s[4:7], s[54:55], 0x24
	s_load_dwordx4 s[36:39], s[56:57], 0x0
	s_add_u32 s54, s54, 48
	s_addc_u32 s55, s55, 0
	s_waitcnt lgkmcnt(0)
	v_mul_hi_u32 v9, s17, v7
	v_add_u32_e32 v9, v7, v9
	v_lshrrev_b32_e32 v9, s18, v9
	v_mul_lo_u32 v10, v9, s16
	v_mul_hi_u32 v11, s20, v9
	v_sub_u32_e32 v7, v7, v10
	v_add_u32_e32 v10, v9, v11
	v_lshrrev_b32_e32 v10, s21, v10
	v_mul_lo_u32 v11, v10, s19
	v_mul_hi_u32 v17, s23, v10
	v_sub_u32_e32 v9, v9, v11
	v_add_u32_e32 v11, v10, v17
	v_mul_lo_u32 v7, v7, s36
	v_mul_lo_u32 v9, v9, s37
	v_lshrrev_b32_e32 v11, s4, v11
	v_add3_u32 v8, v7, v8, v9
	v_mul_lo_u32 v7, v11, s22
	v_mul_hi_u32 v9, s6, v11
	v_sub_u32_e32 v7, v10, v7
	v_add_u32_e32 v9, v11, v9
	v_mul_lo_u32 v10, v7, s38
	v_lshrrev_b32_e32 v7, s7, v9
	s_add_i32 s66, s66, 4
	v_mul_lo_u32 v9, v7, s5
	s_add_u32 s56, s56, 16
	v_sub_u32_e32 v9, v11, v9
	s_addc_u32 s57, s57, 0
	v_mul_lo_u32 v9, v9, s39
	s_cmp_lg_u32 s65, s66
	v_add3_u32 v8, v10, v8, v9
	s_cbranch_scc1 .LBB156_24
; %bb.25:                               ;   in Loop: Header=BB156_9 Depth=1
	s_mov_b32 s6, s65
	s_andn2_b64 vcc, exec, s[52:53]
	s_cbranch_vccz .LBB156_29
	s_branch .LBB156_31
.LBB156_26:                             ;   in Loop: Header=BB156_9 Depth=1
                                        ; implicit-def: $vgpr8
	s_branch .LBB156_32
.LBB156_27:                             ;   in Loop: Header=BB156_9 Depth=1
	v_mov_b32_e32 v8, 0
	s_branch .LBB156_31
.LBB156_28:                             ;   in Loop: Header=BB156_9 Depth=1
	v_mov_b32_e32 v7, v14
	s_andn2_b64 vcc, exec, s[52:53]
	s_cbranch_vccnz .LBB156_31
.LBB156_29:                             ;   in Loop: Header=BB156_9 Depth=1
	s_lshl_b32 s4, s6, 2
	s_add_u32 s4, s44, s4
	s_addc_u32 s5, s45, 0
	s_mul_i32 s6, s6, 12
	s_add_u32 s6, s34, s6
	s_addc_u32 s7, s35, 0
	s_mov_b32 s16, s64
.LBB156_30:                             ;   Parent Loop BB156_9 Depth=1
                                        ; =>  This Inner Loop Header: Depth=2
	s_load_dwordx2 s[18:19], s[6:7], 0x4
	s_load_dword s17, s[6:7], 0xc
	s_load_dword s20, s[4:5], 0x0
	s_add_u32 s6, s6, 12
	s_addc_u32 s7, s7, 0
	s_waitcnt lgkmcnt(0)
	v_mul_hi_u32 v9, s19, v7
	v_add_u32_e32 v9, v7, v9
	v_lshrrev_b32_e32 v9, s17, v9
	s_add_u32 s4, s4, 4
	v_mul_lo_u32 v10, v9, s18
	s_addc_u32 s5, s5, 0
	s_add_i32 s16, s16, -1
	v_sub_u32_e32 v10, v7, v10
	s_cmp_lg_u32 s16, 0
	v_mov_b32_e32 v7, v9
	v_mad_u64_u32 v[8:9], s[18:19], v10, s20, v[8:9]
	s_cbranch_scc1 .LBB156_30
.LBB156_31:                             ;   in Loop: Header=BB156_9 Depth=1
	s_cbranch_execnz .LBB156_34
.LBB156_32:                             ;   in Loop: Header=BB156_9 Depth=1
	v_mul_hi_u32 v7, v14, s10
	v_add_u32_e32 v7, v7, v14
	v_lshrrev_b32_e32 v7, s11, v7
	v_mul_lo_u32 v8, v7, s9
	v_sub_u32_e32 v8, v14, v8
	s_andn2_b64 vcc, exec, s[48:49]
	v_mul_lo_u32 v8, v8, s46
	s_cbranch_vccnz .LBB156_34
; %bb.33:                               ;   in Loop: Header=BB156_9 Depth=1
	v_mul_hi_u32 v9, s8, v7
	v_add_u32_e32 v9, v7, v9
	v_lshrrev_b32_e32 v9, s14, v9
	v_mul_lo_u32 v9, v9, s12
	v_sub_u32_e32 v7, v7, v9
	v_mad_u64_u32 v[8:9], s[4:5], v7, s47, v[8:9]
.LBB156_34:                             ;   in Loop: Header=BB156_9 Depth=1
	v_cvt_f32_u32_e32 v0, v0
	v_mov_b32_e32 v7, 0x2f800000
	v_fmac_f32_e32 v7, 0x2f800000, v0
	v_cmp_lt_f32_e32 vcc, v7, v39
	v_cndmask_b32_e64 v0, 0, 1.0, vcc
	global_store_short_d16_hi v8, v0, s[28:29]
.LBB156_35:                             ;   in Loop: Header=BB156_9 Depth=1
	s_or_b64 exec, exec, s[2:3]
	v_mov_b32_e32 v0, s59
	v_add_co_u32_e32 v8, vcc, s33, v14
	v_addc_co_u32_e32 v9, vcc, v15, v0, vcc
	v_cmp_gt_i64_e32 vcc, s[24:25], v[8:9]
	s_and_saveexec_b64 s[2:3], vcc
	s_cbranch_execz .LBB156_51
; %bb.36:                               ;   in Loop: Header=BB156_9 Depth=1
	s_and_b64 vcc, exec, s[0:1]
	s_cbranch_vccnz .LBB156_42
; %bb.37:                               ;   in Loop: Header=BB156_9 Depth=1
	s_andn2_b64 vcc, exec, s[42:43]
	s_cbranch_vccnz .LBB156_43
; %bb.38:                               ;   in Loop: Header=BB156_9 Depth=1
	s_mov_b32 s6, 0
	s_andn2_b64 vcc, exec, s[30:31]
	v_mov_b32_e32 v10, 0
	s_cbranch_vccnz .LBB156_44
; %bb.39:                               ;   in Loop: Header=BB156_9 Depth=1
	s_mov_b32 s66, 0
	v_mov_b32_e32 v10, 0
	s_mov_b64 s[54:55], s[34:35]
	s_mov_b64 s[56:57], s[44:45]
	v_mov_b32_e32 v0, v8
.LBB156_40:                             ;   Parent Loop BB156_9 Depth=1
                                        ; =>  This Inner Loop Header: Depth=2
	s_load_dwordx8 s[16:23], s[54:55], 0x4
	s_load_dwordx4 s[4:7], s[54:55], 0x24
	s_load_dwordx4 s[36:39], s[56:57], 0x0
	s_add_u32 s54, s54, 48
	s_addc_u32 s55, s55, 0
	s_waitcnt lgkmcnt(0)
	v_mul_hi_u32 v7, s17, v0
	v_add_u32_e32 v7, v0, v7
	v_lshrrev_b32_e32 v7, s18, v7
	v_mul_lo_u32 v9, v7, s16
	v_mul_hi_u32 v11, s20, v7
	v_sub_u32_e32 v0, v0, v9
	v_add_u32_e32 v9, v7, v11
	v_lshrrev_b32_e32 v9, s21, v9
	v_mul_lo_u32 v11, v9, s19
	v_mul_hi_u32 v17, s23, v9
	v_sub_u32_e32 v7, v7, v11
	v_add_u32_e32 v11, v9, v17
	v_mul_lo_u32 v0, v0, s36
	v_mul_lo_u32 v7, v7, s37
	v_lshrrev_b32_e32 v11, s4, v11
	v_add3_u32 v7, v0, v10, v7
	v_mul_lo_u32 v0, v11, s22
	v_mul_hi_u32 v10, s6, v11
	v_sub_u32_e32 v0, v9, v0
	v_add_u32_e32 v9, v11, v10
	v_mul_lo_u32 v10, v0, s38
	v_lshrrev_b32_e32 v0, s7, v9
	s_add_i32 s66, s66, 4
	v_mul_lo_u32 v9, v0, s5
	s_add_u32 s56, s56, 16
	v_sub_u32_e32 v9, v11, v9
	s_addc_u32 s57, s57, 0
	v_mul_lo_u32 v9, v9, s39
	s_cmp_eq_u32 s65, s66
	v_add3_u32 v10, v10, v7, v9
	s_cbranch_scc0 .LBB156_40
; %bb.41:                               ;   in Loop: Header=BB156_9 Depth=1
	s_mov_b32 s6, s65
	s_andn2_b64 vcc, exec, s[52:53]
	s_cbranch_vccz .LBB156_45
	s_branch .LBB156_47
.LBB156_42:                             ;   in Loop: Header=BB156_9 Depth=1
                                        ; implicit-def: $vgpr10
	s_branch .LBB156_48
.LBB156_43:                             ;   in Loop: Header=BB156_9 Depth=1
	v_mov_b32_e32 v10, 0
	s_branch .LBB156_47
.LBB156_44:                             ;   in Loop: Header=BB156_9 Depth=1
	v_mov_b32_e32 v0, v8
	s_andn2_b64 vcc, exec, s[52:53]
	s_cbranch_vccnz .LBB156_47
.LBB156_45:                             ;   in Loop: Header=BB156_9 Depth=1
	s_lshl_b32 s4, s6, 2
	s_add_u32 s4, s44, s4
	s_addc_u32 s5, s45, 0
	s_mul_i32 s6, s6, 12
	s_add_u32 s6, s34, s6
	s_addc_u32 s7, s35, 0
	s_mov_b32 s16, s64
.LBB156_46:                             ;   Parent Loop BB156_9 Depth=1
                                        ; =>  This Inner Loop Header: Depth=2
	s_load_dwordx2 s[18:19], s[6:7], 0x4
	s_load_dword s17, s[6:7], 0xc
	s_load_dword s20, s[4:5], 0x0
	s_add_u32 s6, s6, 12
	s_addc_u32 s7, s7, 0
	s_waitcnt lgkmcnt(0)
	v_mul_hi_u32 v7, s19, v0
	v_add_u32_e32 v7, v0, v7
	v_lshrrev_b32_e32 v7, s17, v7
	s_add_u32 s4, s4, 4
	v_mul_lo_u32 v9, v7, s18
	s_addc_u32 s5, s5, 0
	s_add_i32 s16, s16, -1
	v_sub_u32_e32 v9, v0, v9
	s_cmp_lg_u32 s16, 0
	v_mov_b32_e32 v0, v7
	v_mad_u64_u32 v[10:11], s[18:19], v9, s20, v[10:11]
	s_cbranch_scc1 .LBB156_46
.LBB156_47:                             ;   in Loop: Header=BB156_9 Depth=1
	s_cbranch_execnz .LBB156_50
.LBB156_48:                             ;   in Loop: Header=BB156_9 Depth=1
	v_mul_hi_u32 v0, v8, s10
	v_add_u32_e32 v0, v0, v8
	v_lshrrev_b32_e32 v0, s11, v0
	v_mul_lo_u32 v7, v0, s9
	v_sub_u32_e32 v7, v8, v7
	s_andn2_b64 vcc, exec, s[48:49]
	v_mul_lo_u32 v10, v7, s46
	s_cbranch_vccnz .LBB156_50
; %bb.49:                               ;   in Loop: Header=BB156_9 Depth=1
	v_mul_hi_u32 v7, s8, v0
	v_add_u32_e32 v7, v0, v7
	v_lshrrev_b32_e32 v7, s14, v7
	v_mul_lo_u32 v7, v7, s12
	v_sub_u32_e32 v0, v0, v7
	v_mad_u64_u32 v[10:11], s[4:5], v0, s47, v[10:11]
.LBB156_50:                             ;   in Loop: Header=BB156_9 Depth=1
	v_cvt_f32_u32_e32 v0, v1
	v_mov_b32_e32 v1, 0x2f800000
	v_fmac_f32_e32 v1, 0x2f800000, v0
	v_cmp_lt_f32_e32 vcc, v1, v39
	v_cndmask_b32_e64 v0, 0, 1.0, vcc
	global_store_short_d16_hi v10, v0, s[28:29]
.LBB156_51:                             ;   in Loop: Header=BB156_9 Depth=1
	s_or_b64 exec, exec, s[2:3]
	v_mov_b32_e32 v1, s15
	v_add_co_u32_e32 v0, vcc, s13, v14
	v_addc_co_u32_e32 v1, vcc, v15, v1, vcc
	v_cmp_gt_i64_e32 vcc, s[24:25], v[0:1]
	s_and_saveexec_b64 s[2:3], vcc
	s_cbranch_execz .LBB156_67
; %bb.52:                               ;   in Loop: Header=BB156_9 Depth=1
	s_and_b64 vcc, exec, s[0:1]
	s_cbranch_vccnz .LBB156_58
; %bb.53:                               ;   in Loop: Header=BB156_9 Depth=1
	s_andn2_b64 vcc, exec, s[42:43]
	s_cbranch_vccnz .LBB156_59
; %bb.54:                               ;   in Loop: Header=BB156_9 Depth=1
	s_mov_b32 s6, 0
	s_andn2_b64 vcc, exec, s[30:31]
	v_mov_b32_e32 v8, 0
	s_cbranch_vccnz .LBB156_60
; %bb.55:                               ;   in Loop: Header=BB156_9 Depth=1
	s_mov_b32 s66, 0
	v_mov_b32_e32 v8, 0
	s_mov_b64 s[54:55], s[34:35]
	s_mov_b64 s[56:57], s[44:45]
	v_mov_b32_e32 v1, v0
.LBB156_56:                             ;   Parent Loop BB156_9 Depth=1
                                        ; =>  This Inner Loop Header: Depth=2
	s_load_dwordx8 s[16:23], s[54:55], 0x4
	s_load_dwordx4 s[4:7], s[54:55], 0x24
	s_load_dwordx4 s[36:39], s[56:57], 0x0
	s_add_u32 s54, s54, 48
	s_addc_u32 s55, s55, 0
	s_waitcnt lgkmcnt(0)
	v_mul_hi_u32 v7, s17, v1
	v_add_u32_e32 v7, v1, v7
	v_lshrrev_b32_e32 v7, s18, v7
	v_mul_lo_u32 v9, v7, s16
	v_mul_hi_u32 v10, s20, v7
	v_sub_u32_e32 v1, v1, v9
	v_add_u32_e32 v9, v7, v10
	v_lshrrev_b32_e32 v9, s21, v9
	v_mul_lo_u32 v10, v9, s19
	v_mul_hi_u32 v11, s23, v9
	v_sub_u32_e32 v7, v7, v10
	v_add_u32_e32 v10, v9, v11
	v_mul_lo_u32 v1, v1, s36
	v_mul_lo_u32 v7, v7, s37
	v_lshrrev_b32_e32 v10, s4, v10
	v_add3_u32 v7, v1, v8, v7
	v_mul_lo_u32 v1, v10, s22
	v_mul_hi_u32 v8, s6, v10
	v_sub_u32_e32 v1, v9, v1
	v_add_u32_e32 v8, v10, v8
	v_mul_lo_u32 v9, v1, s38
	v_lshrrev_b32_e32 v1, s7, v8
	s_add_i32 s66, s66, 4
	v_mul_lo_u32 v8, v1, s5
	s_add_u32 s56, s56, 16
	v_sub_u32_e32 v8, v10, v8
	s_addc_u32 s57, s57, 0
	v_mul_lo_u32 v8, v8, s39
	s_cmp_eq_u32 s65, s66
	v_add3_u32 v8, v9, v7, v8
	s_cbranch_scc0 .LBB156_56
; %bb.57:                               ;   in Loop: Header=BB156_9 Depth=1
	s_mov_b32 s6, s65
	s_andn2_b64 vcc, exec, s[52:53]
	s_cbranch_vccz .LBB156_61
	s_branch .LBB156_63
.LBB156_58:                             ;   in Loop: Header=BB156_9 Depth=1
                                        ; implicit-def: $vgpr8
	s_branch .LBB156_64
.LBB156_59:                             ;   in Loop: Header=BB156_9 Depth=1
	v_mov_b32_e32 v8, 0
	s_branch .LBB156_63
.LBB156_60:                             ;   in Loop: Header=BB156_9 Depth=1
	v_mov_b32_e32 v1, v0
	s_andn2_b64 vcc, exec, s[52:53]
	s_cbranch_vccnz .LBB156_63
.LBB156_61:                             ;   in Loop: Header=BB156_9 Depth=1
	s_lshl_b32 s4, s6, 2
	s_add_u32 s4, s44, s4
	s_addc_u32 s5, s45, 0
	s_mul_i32 s6, s6, 12
	s_add_u32 s6, s34, s6
	s_addc_u32 s7, s35, 0
	s_mov_b32 s16, s64
.LBB156_62:                             ;   Parent Loop BB156_9 Depth=1
                                        ; =>  This Inner Loop Header: Depth=2
	s_load_dwordx2 s[18:19], s[6:7], 0x4
	s_load_dword s17, s[6:7], 0xc
	s_load_dword s20, s[4:5], 0x0
	s_add_u32 s6, s6, 12
	s_addc_u32 s7, s7, 0
	s_waitcnt lgkmcnt(0)
	v_mul_hi_u32 v7, s19, v1
	v_add_u32_e32 v7, v1, v7
	v_lshrrev_b32_e32 v7, s17, v7
	s_add_u32 s4, s4, 4
	v_mul_lo_u32 v9, v7, s18
	s_addc_u32 s5, s5, 0
	s_add_i32 s16, s16, -1
	v_sub_u32_e32 v9, v1, v9
	s_cmp_lg_u32 s16, 0
	v_mov_b32_e32 v1, v7
	v_mad_u64_u32 v[8:9], s[18:19], v9, s20, v[8:9]
	s_cbranch_scc1 .LBB156_62
.LBB156_63:                             ;   in Loop: Header=BB156_9 Depth=1
	s_cbranch_execnz .LBB156_66
.LBB156_64:                             ;   in Loop: Header=BB156_9 Depth=1
	v_mul_hi_u32 v1, v0, s10
	v_add_u32_e32 v1, v1, v0
	v_lshrrev_b32_e32 v1, s11, v1
	v_mul_lo_u32 v7, v1, s9
	v_sub_u32_e32 v0, v0, v7
	s_andn2_b64 vcc, exec, s[48:49]
	v_mul_lo_u32 v8, v0, s46
	s_cbranch_vccnz .LBB156_66
; %bb.65:                               ;   in Loop: Header=BB156_9 Depth=1
	v_mul_hi_u32 v0, s8, v1
	v_add_u32_e32 v0, v1, v0
	v_lshrrev_b32_e32 v0, s14, v0
	v_mul_lo_u32 v0, v0, s12
	v_sub_u32_e32 v0, v1, v0
	v_mad_u64_u32 v[8:9], s[4:5], v0, s47, v[8:9]
.LBB156_66:                             ;   in Loop: Header=BB156_9 Depth=1
	v_cvt_f32_u32_e32 v0, v2
	v_mov_b32_e32 v1, 0x2f800000
	v_fmac_f32_e32 v1, 0x2f800000, v0
	v_cmp_lt_f32_e32 vcc, v1, v39
	v_cndmask_b32_e64 v0, 0, 1.0, vcc
	global_store_short_d16_hi v8, v0, s[28:29]
.LBB156_67:                             ;   in Loop: Header=BB156_9 Depth=1
	s_or_b64 exec, exec, s[2:3]
	v_mov_b32_e32 v1, s63
	v_add_co_u32_e32 v0, vcc, s62, v14
	v_addc_co_u32_e32 v1, vcc, v15, v1, vcc
	v_cmp_gt_i64_e32 vcc, s[24:25], v[0:1]
	s_and_saveexec_b64 s[36:37], vcc
	s_cbranch_execz .LBB156_8
; %bb.68:                               ;   in Loop: Header=BB156_9 Depth=1
	s_and_b64 vcc, exec, s[0:1]
	s_cbranch_vccnz .LBB156_74
; %bb.69:                               ;   in Loop: Header=BB156_9 Depth=1
	s_andn2_b64 vcc, exec, s[42:43]
	s_cbranch_vccnz .LBB156_75
; %bb.70:                               ;   in Loop: Header=BB156_9 Depth=1
	s_mov_b32 s2, 0
	s_andn2_b64 vcc, exec, s[30:31]
	v_mov_b32_e32 v8, 0
	s_cbranch_vccnz .LBB156_76
; %bb.71:                               ;   in Loop: Header=BB156_9 Depth=1
	s_mov_b32 s56, 0
	v_mov_b32_e32 v8, 0
	s_mov_b64 s[38:39], s[34:35]
	s_mov_b64 s[54:55], s[44:45]
	v_mov_b32_e32 v1, v0
.LBB156_72:                             ;   Parent Loop BB156_9 Depth=1
                                        ; =>  This Inner Loop Header: Depth=2
	s_load_dwordx8 s[0:7], s[38:39], 0x4
	s_load_dwordx4 s[16:19], s[38:39], 0x24
	s_load_dwordx4 s[20:23], s[54:55], 0x0
	s_add_u32 s38, s38, 48
	s_addc_u32 s39, s39, 0
	s_waitcnt lgkmcnt(0)
	v_mul_hi_u32 v2, s1, v1
	v_add_u32_e32 v2, v1, v2
	v_lshrrev_b32_e32 v2, s2, v2
	v_mul_lo_u32 v7, v2, s0
	v_mul_hi_u32 v9, s4, v2
	v_sub_u32_e32 v1, v1, v7
	v_add_u32_e32 v7, v2, v9
	v_lshrrev_b32_e32 v7, s5, v7
	v_mul_lo_u32 v9, v7, s3
	v_mul_hi_u32 v10, s7, v7
	v_sub_u32_e32 v2, v2, v9
	v_add_u32_e32 v9, v7, v10
	v_mul_lo_u32 v1, v1, s20
	v_mul_lo_u32 v2, v2, s21
	v_lshrrev_b32_e32 v9, s16, v9
	v_add3_u32 v2, v1, v8, v2
	v_mul_lo_u32 v1, v9, s6
	v_mul_hi_u32 v8, s18, v9
	v_sub_u32_e32 v1, v7, v1
	v_add_u32_e32 v7, v9, v8
	v_mul_lo_u32 v8, v1, s22
	v_lshrrev_b32_e32 v1, s19, v7
	s_add_i32 s56, s56, 4
	v_mul_lo_u32 v7, v1, s17
	s_add_u32 s54, s54, 16
	v_sub_u32_e32 v7, v9, v7
	s_addc_u32 s55, s55, 0
	v_mul_lo_u32 v7, v7, s23
	s_cmp_eq_u32 s65, s56
	v_add3_u32 v8, v8, v2, v7
	s_cbranch_scc0 .LBB156_72
; %bb.73:                               ;   in Loop: Header=BB156_9 Depth=1
	s_mov_b32 s2, s65
	s_andn2_b64 vcc, exec, s[52:53]
	s_cbranch_vccz .LBB156_77
	s_branch .LBB156_79
.LBB156_74:                             ;   in Loop: Header=BB156_9 Depth=1
                                        ; implicit-def: $vgpr8
	s_branch .LBB156_80
.LBB156_75:                             ;   in Loop: Header=BB156_9 Depth=1
	v_mov_b32_e32 v8, 0
	s_branch .LBB156_79
.LBB156_76:                             ;   in Loop: Header=BB156_9 Depth=1
	v_mov_b32_e32 v1, v0
	s_andn2_b64 vcc, exec, s[52:53]
	s_cbranch_vccnz .LBB156_79
.LBB156_77:                             ;   in Loop: Header=BB156_9 Depth=1
	s_lshl_b32 s0, s2, 2
	s_add_u32 s0, s44, s0
	s_addc_u32 s1, s45, 0
	s_mul_i32 s2, s2, 12
	s_add_u32 s2, s34, s2
	s_addc_u32 s3, s35, 0
	s_mov_b32 s4, s64
.LBB156_78:                             ;   Parent Loop BB156_9 Depth=1
                                        ; =>  This Inner Loop Header: Depth=2
	s_load_dwordx2 s[6:7], s[2:3], 0x4
	s_load_dword s5, s[2:3], 0xc
	s_load_dword s16, s[0:1], 0x0
	s_add_u32 s2, s2, 12
	s_addc_u32 s3, s3, 0
	s_waitcnt lgkmcnt(0)
	v_mul_hi_u32 v2, s7, v1
	v_add_u32_e32 v2, v1, v2
	v_lshrrev_b32_e32 v2, s5, v2
	s_add_u32 s0, s0, 4
	v_mul_lo_u32 v7, v2, s6
	s_addc_u32 s1, s1, 0
	s_add_i32 s4, s4, -1
	v_sub_u32_e32 v7, v1, v7
	s_cmp_lg_u32 s4, 0
	v_mov_b32_e32 v1, v2
	v_mad_u64_u32 v[8:9], s[6:7], v7, s16, v[8:9]
	s_cbranch_scc1 .LBB156_78
.LBB156_79:                             ;   in Loop: Header=BB156_9 Depth=1
	s_cbranch_execnz .LBB156_7
.LBB156_80:                             ;   in Loop: Header=BB156_9 Depth=1
	v_mul_hi_u32 v1, v0, s10
	v_add_u32_e32 v1, v1, v0
	v_lshrrev_b32_e32 v1, s11, v1
	v_mul_lo_u32 v2, v1, s9
	v_sub_u32_e32 v0, v0, v2
	s_andn2_b64 vcc, exec, s[48:49]
	v_mul_lo_u32 v8, v0, s46
	s_cbranch_vccnz .LBB156_7
; %bb.81:                               ;   in Loop: Header=BB156_9 Depth=1
	v_mul_hi_u32 v0, s8, v1
	v_add_u32_e32 v0, v1, v0
	v_lshrrev_b32_e32 v0, s14, v0
	v_mul_lo_u32 v0, v0, s12
	v_sub_u32_e32 v0, v1, v0
	v_mad_u64_u32 v[8:9], s[0:1], v0, s47, v[8:9]
	s_branch .LBB156_7
.LBB156_82:
	s_endpgm
.LBB156_83:
                                        ; implicit-def: $sgpr2_sgpr3
	s_andn2_b64 vcc, exec, s[0:1]
	s_cbranch_vccz .LBB156_4
	s_branch .LBB156_5
	.section	.rodata,"a",@progbits
	.p2align	6, 0x0
	.amdhsa_kernel _ZN2at6native12_GLOBAL__N_143distribution_elementwise_grid_stride_kernelIfLi4EZNS0_9templates4cuda21uniform_and_transformIN3c108BFloat16EfPNS_17CUDAGeneratorImplEZZZNS4_16bernoulli_kernelIS9_EEvRNS_18TensorIteratorBaseEdT_ENKUlvE_clEvENKUlvE7_clEvEUlfE_EEvSC_T1_T2_EUlP25hiprandStatePhilox4_32_10E0_ZNS1_27distribution_nullary_kernelIS7_f15HIP_vector_typeIfLj4EES9_SL_SG_EEvSC_SI_RKT3_T4_EUlifE0_EEvlNS_15PhiloxCudaStateESH_SI_
		.amdhsa_group_segment_fixed_size 0
		.amdhsa_private_segment_fixed_size 0
		.amdhsa_kernarg_size 584
		.amdhsa_user_sgpr_count 6
		.amdhsa_user_sgpr_private_segment_buffer 1
		.amdhsa_user_sgpr_dispatch_ptr 0
		.amdhsa_user_sgpr_queue_ptr 0
		.amdhsa_user_sgpr_kernarg_segment_ptr 1
		.amdhsa_user_sgpr_dispatch_id 0
		.amdhsa_user_sgpr_flat_scratch_init 0
		.amdhsa_user_sgpr_kernarg_preload_length 0
		.amdhsa_user_sgpr_kernarg_preload_offset 0
		.amdhsa_user_sgpr_private_segment_size 0
		.amdhsa_uses_dynamic_stack 0
		.amdhsa_system_sgpr_private_segment_wavefront_offset 0
		.amdhsa_system_sgpr_workgroup_id_x 1
		.amdhsa_system_sgpr_workgroup_id_y 0
		.amdhsa_system_sgpr_workgroup_id_z 0
		.amdhsa_system_sgpr_workgroup_info 0
		.amdhsa_system_vgpr_workitem_id 0
		.amdhsa_next_free_vgpr 42
		.amdhsa_next_free_sgpr 67
		.amdhsa_accum_offset 44
		.amdhsa_reserve_vcc 1
		.amdhsa_reserve_flat_scratch 0
		.amdhsa_float_round_mode_32 0
		.amdhsa_float_round_mode_16_64 0
		.amdhsa_float_denorm_mode_32 3
		.amdhsa_float_denorm_mode_16_64 3
		.amdhsa_dx10_clamp 1
		.amdhsa_ieee_mode 1
		.amdhsa_fp16_overflow 0
		.amdhsa_tg_split 0
		.amdhsa_exception_fp_ieee_invalid_op 0
		.amdhsa_exception_fp_denorm_src 0
		.amdhsa_exception_fp_ieee_div_zero 0
		.amdhsa_exception_fp_ieee_overflow 0
		.amdhsa_exception_fp_ieee_underflow 0
		.amdhsa_exception_fp_ieee_inexact 0
		.amdhsa_exception_int_div_zero 0
	.end_amdhsa_kernel
	.section	.text._ZN2at6native12_GLOBAL__N_143distribution_elementwise_grid_stride_kernelIfLi4EZNS0_9templates4cuda21uniform_and_transformIN3c108BFloat16EfPNS_17CUDAGeneratorImplEZZZNS4_16bernoulli_kernelIS9_EEvRNS_18TensorIteratorBaseEdT_ENKUlvE_clEvENKUlvE7_clEvEUlfE_EEvSC_T1_T2_EUlP25hiprandStatePhilox4_32_10E0_ZNS1_27distribution_nullary_kernelIS7_f15HIP_vector_typeIfLj4EES9_SL_SG_EEvSC_SI_RKT3_T4_EUlifE0_EEvlNS_15PhiloxCudaStateESH_SI_,"axG",@progbits,_ZN2at6native12_GLOBAL__N_143distribution_elementwise_grid_stride_kernelIfLi4EZNS0_9templates4cuda21uniform_and_transformIN3c108BFloat16EfPNS_17CUDAGeneratorImplEZZZNS4_16bernoulli_kernelIS9_EEvRNS_18TensorIteratorBaseEdT_ENKUlvE_clEvENKUlvE7_clEvEUlfE_EEvSC_T1_T2_EUlP25hiprandStatePhilox4_32_10E0_ZNS1_27distribution_nullary_kernelIS7_f15HIP_vector_typeIfLj4EES9_SL_SG_EEvSC_SI_RKT3_T4_EUlifE0_EEvlNS_15PhiloxCudaStateESH_SI_,comdat
.Lfunc_end156:
	.size	_ZN2at6native12_GLOBAL__N_143distribution_elementwise_grid_stride_kernelIfLi4EZNS0_9templates4cuda21uniform_and_transformIN3c108BFloat16EfPNS_17CUDAGeneratorImplEZZZNS4_16bernoulli_kernelIS9_EEvRNS_18TensorIteratorBaseEdT_ENKUlvE_clEvENKUlvE7_clEvEUlfE_EEvSC_T1_T2_EUlP25hiprandStatePhilox4_32_10E0_ZNS1_27distribution_nullary_kernelIS7_f15HIP_vector_typeIfLj4EES9_SL_SG_EEvSC_SI_RKT3_T4_EUlifE0_EEvlNS_15PhiloxCudaStateESH_SI_, .Lfunc_end156-_ZN2at6native12_GLOBAL__N_143distribution_elementwise_grid_stride_kernelIfLi4EZNS0_9templates4cuda21uniform_and_transformIN3c108BFloat16EfPNS_17CUDAGeneratorImplEZZZNS4_16bernoulli_kernelIS9_EEvRNS_18TensorIteratorBaseEdT_ENKUlvE_clEvENKUlvE7_clEvEUlfE_EEvSC_T1_T2_EUlP25hiprandStatePhilox4_32_10E0_ZNS1_27distribution_nullary_kernelIS7_f15HIP_vector_typeIfLj4EES9_SL_SG_EEvSC_SI_RKT3_T4_EUlifE0_EEvlNS_15PhiloxCudaStateESH_SI_
                                        ; -- End function
	.section	.AMDGPU.csdata,"",@progbits
; Kernel info:
; codeLenInByte = 4432
; NumSgprs: 71
; NumVgprs: 42
; NumAgprs: 0
; TotalNumVgprs: 42
; ScratchSize: 0
; MemoryBound: 0
; FloatMode: 240
; IeeeMode: 1
; LDSByteSize: 0 bytes/workgroup (compile time only)
; SGPRBlocks: 8
; VGPRBlocks: 5
; NumSGPRsForWavesPerEU: 71
; NumVGPRsForWavesPerEU: 42
; AccumOffset: 44
; Occupancy: 8
; WaveLimiterHint : 1
; COMPUTE_PGM_RSRC2:SCRATCH_EN: 0
; COMPUTE_PGM_RSRC2:USER_SGPR: 6
; COMPUTE_PGM_RSRC2:TRAP_HANDLER: 0
; COMPUTE_PGM_RSRC2:TGID_X_EN: 1
; COMPUTE_PGM_RSRC2:TGID_Y_EN: 0
; COMPUTE_PGM_RSRC2:TGID_Z_EN: 0
; COMPUTE_PGM_RSRC2:TIDIG_COMP_CNT: 0
; COMPUTE_PGM_RSRC3_GFX90A:ACCUM_OFFSET: 10
; COMPUTE_PGM_RSRC3_GFX90A:TG_SPLIT: 0
	.section	.text._ZN2at6native12_GLOBAL__N_143distribution_elementwise_grid_stride_kernelIfLi4EZNS0_9templates4cuda21uniform_and_transformIbfPNS_17CUDAGeneratorImplEZZZNS4_16bernoulli_kernelIS7_EEvRNS_18TensorIteratorBaseEdT_ENKUlvE_clEvENKUlvE8_clEvEUlfE_EEvSA_T1_T2_EUlP25hiprandStatePhilox4_32_10E_ZNS1_27distribution_nullary_kernelIbf15HIP_vector_typeIdLj2EES7_SJ_SE_EEvSA_SG_RKT3_T4_EUlifE_EEvlNS_15PhiloxCudaStateESF_SG_,"axG",@progbits,_ZN2at6native12_GLOBAL__N_143distribution_elementwise_grid_stride_kernelIfLi4EZNS0_9templates4cuda21uniform_and_transformIbfPNS_17CUDAGeneratorImplEZZZNS4_16bernoulli_kernelIS7_EEvRNS_18TensorIteratorBaseEdT_ENKUlvE_clEvENKUlvE8_clEvEUlfE_EEvSA_T1_T2_EUlP25hiprandStatePhilox4_32_10E_ZNS1_27distribution_nullary_kernelIbf15HIP_vector_typeIdLj2EES7_SJ_SE_EEvSA_SG_RKT3_T4_EUlifE_EEvlNS_15PhiloxCudaStateESF_SG_,comdat
	.globl	_ZN2at6native12_GLOBAL__N_143distribution_elementwise_grid_stride_kernelIfLi4EZNS0_9templates4cuda21uniform_and_transformIbfPNS_17CUDAGeneratorImplEZZZNS4_16bernoulli_kernelIS7_EEvRNS_18TensorIteratorBaseEdT_ENKUlvE_clEvENKUlvE8_clEvEUlfE_EEvSA_T1_T2_EUlP25hiprandStatePhilox4_32_10E_ZNS1_27distribution_nullary_kernelIbf15HIP_vector_typeIdLj2EES7_SJ_SE_EEvSA_SG_RKT3_T4_EUlifE_EEvlNS_15PhiloxCudaStateESF_SG_ ; -- Begin function _ZN2at6native12_GLOBAL__N_143distribution_elementwise_grid_stride_kernelIfLi4EZNS0_9templates4cuda21uniform_and_transformIbfPNS_17CUDAGeneratorImplEZZZNS4_16bernoulli_kernelIS7_EEvRNS_18TensorIteratorBaseEdT_ENKUlvE_clEvENKUlvE8_clEvEUlfE_EEvSA_T1_T2_EUlP25hiprandStatePhilox4_32_10E_ZNS1_27distribution_nullary_kernelIbf15HIP_vector_typeIdLj2EES7_SJ_SE_EEvSA_SG_RKT3_T4_EUlifE_EEvlNS_15PhiloxCudaStateESF_SG_
	.p2align	8
	.type	_ZN2at6native12_GLOBAL__N_143distribution_elementwise_grid_stride_kernelIfLi4EZNS0_9templates4cuda21uniform_and_transformIbfPNS_17CUDAGeneratorImplEZZZNS4_16bernoulli_kernelIS7_EEvRNS_18TensorIteratorBaseEdT_ENKUlvE_clEvENKUlvE8_clEvEUlfE_EEvSA_T1_T2_EUlP25hiprandStatePhilox4_32_10E_ZNS1_27distribution_nullary_kernelIbf15HIP_vector_typeIdLj2EES7_SJ_SE_EEvSA_SG_RKT3_T4_EUlifE_EEvlNS_15PhiloxCudaStateESF_SG_,@function
_ZN2at6native12_GLOBAL__N_143distribution_elementwise_grid_stride_kernelIfLi4EZNS0_9templates4cuda21uniform_and_transformIbfPNS_17CUDAGeneratorImplEZZZNS4_16bernoulli_kernelIS7_EEvRNS_18TensorIteratorBaseEdT_ENKUlvE_clEvENKUlvE8_clEvEUlfE_EEvSA_T1_T2_EUlP25hiprandStatePhilox4_32_10E_ZNS1_27distribution_nullary_kernelIbf15HIP_vector_typeIdLj2EES7_SJ_SE_EEvSA_SG_RKT3_T4_EUlifE_EEvlNS_15PhiloxCudaStateESF_SG_: ; @_ZN2at6native12_GLOBAL__N_143distribution_elementwise_grid_stride_kernelIfLi4EZNS0_9templates4cuda21uniform_and_transformIbfPNS_17CUDAGeneratorImplEZZZNS4_16bernoulli_kernelIS7_EEvRNS_18TensorIteratorBaseEdT_ENKUlvE_clEvENKUlvE8_clEvEUlfE_EEvSA_T1_T2_EUlP25hiprandStatePhilox4_32_10E_ZNS1_27distribution_nullary_kernelIbf15HIP_vector_typeIdLj2EES7_SJ_SE_EEvSA_SG_RKT3_T4_EUlifE_EEvlNS_15PhiloxCudaStateESF_SG_
; %bb.0:
	s_load_dword s7, s[4:5], 0x20
	s_load_dwordx2 s[10:11], s[4:5], 0x10
	s_load_dwordx4 s[0:3], s[4:5], 0x0
	s_mov_b32 s8, 0
	s_waitcnt lgkmcnt(0)
	s_bitcmp0_b32 s7, 0
	v_pk_mov_b32 v[2:3], s[10:11], s[10:11] op_sel:[0,1]
	v_pk_mov_b32 v[14:15], s[2:3], s[2:3] op_sel:[0,1]
	s_cbranch_scc1 .LBB157_2
; %bb.1:
	v_pk_mov_b32 v[2:3], s[10:11], s[10:11] op_sel:[0,1]
	flat_load_dwordx2 v[2:3], v[2:3]
	v_pk_mov_b32 v[4:5], s[2:3], s[2:3] op_sel:[0,1]
	flat_load_dwordx2 v[14:15], v[4:5]
	s_load_dwordx2 s[2:3], s[4:5], 0x18
	s_waitcnt lgkmcnt(0)
	v_mov_b32_e32 v1, s3
	s_waitcnt vmcnt(0)
	v_add_co_u32_e32 v2, vcc, s2, v2
	v_addc_co_u32_e32 v3, vcc, v3, v1, vcc
.LBB157_2:
	s_load_dword s2, s[4:5], 0x54
	s_load_dword s17, s[4:5], 0x48
	s_waitcnt lgkmcnt(0)
	s_and_b32 s7, s2, 0xffff
	s_add_u32 s10, s0, -1
	s_mul_i32 s12, s17, s7
	s_addc_u32 s9, s1, -1
	s_lshl_b32 s13, s12, 2
	s_cmp_lg_u64 s[8:9], 0
	s_mov_b64 s[2:3], -1
	s_cbranch_scc0 .LBB157_23
; %bb.3:
	v_cvt_f32_u32_e32 v1, s13
	v_cvt_f32_ubyte0_e32 v4, 0
	s_sub_u32 s8, 0, s13
	s_subb_u32 s11, 0, 0
	v_madmk_f32 v1, v4, 0x4f800000, v1
	v_rcp_f32_e32 v1, v1
	v_mul_f32_e32 v1, 0x5f7ffffc, v1
	v_mul_f32_e32 v4, 0x2f800000, v1
	v_trunc_f32_e32 v4, v4
	v_madmk_f32 v1, v4, 0xcf800000, v1
	v_cvt_u32_f32_e32 v4, v4
	v_cvt_u32_f32_e32 v1, v1
	v_readfirstlane_b32 s14, v4
	v_readfirstlane_b32 s15, v1
	s_mul_i32 s16, s8, s14
	s_mul_hi_u32 s19, s8, s15
	s_mul_i32 s18, s11, s15
	s_add_i32 s16, s19, s16
	s_add_i32 s16, s16, s18
	s_mul_i32 s20, s8, s15
	s_mul_hi_u32 s18, s15, s16
	s_mul_i32 s19, s15, s16
	s_mul_hi_u32 s15, s15, s20
	s_add_u32 s15, s15, s19
	s_addc_u32 s18, 0, s18
	s_mul_hi_u32 s21, s14, s20
	s_mul_i32 s20, s14, s20
	s_add_u32 s15, s15, s20
	s_mul_hi_u32 s19, s14, s16
	s_addc_u32 s15, s18, s21
	s_addc_u32 s18, s19, 0
	s_mul_i32 s16, s14, s16
	s_add_u32 s15, s15, s16
	s_addc_u32 s16, 0, s18
	v_add_co_u32_e32 v1, vcc, s15, v1
	s_cmp_lg_u64 vcc, 0
	s_addc_u32 s14, s14, s16
	v_readfirstlane_b32 s16, v1
	s_mul_i32 s15, s8, s14
	s_mul_hi_u32 s18, s8, s16
	s_add_i32 s15, s18, s15
	s_mul_i32 s11, s11, s16
	s_add_i32 s15, s15, s11
	s_mul_i32 s8, s8, s16
	s_mul_hi_u32 s18, s14, s8
	s_mul_i32 s19, s14, s8
	s_mul_i32 s21, s16, s15
	s_mul_hi_u32 s8, s16, s8
	s_mul_hi_u32 s20, s16, s15
	s_add_u32 s8, s8, s21
	s_addc_u32 s16, 0, s20
	s_add_u32 s8, s8, s19
	s_mul_hi_u32 s11, s14, s15
	s_addc_u32 s8, s16, s18
	s_addc_u32 s11, s11, 0
	s_mul_i32 s15, s14, s15
	s_add_u32 s8, s8, s15
	s_addc_u32 s11, 0, s11
	v_add_co_u32_e32 v1, vcc, s8, v1
	s_cmp_lg_u64 vcc, 0
	s_addc_u32 s11, s14, s11
	s_ashr_i32 s14, s9, 31
	s_add_u32 s8, s10, s14
	s_mov_b32 s15, s14
	s_addc_u32 s9, s9, s14
	s_xor_b64 s[8:9], s[8:9], s[14:15]
	v_readfirstlane_b32 s19, v1
	s_mul_i32 s18, s8, s11
	s_mul_hi_u32 s20, s8, s19
	s_mul_hi_u32 s16, s8, s11
	s_add_u32 s18, s20, s18
	s_addc_u32 s16, 0, s16
	s_mul_hi_u32 s21, s9, s19
	s_mul_i32 s19, s9, s19
	s_add_u32 s18, s18, s19
	s_mul_hi_u32 s20, s9, s11
	s_addc_u32 s16, s16, s21
	s_addc_u32 s18, s20, 0
	s_mul_i32 s11, s9, s11
	s_add_u32 s11, s16, s11
	s_addc_u32 s16, 0, s18
	s_add_u32 s18, s11, 1
	s_addc_u32 s19, s16, 0
	s_add_u32 s20, s11, 2
	s_mul_i32 s22, s13, s16
	s_mul_hi_u32 s23, s13, s11
	s_addc_u32 s21, s16, 0
	s_add_i32 s23, s23, s22
	s_mul_i32 s22, s13, s11
	v_mov_b32_e32 v1, s22
	v_sub_co_u32_e32 v1, vcc, s8, v1
	s_cmp_lg_u64 vcc, 0
	s_subb_u32 s8, s9, s23
	v_subrev_co_u32_e32 v4, vcc, s13, v1
	s_cmp_lg_u64 vcc, 0
	s_subb_u32 s9, s8, 0
	v_readfirstlane_b32 s22, v4
	s_cmp_ge_u32 s22, s13
	s_cselect_b32 s22, -1, 0
	s_cmp_eq_u32 s9, 0
	s_cselect_b32 s9, s22, -1
	s_cmp_lg_u32 s9, 0
	s_cselect_b32 s9, s21, s19
	v_readfirstlane_b32 s19, v1
	s_cselect_b32 s18, s20, s18
	s_cmp_ge_u32 s19, s13
	s_cselect_b32 s19, -1, 0
	s_cmp_eq_u32 s8, 0
	s_cselect_b32 s8, s19, -1
	s_cmp_lg_u32 s8, 0
	s_cselect_b32 s9, s9, s16
	s_cselect_b32 s8, s18, s11
	s_xor_b64 s[8:9], s[8:9], s[14:15]
	s_sub_u32 s8, s8, s14
	s_subb_u32 s9, s9, s14
	s_cbranch_execnz .LBB157_5
.LBB157_4:
	v_cvt_f32_u32_e32 v1, s13
	s_sub_i32 s2, 0, s13
	s_mov_b32 s9, 0
	v_rcp_iflag_f32_e32 v1, v1
	v_mul_f32_e32 v1, 0x4f7ffffe, v1
	v_cvt_u32_f32_e32 v1, v1
	v_readfirstlane_b32 s3, v1
	s_mul_i32 s2, s2, s3
	s_mul_hi_u32 s2, s3, s2
	s_add_i32 s3, s3, s2
	s_mul_hi_u32 s2, s10, s3
	s_mul_i32 s8, s2, s13
	s_sub_i32 s8, s10, s8
	s_add_i32 s3, s2, 1
	s_sub_i32 s10, s8, s13
	s_cmp_ge_u32 s8, s13
	s_cselect_b32 s2, s3, s2
	s_cselect_b32 s8, s10, s8
	s_add_i32 s3, s2, 1
	s_cmp_ge_u32 s8, s13
	s_cselect_b32 s8, s3, s2
.LBB157_5:
	v_mov_b32_e32 v1, 0
	v_mov_b32_e32 v4, s6
	v_mad_u64_u32 v[16:17], s[2:3], s7, v4, v[0:1]
	s_add_u32 s2, s8, 1
	s_addc_u32 s3, s9, 0
	s_mul_hi_u32 s8, s17, s7
	s_mul_i32 s3, s12, s3
	s_mul_hi_u32 s9, s12, s2
	s_add_i32 s3, s9, s3
	s_mul_i32 s8, s8, s2
	s_add_i32 s3, s3, s8
	s_mul_i32 s2, s12, s2
	s_lshl_b64 s[2:3], s[2:3], 2
	v_cmp_gt_i64_e32 vcc, s[2:3], v[16:17]
	s_and_saveexec_b64 s[8:9], vcc
	s_cbranch_execz .LBB157_22
; %bb.6:
	s_load_dwordx2 s[8:9], s[4:5], 0x30
	s_load_dword s19, s[4:5], 0x38
	s_load_dwordx2 s[10:11], s[4:5], 0x40
	s_mov_b32 s4, 0x5384540f
	v_mov_b32_e32 v4, v15
	v_add_co_u32_e32 v22, vcc, s4, v14
	s_mov_b32 s4, 0x646e171e
	v_add_co_u32_e32 v23, vcc, s4, v4
	s_mov_b32 s4, 0x1715609d
	;; [unrolled: 2-line block ×6, first 2 shown]
	v_alignbit_b32 v29, v3, v2, 2
	s_mov_b32 s15, 0xd2511f53
	v_add_co_u32_e32 v28, vcc, s4, v14
	v_mad_u64_u32 v[6:7], s[4:5], v29, s15, 0
	v_xor_b32_e32 v1, v7, v15
	v_xor_b32_e32 v1, v1, v17
	s_mov_b32 s16, 0xcd9e8d57
	v_mad_u64_u32 v[8:9], s[4:5], v1, s16, 0
	v_xor_b32_e32 v1, v28, v9
	v_mad_u64_u32 v[10:11], s[4:5], v16, s16, 0
	v_and_b32_e32 v18, 3, v2
	v_xor_b32_e32 v1, v1, v10
	v_xor_b32_e32 v2, v14, v11
	v_lshrrev_b32_e32 v30, 2, v3
	v_mad_u64_u32 v[12:13], s[4:5], v1, s15, 0
	v_xor_b32_e32 v2, v2, v30
	v_xor_b32_e32 v1, v27, v13
	v_mad_u64_u32 v[2:3], s[4:5], v2, s15, 0
	v_xor_b32_e32 v1, v1, v2
	v_mad_u64_u32 v[10:11], s[4:5], v1, s16, 0
	s_mov_b32 s4, 0xbb67ae85
	v_add_co_u32_e32 v31, vcc, s4, v4
	v_xor_b32_e32 v2, v31, v3
	v_xor_b32_e32 v2, v2, v6
	v_xor_b32_e32 v1, v26, v11
	v_mad_u64_u32 v[2:3], s[4:5], v2, s16, 0
	v_xor_b32_e32 v1, v1, v2
	v_mad_u64_u32 v[6:7], s[4:5], v1, s15, 0
	s_mov_b32 s4, 0x3c6ef372
	v_add_co_u32_e32 v32, vcc, s4, v14
	v_xor_b32_e32 v2, v32, v3
	;; [unrolled: 8-line block ×6, first 2 shown]
	v_add_co_u32_e32 v21, vcc, 0xdb3d7428, v4
	v_xor_b32_e32 v2, v2, v8
	v_xor_b32_e32 v1, v21, v7
	v_mad_u64_u32 v[2:3], s[4:5], v2, s15, 0
	v_xor_b32_e32 v1, v1, v2
	v_mad_u64_u32 v[8:9], s[4:5], v1, s16, 0
	s_mov_b32 s4, 0x1fd5c5a3
	v_add_co_u32_e32 v37, vcc, s4, v4
	v_xor_b32_e32 v1, v37, v3
	v_xor_b32_e32 v1, v1, v12
	v_mad_u64_u32 v[2:3], s[4:5], v1, s16, 0
	s_mov_b32 s4, 0xf1bbcdc8
	v_add_u32_e32 v19, 0x8ff34781, v14
	v_xor_b32_e32 v1, v9, v2
	v_add_co_u32_e32 v38, vcc, s4, v14
	v_xor_b32_e32 v2, v19, v1
	v_xor_b32_e32 v1, v38, v3
	;; [unrolled: 1-line block ×3, first 2 shown]
	v_mad_u64_u32 v[10:11], s[4:5], v1, s15, 0
	v_add_u32_e32 v20, 0x96a522ad, v15
	v_xor_b32_e32 v1, v11, v6
	s_mul_i32 s4, s6, s7
	v_xor_b32_e32 v4, v20, v1
	v_add_u32_e32 v1, s4, v0
	s_waitcnt lgkmcnt(0)
	s_mul_i32 s4, s17, s19
	s_mul_i32 s4, s4, s7
	s_lshl_b32 s18, s4, 2
	s_add_i32 s4, s6, s17
	s_mul_i32 s4, s4, s7
	s_mov_b32 s14, 0
	v_add_u32_e32 v0, s4, v0
	v_mov_b32_e32 v3, v8
	v_mov_b32_e32 v5, v10
	v_cvt_f32_f64_e32 v39, s[10:11]
	v_mul_lo_u32 v40, s19, v1
	v_mul_lo_u32 v41, s19, v0
	s_mov_b64 s[4:5], 0
	s_mov_b32 s17, s14
	v_mov_b32_e32 v42, v16
	v_mov_b32_e32 v43, v17
	s_branch .LBB157_8
.LBB157_7:                              ;   in Loop: Header=BB157_8 Depth=1
	s_or_b64 exec, exec, s[6:7]
	v_add_co_u32_e32 v16, vcc, s13, v16
	v_addc_co_u32_e32 v17, vcc, 0, v17, vcc
	v_mov_b32_e32 v9, v0
	s_add_i32 s17, s17, s18
	v_cmp_le_i64_e32 vcc, s[2:3], v[16:17]
	v_pk_mov_b32 v[2:3], v[6:7], v[6:7] op_sel:[0,1]
	s_or_b64 s[4:5], vcc, s[4:5]
	v_pk_mov_b32 v[4:5], v[8:9], v[8:9] op_sel:[0,1]
	s_barrier
	s_andn2_b64 exec, exec, s[4:5]
	s_cbranch_execz .LBB157_22
.LBB157_8:                              ; =>This Inner Loop Header: Depth=1
	v_add_co_u32_e32 v29, vcc, 1, v29
	v_cndmask_b32_e64 v0, 0, 1, vcc
	v_addc_co_u32_e32 v30, vcc, 0, v30, vcc
	v_cmp_eq_u32_e32 vcc, 0, v30
	v_cndmask_b32_e32 v0, 0, v0, vcc
	v_add_u32_e32 v42, v0, v42
	v_cmp_eq_u32_e32 vcc, 0, v42
	v_cndmask_b32_e32 v0, 0, v0, vcc
	v_add_u32_e32 v43, v0, v43
	v_mad_u64_u32 v[0:1], s[6:7], v29, s15, 0
	v_mad_u64_u32 v[6:7], s[6:7], v42, s16, 0
	v_xor_b32_e32 v1, v1, v15
	v_xor_b32_e32 v7, v7, v14
	v_xor_b32_e32 v1, v43, v1
	v_xor_b32_e32 v7, v30, v7
	v_mad_u64_u32 v[10:11], s[6:7], v1, s16, 0
	v_mad_u64_u32 v[8:9], s[6:7], v7, s15, 0
	v_xor_b32_e32 v1, v28, v11
	v_xor_b32_e32 v1, v1, v6
	v_xor_b32_e32 v6, v31, v9
	v_xor_b32_e32 v6, v6, v0
	;; [unrolled: 6-line block ×10, first 2 shown]
	v_mov_b32_e32 v7, v12
	v_mov_b32_e32 v8, v13
	v_cmp_lt_i32_e32 vcc, 1, v18
	s_and_saveexec_b64 s[6:7], vcc
	s_xor_b64 s[6:7], exec, s[6:7]
	s_cbranch_execnz .LBB157_14
; %bb.9:                                ;   in Loop: Header=BB157_8 Depth=1
	s_andn2_saveexec_b64 s[6:7], s[6:7]
	s_cbranch_execnz .LBB157_19
.LBB157_10:                             ;   in Loop: Header=BB157_8 Depth=1
	s_or_b64 exec, exec, s[6:7]
	v_cmp_gt_i64_e32 vcc, s[0:1], v[16:17]
	s_and_saveexec_b64 s[6:7], vcc
	s_cbranch_execz .LBB157_12
.LBB157_11:                             ;   in Loop: Header=BB157_8 Depth=1
	v_lshrrev_b32_e32 v1, 11, v3
	v_cvt_f64_u32_e32 v[10:11], v1
	v_ldexp_f64 v[10:11], v[10:11], 32
	v_cvt_f64_u32_e32 v[2:3], v2
	v_add_f64 v[2:3], v[10:11], v[2:3]
	v_mov_b32_e32 v10, 0
	v_mov_b32_e32 v11, 0x3ca00000
	v_fmac_f64_e32 v[10:11], 0x3ca00000, v[2:3]
	v_add_u32_e32 v2, s17, v40
	v_ashrrev_i32_e32 v3, 31, v2
	v_mov_b32_e32 v9, s9
	v_add_co_u32_e32 v2, vcc, s8, v2
	v_cvt_f32_f64_e32 v1, v[10:11]
	v_addc_co_u32_e32 v3, vcc, v9, v3, vcc
	v_cmp_gt_f32_e32 vcc, v39, v1
	v_cndmask_b32_e64 v1, 0, 1, vcc
	global_store_byte v[2:3], v1, off
.LBB157_12:                             ;   in Loop: Header=BB157_8 Depth=1
	s_or_b64 exec, exec, s[6:7]
	v_mov_b32_e32 v1, s14
	v_add_co_u32_e32 v2, vcc, s12, v16
	v_addc_co_u32_e32 v3, vcc, v1, v17, vcc
	v_cmp_gt_i64_e32 vcc, s[0:1], v[2:3]
	s_and_saveexec_b64 s[6:7], vcc
	s_cbranch_execz .LBB157_7
; %bb.13:                               ;   in Loop: Header=BB157_8 Depth=1
	v_lshrrev_b32_e32 v1, 11, v5
	v_cvt_f64_u32_e32 v[2:3], v1
	v_ldexp_f64 v[2:3], v[2:3], 32
	v_cvt_f64_u32_e32 v[4:5], v4
	v_add_f64 v[2:3], v[2:3], v[4:5]
	v_mov_b32_e32 v4, 0
	v_mov_b32_e32 v5, 0x3ca00000
	v_fmac_f64_e32 v[4:5], 0x3ca00000, v[2:3]
	v_add_u32_e32 v2, s17, v41
	v_cvt_f32_f64_e32 v1, v[4:5]
	v_ashrrev_i32_e32 v3, 31, v2
	v_mov_b32_e32 v4, s9
	v_add_co_u32_e32 v2, vcc, s8, v2
	v_addc_co_u32_e32 v3, vcc, v4, v3, vcc
	v_cmp_gt_f32_e32 vcc, v39, v1
	v_cndmask_b32_e64 v1, 0, 1, vcc
	global_store_byte v[2:3], v1, off
	s_branch .LBB157_7
.LBB157_14:                             ;   in Loop: Header=BB157_8 Depth=1
	v_cmp_lt_i32_e32 vcc, 2, v18
	s_and_saveexec_b64 s[10:11], vcc
	s_xor_b64 s[10:11], exec, s[10:11]
; %bb.15:                               ;   in Loop: Header=BB157_8 Depth=1
	v_mov_b32_e32 v10, v5
	v_mov_b32_e32 v11, v6
	v_pk_mov_b32 v[2:3], v[10:11], v[10:11] op_sel:[0,1]
	v_pk_mov_b32 v[4:5], v[12:13], v[12:13] op_sel:[0,1]
                                        ; implicit-def: $vgpr12_vgpr13
; %bb.16:                               ;   in Loop: Header=BB157_8 Depth=1
	s_andn2_saveexec_b64 s[10:11], s[10:11]
; %bb.17:                               ;   in Loop: Header=BB157_8 Depth=1
	v_mov_b32_e32 v2, v4
	v_mov_b32_e32 v3, v5
	;; [unrolled: 1-line block ×4, first 2 shown]
; %bb.18:                               ;   in Loop: Header=BB157_8 Depth=1
	s_or_b64 exec, exec, s[10:11]
	s_andn2_saveexec_b64 s[6:7], s[6:7]
	s_cbranch_execz .LBB157_10
.LBB157_19:                             ;   in Loop: Header=BB157_8 Depth=1
	v_cmp_eq_u32_e32 vcc, 1, v18
	s_and_saveexec_b64 s[10:11], vcc
; %bb.20:                               ;   in Loop: Header=BB157_8 Depth=1
	v_mov_b32_e32 v2, v3
	v_mov_b32_e32 v3, v4
	v_mov_b32_e32 v4, v5
	v_mov_b32_e32 v5, v6
; %bb.21:                               ;   in Loop: Header=BB157_8 Depth=1
	s_or_b64 exec, exec, s[10:11]
	s_or_b64 exec, exec, s[6:7]
	v_cmp_gt_i64_e32 vcc, s[0:1], v[16:17]
	s_and_saveexec_b64 s[6:7], vcc
	s_cbranch_execnz .LBB157_11
	s_branch .LBB157_12
.LBB157_22:
	s_endpgm
.LBB157_23:
                                        ; implicit-def: $sgpr8_sgpr9
	s_andn2_b64 vcc, exec, s[2:3]
	s_cbranch_vccz .LBB157_4
	s_branch .LBB157_5
	.section	.rodata,"a",@progbits
	.p2align	6, 0x0
	.amdhsa_kernel _ZN2at6native12_GLOBAL__N_143distribution_elementwise_grid_stride_kernelIfLi4EZNS0_9templates4cuda21uniform_and_transformIbfPNS_17CUDAGeneratorImplEZZZNS4_16bernoulli_kernelIS7_EEvRNS_18TensorIteratorBaseEdT_ENKUlvE_clEvENKUlvE8_clEvEUlfE_EEvSA_T1_T2_EUlP25hiprandStatePhilox4_32_10E_ZNS1_27distribution_nullary_kernelIbf15HIP_vector_typeIdLj2EES7_SJ_SE_EEvSA_SG_RKT3_T4_EUlifE_EEvlNS_15PhiloxCudaStateESF_SG_
		.amdhsa_group_segment_fixed_size 0
		.amdhsa_private_segment_fixed_size 0
		.amdhsa_kernarg_size 328
		.amdhsa_user_sgpr_count 6
		.amdhsa_user_sgpr_private_segment_buffer 1
		.amdhsa_user_sgpr_dispatch_ptr 0
		.amdhsa_user_sgpr_queue_ptr 0
		.amdhsa_user_sgpr_kernarg_segment_ptr 1
		.amdhsa_user_sgpr_dispatch_id 0
		.amdhsa_user_sgpr_flat_scratch_init 0
		.amdhsa_user_sgpr_kernarg_preload_length 0
		.amdhsa_user_sgpr_kernarg_preload_offset 0
		.amdhsa_user_sgpr_private_segment_size 0
		.amdhsa_uses_dynamic_stack 0
		.amdhsa_system_sgpr_private_segment_wavefront_offset 0
		.amdhsa_system_sgpr_workgroup_id_x 1
		.amdhsa_system_sgpr_workgroup_id_y 0
		.amdhsa_system_sgpr_workgroup_id_z 0
		.amdhsa_system_sgpr_workgroup_info 0
		.amdhsa_system_vgpr_workitem_id 0
		.amdhsa_next_free_vgpr 46
		.amdhsa_next_free_sgpr 24
		.amdhsa_accum_offset 48
		.amdhsa_reserve_vcc 1
		.amdhsa_reserve_flat_scratch 0
		.amdhsa_float_round_mode_32 0
		.amdhsa_float_round_mode_16_64 0
		.amdhsa_float_denorm_mode_32 3
		.amdhsa_float_denorm_mode_16_64 3
		.amdhsa_dx10_clamp 1
		.amdhsa_ieee_mode 1
		.amdhsa_fp16_overflow 0
		.amdhsa_tg_split 0
		.amdhsa_exception_fp_ieee_invalid_op 0
		.amdhsa_exception_fp_denorm_src 0
		.amdhsa_exception_fp_ieee_div_zero 0
		.amdhsa_exception_fp_ieee_overflow 0
		.amdhsa_exception_fp_ieee_underflow 0
		.amdhsa_exception_fp_ieee_inexact 0
		.amdhsa_exception_int_div_zero 0
	.end_amdhsa_kernel
	.section	.text._ZN2at6native12_GLOBAL__N_143distribution_elementwise_grid_stride_kernelIfLi4EZNS0_9templates4cuda21uniform_and_transformIbfPNS_17CUDAGeneratorImplEZZZNS4_16bernoulli_kernelIS7_EEvRNS_18TensorIteratorBaseEdT_ENKUlvE_clEvENKUlvE8_clEvEUlfE_EEvSA_T1_T2_EUlP25hiprandStatePhilox4_32_10E_ZNS1_27distribution_nullary_kernelIbf15HIP_vector_typeIdLj2EES7_SJ_SE_EEvSA_SG_RKT3_T4_EUlifE_EEvlNS_15PhiloxCudaStateESF_SG_,"axG",@progbits,_ZN2at6native12_GLOBAL__N_143distribution_elementwise_grid_stride_kernelIfLi4EZNS0_9templates4cuda21uniform_and_transformIbfPNS_17CUDAGeneratorImplEZZZNS4_16bernoulli_kernelIS7_EEvRNS_18TensorIteratorBaseEdT_ENKUlvE_clEvENKUlvE8_clEvEUlfE_EEvSA_T1_T2_EUlP25hiprandStatePhilox4_32_10E_ZNS1_27distribution_nullary_kernelIbf15HIP_vector_typeIdLj2EES7_SJ_SE_EEvSA_SG_RKT3_T4_EUlifE_EEvlNS_15PhiloxCudaStateESF_SG_,comdat
.Lfunc_end157:
	.size	_ZN2at6native12_GLOBAL__N_143distribution_elementwise_grid_stride_kernelIfLi4EZNS0_9templates4cuda21uniform_and_transformIbfPNS_17CUDAGeneratorImplEZZZNS4_16bernoulli_kernelIS7_EEvRNS_18TensorIteratorBaseEdT_ENKUlvE_clEvENKUlvE8_clEvEUlfE_EEvSA_T1_T2_EUlP25hiprandStatePhilox4_32_10E_ZNS1_27distribution_nullary_kernelIbf15HIP_vector_typeIdLj2EES7_SJ_SE_EEvSA_SG_RKT3_T4_EUlifE_EEvlNS_15PhiloxCudaStateESF_SG_, .Lfunc_end157-_ZN2at6native12_GLOBAL__N_143distribution_elementwise_grid_stride_kernelIfLi4EZNS0_9templates4cuda21uniform_and_transformIbfPNS_17CUDAGeneratorImplEZZZNS4_16bernoulli_kernelIS7_EEvRNS_18TensorIteratorBaseEdT_ENKUlvE_clEvENKUlvE8_clEvEUlfE_EEvSA_T1_T2_EUlP25hiprandStatePhilox4_32_10E_ZNS1_27distribution_nullary_kernelIbf15HIP_vector_typeIdLj2EES7_SJ_SE_EEvSA_SG_RKT3_T4_EUlifE_EEvlNS_15PhiloxCudaStateESF_SG_
                                        ; -- End function
	.section	.AMDGPU.csdata,"",@progbits
; Kernel info:
; codeLenInByte = 2300
; NumSgprs: 28
; NumVgprs: 46
; NumAgprs: 0
; TotalNumVgprs: 46
; ScratchSize: 0
; MemoryBound: 0
; FloatMode: 240
; IeeeMode: 1
; LDSByteSize: 0 bytes/workgroup (compile time only)
; SGPRBlocks: 3
; VGPRBlocks: 5
; NumSGPRsForWavesPerEU: 28
; NumVGPRsForWavesPerEU: 46
; AccumOffset: 48
; Occupancy: 8
; WaveLimiterHint : 0
; COMPUTE_PGM_RSRC2:SCRATCH_EN: 0
; COMPUTE_PGM_RSRC2:USER_SGPR: 6
; COMPUTE_PGM_RSRC2:TRAP_HANDLER: 0
; COMPUTE_PGM_RSRC2:TGID_X_EN: 1
; COMPUTE_PGM_RSRC2:TGID_Y_EN: 0
; COMPUTE_PGM_RSRC2:TGID_Z_EN: 0
; COMPUTE_PGM_RSRC2:TIDIG_COMP_CNT: 0
; COMPUTE_PGM_RSRC3_GFX90A:ACCUM_OFFSET: 11
; COMPUTE_PGM_RSRC3_GFX90A:TG_SPLIT: 0
	.section	.text._ZN2at6native12_GLOBAL__N_143distribution_elementwise_grid_stride_kernelIfLi4EZNS0_9templates4cuda21uniform_and_transformIbfPNS_17CUDAGeneratorImplEZZZNS4_16bernoulli_kernelIS7_EEvRNS_18TensorIteratorBaseEdT_ENKUlvE_clEvENKUlvE8_clEvEUlfE_EEvSA_T1_T2_EUlP25hiprandStatePhilox4_32_10E_ZNS1_27distribution_nullary_kernelIbf15HIP_vector_typeIdLj2EES7_SJ_SE_EEvSA_SG_RKT3_T4_EUlifE0_EEvlNS_15PhiloxCudaStateESF_SG_,"axG",@progbits,_ZN2at6native12_GLOBAL__N_143distribution_elementwise_grid_stride_kernelIfLi4EZNS0_9templates4cuda21uniform_and_transformIbfPNS_17CUDAGeneratorImplEZZZNS4_16bernoulli_kernelIS7_EEvRNS_18TensorIteratorBaseEdT_ENKUlvE_clEvENKUlvE8_clEvEUlfE_EEvSA_T1_T2_EUlP25hiprandStatePhilox4_32_10E_ZNS1_27distribution_nullary_kernelIbf15HIP_vector_typeIdLj2EES7_SJ_SE_EEvSA_SG_RKT3_T4_EUlifE0_EEvlNS_15PhiloxCudaStateESF_SG_,comdat
	.globl	_ZN2at6native12_GLOBAL__N_143distribution_elementwise_grid_stride_kernelIfLi4EZNS0_9templates4cuda21uniform_and_transformIbfPNS_17CUDAGeneratorImplEZZZNS4_16bernoulli_kernelIS7_EEvRNS_18TensorIteratorBaseEdT_ENKUlvE_clEvENKUlvE8_clEvEUlfE_EEvSA_T1_T2_EUlP25hiprandStatePhilox4_32_10E_ZNS1_27distribution_nullary_kernelIbf15HIP_vector_typeIdLj2EES7_SJ_SE_EEvSA_SG_RKT3_T4_EUlifE0_EEvlNS_15PhiloxCudaStateESF_SG_ ; -- Begin function _ZN2at6native12_GLOBAL__N_143distribution_elementwise_grid_stride_kernelIfLi4EZNS0_9templates4cuda21uniform_and_transformIbfPNS_17CUDAGeneratorImplEZZZNS4_16bernoulli_kernelIS7_EEvRNS_18TensorIteratorBaseEdT_ENKUlvE_clEvENKUlvE8_clEvEUlfE_EEvSA_T1_T2_EUlP25hiprandStatePhilox4_32_10E_ZNS1_27distribution_nullary_kernelIbf15HIP_vector_typeIdLj2EES7_SJ_SE_EEvSA_SG_RKT3_T4_EUlifE0_EEvlNS_15PhiloxCudaStateESF_SG_
	.p2align	8
	.type	_ZN2at6native12_GLOBAL__N_143distribution_elementwise_grid_stride_kernelIfLi4EZNS0_9templates4cuda21uniform_and_transformIbfPNS_17CUDAGeneratorImplEZZZNS4_16bernoulli_kernelIS7_EEvRNS_18TensorIteratorBaseEdT_ENKUlvE_clEvENKUlvE8_clEvEUlfE_EEvSA_T1_T2_EUlP25hiprandStatePhilox4_32_10E_ZNS1_27distribution_nullary_kernelIbf15HIP_vector_typeIdLj2EES7_SJ_SE_EEvSA_SG_RKT3_T4_EUlifE0_EEvlNS_15PhiloxCudaStateESF_SG_,@function
_ZN2at6native12_GLOBAL__N_143distribution_elementwise_grid_stride_kernelIfLi4EZNS0_9templates4cuda21uniform_and_transformIbfPNS_17CUDAGeneratorImplEZZZNS4_16bernoulli_kernelIS7_EEvRNS_18TensorIteratorBaseEdT_ENKUlvE_clEvENKUlvE8_clEvEUlfE_EEvSA_T1_T2_EUlP25hiprandStatePhilox4_32_10E_ZNS1_27distribution_nullary_kernelIbf15HIP_vector_typeIdLj2EES7_SJ_SE_EEvSA_SG_RKT3_T4_EUlifE0_EEvlNS_15PhiloxCudaStateESF_SG_: ; @_ZN2at6native12_GLOBAL__N_143distribution_elementwise_grid_stride_kernelIfLi4EZNS0_9templates4cuda21uniform_and_transformIbfPNS_17CUDAGeneratorImplEZZZNS4_16bernoulli_kernelIS7_EEvRNS_18TensorIteratorBaseEdT_ENKUlvE_clEvENKUlvE8_clEvEUlfE_EEvSA_T1_T2_EUlP25hiprandStatePhilox4_32_10E_ZNS1_27distribution_nullary_kernelIbf15HIP_vector_typeIdLj2EES7_SJ_SE_EEvSA_SG_RKT3_T4_EUlifE0_EEvlNS_15PhiloxCudaStateESF_SG_
; %bb.0:
	s_load_dword s2, s[4:5], 0x20
	s_load_dwordx2 s[0:1], s[4:5], 0x10
	s_load_dwordx4 s[24:27], s[4:5], 0x0
	s_waitcnt lgkmcnt(0)
	s_bitcmp0_b32 s2, 0
	s_mov_b32 s2, 0
	v_pk_mov_b32 v[2:3], s[0:1], s[0:1] op_sel:[0,1]
	v_pk_mov_b32 v[12:13], s[26:27], s[26:27] op_sel:[0,1]
	s_cbranch_scc1 .LBB158_2
; %bb.1:
	v_pk_mov_b32 v[2:3], s[0:1], s[0:1] op_sel:[0,1]
	flat_load_dwordx2 v[2:3], v[2:3]
	v_pk_mov_b32 v[4:5], s[26:27], s[26:27] op_sel:[0,1]
	flat_load_dwordx2 v[12:13], v[4:5]
	s_load_dwordx2 s[0:1], s[4:5], 0x18
	s_waitcnt lgkmcnt(0)
	v_mov_b32_e32 v1, s1
	s_waitcnt vmcnt(0)
	v_add_co_u32_e32 v2, vcc, s0, v2
	v_addc_co_u32_e32 v3, vcc, v3, v1, vcc
.LBB158_2:
	s_load_dword s0, s[4:5], 0x154
	s_load_dword s7, s[4:5], 0x148
	s_waitcnt lgkmcnt(0)
	s_and_b32 s8, s0, 0xffff
	s_add_u32 s9, s24, -1
	s_mul_i32 s33, s7, s8
	s_addc_u32 s3, s25, -1
	s_lshl_b32 s58, s33, 2
	s_cmp_lg_u64 s[2:3], 0
	s_mov_b64 s[0:1], -1
	s_cbranch_scc0 .LBB158_51
; %bb.3:
	v_cvt_f32_u32_e32 v1, s58
	v_cvt_f32_ubyte0_e32 v4, 0
	s_sub_u32 s2, 0, s58
	s_subb_u32 s10, 0, 0
	v_madmk_f32 v1, v4, 0x4f800000, v1
	v_rcp_f32_e32 v1, v1
	v_mul_f32_e32 v1, 0x5f7ffffc, v1
	v_mul_f32_e32 v4, 0x2f800000, v1
	v_trunc_f32_e32 v4, v4
	v_madmk_f32 v1, v4, 0xcf800000, v1
	v_cvt_u32_f32_e32 v4, v4
	v_cvt_u32_f32_e32 v1, v1
	v_readfirstlane_b32 s11, v4
	v_readfirstlane_b32 s12, v1
	s_mul_i32 s13, s2, s11
	s_mul_hi_u32 s15, s2, s12
	s_mul_i32 s14, s10, s12
	s_add_i32 s13, s15, s13
	s_add_i32 s13, s13, s14
	s_mul_i32 s16, s2, s12
	s_mul_hi_u32 s14, s12, s13
	s_mul_i32 s15, s12, s13
	s_mul_hi_u32 s12, s12, s16
	s_add_u32 s12, s12, s15
	s_addc_u32 s14, 0, s14
	s_mul_hi_u32 s17, s11, s16
	s_mul_i32 s16, s11, s16
	s_add_u32 s12, s12, s16
	s_mul_hi_u32 s15, s11, s13
	s_addc_u32 s12, s14, s17
	s_addc_u32 s14, s15, 0
	s_mul_i32 s13, s11, s13
	s_add_u32 s12, s12, s13
	s_addc_u32 s13, 0, s14
	v_add_co_u32_e32 v1, vcc, s12, v1
	s_cmp_lg_u64 vcc, 0
	s_addc_u32 s11, s11, s13
	v_readfirstlane_b32 s13, v1
	s_mul_i32 s12, s2, s11
	s_mul_hi_u32 s14, s2, s13
	s_add_i32 s12, s14, s12
	s_mul_i32 s10, s10, s13
	s_add_i32 s12, s12, s10
	s_mul_i32 s2, s2, s13
	s_mul_hi_u32 s14, s11, s2
	s_mul_i32 s15, s11, s2
	s_mul_i32 s17, s13, s12
	s_mul_hi_u32 s2, s13, s2
	s_mul_hi_u32 s16, s13, s12
	s_add_u32 s2, s2, s17
	s_addc_u32 s13, 0, s16
	s_add_u32 s2, s2, s15
	s_mul_hi_u32 s10, s11, s12
	s_addc_u32 s2, s13, s14
	s_addc_u32 s10, s10, 0
	s_mul_i32 s12, s11, s12
	s_add_u32 s2, s2, s12
	s_addc_u32 s10, 0, s10
	v_add_co_u32_e32 v1, vcc, s2, v1
	s_cmp_lg_u64 vcc, 0
	s_addc_u32 s12, s11, s10
	s_ashr_i32 s10, s3, 31
	s_add_u32 s2, s9, s10
	s_mov_b32 s11, s10
	s_addc_u32 s3, s3, s10
	s_xor_b64 s[2:3], s[2:3], s[10:11]
	v_readfirstlane_b32 s15, v1
	s_mul_i32 s14, s2, s12
	s_mul_hi_u32 s16, s2, s15
	s_mul_hi_u32 s13, s2, s12
	s_add_u32 s14, s16, s14
	s_addc_u32 s13, 0, s13
	s_mul_hi_u32 s17, s3, s15
	s_mul_i32 s15, s3, s15
	s_add_u32 s14, s14, s15
	s_mul_hi_u32 s16, s3, s12
	s_addc_u32 s13, s13, s17
	s_addc_u32 s14, s16, 0
	s_mul_i32 s12, s3, s12
	s_add_u32 s12, s13, s12
	s_addc_u32 s13, 0, s14
	s_add_u32 s14, s12, 1
	s_addc_u32 s15, s13, 0
	s_add_u32 s16, s12, 2
	s_mul_i32 s18, s58, s13
	s_mul_hi_u32 s19, s58, s12
	s_addc_u32 s17, s13, 0
	s_add_i32 s19, s19, s18
	s_mul_i32 s18, s58, s12
	v_mov_b32_e32 v1, s18
	v_sub_co_u32_e32 v1, vcc, s2, v1
	s_cmp_lg_u64 vcc, 0
	s_subb_u32 s2, s3, s19
	v_subrev_co_u32_e32 v4, vcc, s58, v1
	s_cmp_lg_u64 vcc, 0
	s_subb_u32 s3, s2, 0
	v_readfirstlane_b32 s18, v4
	s_cmp_ge_u32 s18, s58
	s_cselect_b32 s18, -1, 0
	s_cmp_eq_u32 s3, 0
	s_cselect_b32 s3, s18, -1
	s_cmp_lg_u32 s3, 0
	s_cselect_b32 s3, s17, s15
	v_readfirstlane_b32 s15, v1
	s_cselect_b32 s14, s16, s14
	s_cmp_ge_u32 s15, s58
	s_cselect_b32 s15, -1, 0
	s_cmp_eq_u32 s2, 0
	s_cselect_b32 s2, s15, -1
	s_cmp_lg_u32 s2, 0
	s_cselect_b32 s3, s3, s13
	s_cselect_b32 s2, s14, s12
	s_xor_b64 s[2:3], s[2:3], s[10:11]
	s_sub_u32 s2, s2, s10
	s_subb_u32 s3, s3, s10
	s_cbranch_execnz .LBB158_5
.LBB158_4:
	v_cvt_f32_u32_e32 v1, s58
	s_sub_i32 s0, 0, s58
	s_mov_b32 s3, 0
	v_rcp_iflag_f32_e32 v1, v1
	v_mul_f32_e32 v1, 0x4f7ffffe, v1
	v_cvt_u32_f32_e32 v1, v1
	v_readfirstlane_b32 s1, v1
	s_mul_i32 s0, s0, s1
	s_mul_hi_u32 s0, s1, s0
	s_add_i32 s1, s1, s0
	s_mul_hi_u32 s0, s9, s1
	s_mul_i32 s2, s0, s58
	s_sub_i32 s2, s9, s2
	s_add_i32 s1, s0, 1
	s_sub_i32 s9, s2, s58
	s_cmp_ge_u32 s2, s58
	s_cselect_b32 s0, s1, s0
	s_cselect_b32 s2, s9, s2
	s_add_i32 s1, s0, 1
	s_cmp_ge_u32 s2, s58
	s_cselect_b32 s2, s1, s0
.LBB158_5:
	v_mov_b32_e32 v1, 0
	v_mov_b32_e32 v4, s6
	v_mad_u64_u32 v[14:15], s[0:1], s8, v4, v[0:1]
	s_add_u32 s0, s2, 1
	s_addc_u32 s1, s3, 0
	s_mul_hi_u32 s2, s7, s8
	s_mul_i32 s1, s33, s1
	s_mul_hi_u32 s3, s33, s0
	s_add_i32 s1, s3, s1
	s_mul_i32 s2, s2, s0
	s_add_i32 s1, s1, s2
	s_mul_i32 s0, s33, s0
	s_lshl_b64 s[26:27], s[0:1], 2
	v_cmp_gt_i64_e32 vcc, s[26:27], v[14:15]
	s_and_saveexec_b64 s[0:1], vcc
	s_cbranch_execz .LBB158_50
; %bb.6:
	s_mov_b32 s0, 0x5384540f
	v_mov_b32_e32 v0, v13
	v_add_co_u32_e32 v22, vcc, s0, v12
	s_mov_b32 s0, 0x646e171e
	v_add_co_u32_e32 v23, vcc, s0, v0
	s_mov_b32 s0, 0x1715609d
	;; [unrolled: 2-line block ×6, first 2 shown]
	v_alignbit_b32 v29, v3, v2, 2
	s_mov_b32 s60, 0xd2511f53
	v_add_co_u32_e32 v28, vcc, s0, v12
	v_mad_u64_u32 v[4:5], s[0:1], v29, s60, 0
	v_xor_b32_e32 v1, v5, v13
	v_xor_b32_e32 v1, v1, v15
	s_mov_b32 s61, 0xcd9e8d57
	v_mad_u64_u32 v[6:7], s[0:1], v1, s61, 0
	v_xor_b32_e32 v1, v28, v7
	v_mad_u64_u32 v[8:9], s[0:1], v14, s61, 0
	v_and_b32_e32 v18, 3, v2
	v_xor_b32_e32 v1, v1, v8
	v_xor_b32_e32 v2, v12, v9
	v_lshrrev_b32_e32 v30, 2, v3
	v_mad_u64_u32 v[10:11], s[0:1], v1, s60, 0
	v_xor_b32_e32 v2, v2, v30
	v_xor_b32_e32 v1, v27, v11
	v_mad_u64_u32 v[2:3], s[0:1], v2, s60, 0
	v_xor_b32_e32 v1, v1, v2
	v_mad_u64_u32 v[8:9], s[0:1], v1, s61, 0
	s_mov_b32 s0, 0xbb67ae85
	v_add_co_u32_e32 v31, vcc, s0, v0
	v_xor_b32_e32 v2, v31, v3
	v_xor_b32_e32 v2, v2, v4
	v_xor_b32_e32 v1, v26, v9
	v_mad_u64_u32 v[2:3], s[0:1], v2, s61, 0
	v_xor_b32_e32 v1, v1, v2
	v_mad_u64_u32 v[4:5], s[0:1], v1, s60, 0
	s_mov_b32 s0, 0x3c6ef372
	v_add_co_u32_e32 v32, vcc, s0, v12
	v_xor_b32_e32 v2, v32, v3
	;; [unrolled: 8-line block ×6, first 2 shown]
	v_add_co_u32_e32 v21, vcc, 0xdb3d7428, v0
	v_xor_b32_e32 v2, v2, v6
	v_xor_b32_e32 v1, v21, v5
	v_mad_u64_u32 v[2:3], s[0:1], v2, s60, 0
	v_xor_b32_e32 v1, v1, v2
	v_mad_u64_u32 v[6:7], s[0:1], v1, s61, 0
	s_mov_b32 s0, 0x1fd5c5a3
	v_add_co_u32_e32 v37, vcc, s0, v0
	v_xor_b32_e32 v0, v37, v3
	v_xor_b32_e32 v0, v0, v10
	v_mad_u64_u32 v[0:1], s[0:1], v0, s61, 0
	s_mov_b32 s0, 0xf1bbcdc8
	s_load_dwordx8 s[8:15], s[4:5], 0x30
	v_add_co_u32_e32 v38, vcc, s0, v12
	v_xor_b32_e32 v1, v38, v1
	v_xor_b32_e32 v1, v1, v8
	s_add_u32 s34, s4, 48
	v_mad_u64_u32 v[8:9], s[0:1], v1, s60, 0
	s_addc_u32 s35, s5, 0
	s_waitcnt lgkmcnt(0)
	s_add_i32 s0, s8, -1
	s_cmp_gt_u32 s0, 1
	s_cselect_b64 s[40:41], -1, 0
	s_cmp_lg_u32 s8, 0
	s_cselect_b64 s[42:43], -1, 0
	s_add_u32 s44, s4, 0xf4
	s_addc_u32 s45, s5, 0
	s_load_dwordx2 s[46:47], s[4:5], 0xf4
	s_load_dwordx4 s[28:31], s[4:5], 0x138
	s_min_u32 s1, s0, 15
	s_cmp_gt_u32 s8, 1
	s_cselect_b64 s[48:49], -1, 0
	s_add_i32 s1, s1, 1
	s_mov_b32 s8, s13
	s_and_b32 s13, s1, 3
	s_cmp_lg_u32 s0, 2
	s_waitcnt lgkmcnt(0)
	v_cvt_f32_f64_e32 v39, s[30:31]
	s_cselect_b64 s[30:31], -1, 0
	s_and_b32 s15, s1, 28
	v_add_u32_e32 v19, 0x8ff34781, v12
	v_add_u32_e32 v20, 0x96a522ad, v13
	v_xor_b32_e32 v0, v7, v0
	v_xor_b32_e32 v1, v9, v4
	s_cmp_lg_u32 s13, 0
	s_mov_b32 s59, 0
	v_xor_b32_e32 v0, v19, v0
	v_xor_b32_e32 v2, v20, v1
	v_mov_b32_e32 v1, v6
	v_mov_b32_e32 v3, v8
	s_mov_b64 s[50:51], 0
	s_cselect_b64 s[52:53], -1, 0
	v_mov_b32_e32 v40, v14
	v_mov_b32_e32 v41, v15
	s_branch .LBB158_9
.LBB158_7:                              ;   in Loop: Header=BB158_9 Depth=1
	v_lshrrev_b32_e32 v0, 11, v3
	v_cvt_f64_u32_e32 v[0:1], v0
	v_ldexp_f64 v[0:1], v[0:1], 32
	v_cvt_f64_u32_e32 v[2:3], v2
	v_add_f64 v[0:1], v[0:1], v[2:3]
	v_mov_b32_e32 v2, 0
	v_mov_b32_e32 v3, 0x3ca00000
	v_fmac_f64_e32 v[2:3], 0x3ca00000, v[0:1]
	v_cvt_f32_f64_e32 v0, v[2:3]
	v_cmp_gt_f32_e32 vcc, v39, v0
	v_cndmask_b32_e64 v0, 0, 1, vcc
	global_store_byte v8, v0, s[28:29]
.LBB158_8:                              ;   in Loop: Header=BB158_9 Depth=1
	s_or_b64 exec, exec, s[36:37]
	v_add_co_u32_e32 v14, vcc, s58, v14
	v_addc_co_u32_e32 v15, vcc, 0, v15, vcc
	v_mov_b32_e32 v7, v16
	v_cmp_le_i64_e32 vcc, s[26:27], v[14:15]
	v_pk_mov_b32 v[0:1], v[4:5], v[4:5] op_sel:[0,1]
	s_or_b64 s[50:51], vcc, s[50:51]
	v_pk_mov_b32 v[2:3], v[6:7], v[6:7] op_sel:[0,1]
	s_barrier
	s_andn2_b64 exec, exec, s[50:51]
	s_cbranch_execz .LBB158_50
.LBB158_9:                              ; =>This Loop Header: Depth=1
                                        ;     Child Loop BB158_24 Depth 2
                                        ;     Child Loop BB158_30 Depth 2
	;; [unrolled: 1-line block ×4, first 2 shown]
	v_add_co_u32_e32 v29, vcc, 1, v29
	v_cndmask_b32_e64 v4, 0, 1, vcc
	v_addc_co_u32_e32 v30, vcc, 0, v30, vcc
	v_cmp_eq_u32_e32 vcc, 0, v30
	v_cndmask_b32_e32 v4, 0, v4, vcc
	v_add_u32_e32 v40, v4, v40
	v_cmp_eq_u32_e32 vcc, 0, v40
	v_cndmask_b32_e32 v4, 0, v4, vcc
	v_add_u32_e32 v41, v4, v41
	v_mad_u64_u32 v[4:5], s[0:1], v29, s60, 0
	v_mad_u64_u32 v[6:7], s[0:1], v40, s61, 0
	v_xor_b32_e32 v5, v5, v13
	v_xor_b32_e32 v7, v7, v12
	v_xor_b32_e32 v5, v41, v5
	v_xor_b32_e32 v7, v30, v7
	v_mad_u64_u32 v[10:11], s[0:1], v5, s61, 0
	v_mad_u64_u32 v[8:9], s[0:1], v7, s60, 0
	v_xor_b32_e32 v5, v28, v11
	v_xor_b32_e32 v5, v5, v6
	v_xor_b32_e32 v6, v31, v9
	v_xor_b32_e32 v6, v6, v4
	;; [unrolled: 6-line block ×10, first 2 shown]
	v_mov_b32_e32 v5, v10
	v_mov_b32_e32 v6, v11
	v_cmp_lt_i32_e32 vcc, 1, v18
	s_and_saveexec_b64 s[0:1], vcc
	s_xor_b64 s[0:1], exec, s[0:1]
	s_cbranch_execz .LBB158_15
; %bb.10:                               ;   in Loop: Header=BB158_9 Depth=1
	v_cmp_lt_i32_e32 vcc, 2, v18
	s_and_saveexec_b64 s[2:3], vcc
	s_xor_b64 s[2:3], exec, s[2:3]
; %bb.11:                               ;   in Loop: Header=BB158_9 Depth=1
	v_mov_b32_e32 v8, v3
	v_mov_b32_e32 v9, v4
	v_pk_mov_b32 v[0:1], v[8:9], v[8:9] op_sel:[0,1]
	v_pk_mov_b32 v[2:3], v[10:11], v[10:11] op_sel:[0,1]
                                        ; implicit-def: $vgpr10_vgpr11
; %bb.12:                               ;   in Loop: Header=BB158_9 Depth=1
	s_andn2_saveexec_b64 s[2:3], s[2:3]
; %bb.13:                               ;   in Loop: Header=BB158_9 Depth=1
	v_mov_b32_e32 v0, v2
	v_mov_b32_e32 v1, v3
	;; [unrolled: 1-line block ×4, first 2 shown]
; %bb.14:                               ;   in Loop: Header=BB158_9 Depth=1
	s_or_b64 exec, exec, s[2:3]
.LBB158_15:                             ;   in Loop: Header=BB158_9 Depth=1
	s_andn2_saveexec_b64 s[0:1], s[0:1]
	s_cbranch_execz .LBB158_19
; %bb.16:                               ;   in Loop: Header=BB158_9 Depth=1
	v_cmp_eq_u32_e32 vcc, 1, v18
	s_and_saveexec_b64 s[2:3], vcc
; %bb.17:                               ;   in Loop: Header=BB158_9 Depth=1
	v_mov_b32_e32 v0, v1
	v_mov_b32_e32 v1, v2
	;; [unrolled: 1-line block ×4, first 2 shown]
; %bb.18:                               ;   in Loop: Header=BB158_9 Depth=1
	s_or_b64 exec, exec, s[2:3]
.LBB158_19:                             ;   in Loop: Header=BB158_9 Depth=1
	s_or_b64 exec, exec, s[0:1]
	v_cndmask_b32_e64 v7, 0, 1, s[40:41]
	v_cmp_gt_i64_e32 vcc, s[24:25], v[14:15]
	v_cmp_ne_u32_e64 s[0:1], 1, v7
	s_and_saveexec_b64 s[2:3], vcc
	s_cbranch_execz .LBB158_35
; %bb.20:                               ;   in Loop: Header=BB158_9 Depth=1
	s_and_b64 vcc, exec, s[0:1]
	s_cbranch_vccnz .LBB158_26
; %bb.21:                               ;   in Loop: Header=BB158_9 Depth=1
	s_andn2_b64 vcc, exec, s[42:43]
	s_cbranch_vccnz .LBB158_27
; %bb.22:                               ;   in Loop: Header=BB158_9 Depth=1
	s_mov_b32 s6, 0
	s_andn2_b64 vcc, exec, s[30:31]
	v_mov_b32_e32 v8, 0
	s_cbranch_vccnz .LBB158_28
; %bb.23:                               ;   in Loop: Header=BB158_9 Depth=1
	s_mov_b32 s62, 0
	v_mov_b32_e32 v8, 0
	s_mov_b64 s[54:55], s[34:35]
	s_mov_b64 s[56:57], s[44:45]
	v_mov_b32_e32 v7, v14
.LBB158_24:                             ;   Parent Loop BB158_9 Depth=1
                                        ; =>  This Inner Loop Header: Depth=2
	s_load_dwordx8 s[16:23], s[54:55], 0x4
	s_load_dwordx4 s[4:7], s[54:55], 0x24
	s_load_dwordx4 s[36:39], s[56:57], 0x0
	s_add_u32 s54, s54, 48
	s_addc_u32 s55, s55, 0
	s_waitcnt lgkmcnt(0)
	v_mul_hi_u32 v9, s17, v7
	v_add_u32_e32 v9, v7, v9
	v_lshrrev_b32_e32 v9, s18, v9
	v_mul_lo_u32 v10, v9, s16
	v_mul_hi_u32 v11, s20, v9
	v_sub_u32_e32 v7, v7, v10
	v_add_u32_e32 v10, v9, v11
	v_lshrrev_b32_e32 v10, s21, v10
	v_mul_lo_u32 v11, v10, s19
	v_mul_hi_u32 v17, s23, v10
	v_sub_u32_e32 v9, v9, v11
	v_add_u32_e32 v11, v10, v17
	v_mul_lo_u32 v7, v7, s36
	v_mul_lo_u32 v9, v9, s37
	v_lshrrev_b32_e32 v11, s4, v11
	v_add3_u32 v8, v7, v8, v9
	v_mul_lo_u32 v7, v11, s22
	v_mul_hi_u32 v9, s6, v11
	v_sub_u32_e32 v7, v10, v7
	v_add_u32_e32 v9, v11, v9
	v_mul_lo_u32 v10, v7, s38
	v_lshrrev_b32_e32 v7, s7, v9
	s_add_i32 s62, s62, 4
	v_mul_lo_u32 v9, v7, s5
	s_add_u32 s56, s56, 16
	v_sub_u32_e32 v9, v11, v9
	s_addc_u32 s57, s57, 0
	v_mul_lo_u32 v9, v9, s39
	s_cmp_lg_u32 s15, s62
	v_add3_u32 v8, v10, v8, v9
	s_cbranch_scc1 .LBB158_24
; %bb.25:                               ;   in Loop: Header=BB158_9 Depth=1
	s_mov_b32 s6, s15
	s_andn2_b64 vcc, exec, s[52:53]
	s_cbranch_vccz .LBB158_29
	s_branch .LBB158_31
.LBB158_26:                             ;   in Loop: Header=BB158_9 Depth=1
                                        ; implicit-def: $vgpr8
	s_branch .LBB158_32
.LBB158_27:                             ;   in Loop: Header=BB158_9 Depth=1
	v_mov_b32_e32 v8, 0
	s_branch .LBB158_31
.LBB158_28:                             ;   in Loop: Header=BB158_9 Depth=1
	v_mov_b32_e32 v7, v14
	s_andn2_b64 vcc, exec, s[52:53]
	s_cbranch_vccnz .LBB158_31
.LBB158_29:                             ;   in Loop: Header=BB158_9 Depth=1
	s_lshl_b32 s4, s6, 2
	s_add_u32 s4, s44, s4
	s_addc_u32 s5, s45, 0
	s_mul_i32 s6, s6, 12
	s_add_u32 s6, s34, s6
	s_addc_u32 s7, s35, 0
	s_mov_b32 s16, s13
.LBB158_30:                             ;   Parent Loop BB158_9 Depth=1
                                        ; =>  This Inner Loop Header: Depth=2
	s_load_dwordx2 s[18:19], s[6:7], 0x4
	s_load_dword s17, s[6:7], 0xc
	s_load_dword s20, s[4:5], 0x0
	s_add_u32 s6, s6, 12
	s_addc_u32 s7, s7, 0
	s_waitcnt lgkmcnt(0)
	v_mul_hi_u32 v9, s19, v7
	v_add_u32_e32 v9, v7, v9
	v_lshrrev_b32_e32 v9, s17, v9
	s_add_u32 s4, s4, 4
	v_mul_lo_u32 v10, v9, s18
	s_addc_u32 s5, s5, 0
	s_add_i32 s16, s16, -1
	v_sub_u32_e32 v10, v7, v10
	s_cmp_lg_u32 s16, 0
	v_mov_b32_e32 v7, v9
	v_mad_u64_u32 v[8:9], s[18:19], v10, s20, v[8:9]
	s_cbranch_scc1 .LBB158_30
.LBB158_31:                             ;   in Loop: Header=BB158_9 Depth=1
	s_cbranch_execnz .LBB158_34
.LBB158_32:                             ;   in Loop: Header=BB158_9 Depth=1
	v_mul_hi_u32 v7, v14, s10
	v_add_u32_e32 v7, v7, v14
	v_lshrrev_b32_e32 v7, s11, v7
	v_mul_lo_u32 v8, v7, s9
	v_sub_u32_e32 v8, v14, v8
	s_andn2_b64 vcc, exec, s[48:49]
	v_mul_lo_u32 v8, v8, s46
	s_cbranch_vccnz .LBB158_34
; %bb.33:                               ;   in Loop: Header=BB158_9 Depth=1
	v_mul_hi_u32 v9, s8, v7
	v_add_u32_e32 v9, v7, v9
	v_lshrrev_b32_e32 v9, s14, v9
	v_mul_lo_u32 v9, v9, s12
	v_sub_u32_e32 v7, v7, v9
	v_mad_u64_u32 v[8:9], s[4:5], v7, s47, v[8:9]
.LBB158_34:                             ;   in Loop: Header=BB158_9 Depth=1
	v_lshrrev_b32_e32 v1, 11, v1
	v_cvt_f64_u32_e32 v[10:11], v1
	v_ldexp_f64 v[10:11], v[10:11], 32
	v_cvt_f64_u32_e32 v[0:1], v0
	v_add_f64 v[0:1], v[10:11], v[0:1]
	v_mov_b32_e32 v10, 0
	v_mov_b32_e32 v11, 0x3ca00000
	v_fmac_f64_e32 v[10:11], 0x3ca00000, v[0:1]
	v_cvt_f32_f64_e32 v0, v[10:11]
	v_cmp_gt_f32_e32 vcc, v39, v0
	v_cndmask_b32_e64 v0, 0, 1, vcc
	global_store_byte v8, v0, s[28:29]
.LBB158_35:                             ;   in Loop: Header=BB158_9 Depth=1
	s_or_b64 exec, exec, s[2:3]
	v_mov_b32_e32 v1, s59
	v_add_co_u32_e32 v0, vcc, s33, v14
	v_addc_co_u32_e32 v1, vcc, v15, v1, vcc
	v_cmp_gt_i64_e32 vcc, s[24:25], v[0:1]
	s_and_saveexec_b64 s[36:37], vcc
	s_cbranch_execz .LBB158_8
; %bb.36:                               ;   in Loop: Header=BB158_9 Depth=1
	s_and_b64 vcc, exec, s[0:1]
	s_cbranch_vccnz .LBB158_42
; %bb.37:                               ;   in Loop: Header=BB158_9 Depth=1
	s_andn2_b64 vcc, exec, s[42:43]
	s_cbranch_vccnz .LBB158_43
; %bb.38:                               ;   in Loop: Header=BB158_9 Depth=1
	s_mov_b32 s2, 0
	s_andn2_b64 vcc, exec, s[30:31]
	v_mov_b32_e32 v8, 0
	s_cbranch_vccnz .LBB158_44
; %bb.39:                               ;   in Loop: Header=BB158_9 Depth=1
	s_mov_b32 s56, 0
	v_mov_b32_e32 v8, 0
	s_mov_b64 s[38:39], s[34:35]
	s_mov_b64 s[54:55], s[44:45]
	v_mov_b32_e32 v1, v0
.LBB158_40:                             ;   Parent Loop BB158_9 Depth=1
                                        ; =>  This Inner Loop Header: Depth=2
	s_load_dwordx8 s[0:7], s[38:39], 0x4
	s_load_dwordx4 s[16:19], s[38:39], 0x24
	s_load_dwordx4 s[20:23], s[54:55], 0x0
	s_add_u32 s38, s38, 48
	s_addc_u32 s39, s39, 0
	s_waitcnt lgkmcnt(0)
	v_mul_hi_u32 v7, s1, v1
	v_add_u32_e32 v7, v1, v7
	v_lshrrev_b32_e32 v7, s2, v7
	v_mul_lo_u32 v9, v7, s0
	v_mul_hi_u32 v10, s4, v7
	v_sub_u32_e32 v1, v1, v9
	v_add_u32_e32 v9, v7, v10
	v_lshrrev_b32_e32 v9, s5, v9
	v_mul_lo_u32 v10, v9, s3
	v_mul_hi_u32 v11, s7, v9
	v_sub_u32_e32 v7, v7, v10
	v_add_u32_e32 v10, v9, v11
	v_mul_lo_u32 v1, v1, s20
	v_mul_lo_u32 v7, v7, s21
	v_lshrrev_b32_e32 v10, s16, v10
	v_add3_u32 v7, v1, v8, v7
	v_mul_lo_u32 v1, v10, s6
	v_mul_hi_u32 v8, s18, v10
	v_sub_u32_e32 v1, v9, v1
	v_add_u32_e32 v8, v10, v8
	v_mul_lo_u32 v9, v1, s22
	v_lshrrev_b32_e32 v1, s19, v8
	s_add_i32 s56, s56, 4
	v_mul_lo_u32 v8, v1, s17
	s_add_u32 s54, s54, 16
	v_sub_u32_e32 v8, v10, v8
	s_addc_u32 s55, s55, 0
	v_mul_lo_u32 v8, v8, s23
	s_cmp_eq_u32 s15, s56
	v_add3_u32 v8, v9, v7, v8
	s_cbranch_scc0 .LBB158_40
; %bb.41:                               ;   in Loop: Header=BB158_9 Depth=1
	s_mov_b32 s2, s15
	s_andn2_b64 vcc, exec, s[52:53]
	s_cbranch_vccz .LBB158_45
	s_branch .LBB158_47
.LBB158_42:                             ;   in Loop: Header=BB158_9 Depth=1
                                        ; implicit-def: $vgpr8
	s_branch .LBB158_48
.LBB158_43:                             ;   in Loop: Header=BB158_9 Depth=1
	v_mov_b32_e32 v8, 0
	s_branch .LBB158_47
.LBB158_44:                             ;   in Loop: Header=BB158_9 Depth=1
	v_mov_b32_e32 v1, v0
	s_andn2_b64 vcc, exec, s[52:53]
	s_cbranch_vccnz .LBB158_47
.LBB158_45:                             ;   in Loop: Header=BB158_9 Depth=1
	s_lshl_b32 s0, s2, 2
	s_add_u32 s0, s44, s0
	s_addc_u32 s1, s45, 0
	s_mul_i32 s2, s2, 12
	s_add_u32 s2, s34, s2
	s_addc_u32 s3, s35, 0
	s_mov_b32 s4, s13
.LBB158_46:                             ;   Parent Loop BB158_9 Depth=1
                                        ; =>  This Inner Loop Header: Depth=2
	s_load_dwordx2 s[6:7], s[2:3], 0x4
	s_load_dword s5, s[2:3], 0xc
	s_load_dword s16, s[0:1], 0x0
	s_add_u32 s2, s2, 12
	s_addc_u32 s3, s3, 0
	s_waitcnt lgkmcnt(0)
	v_mul_hi_u32 v7, s7, v1
	v_add_u32_e32 v7, v1, v7
	v_lshrrev_b32_e32 v7, s5, v7
	s_add_u32 s0, s0, 4
	v_mul_lo_u32 v9, v7, s6
	s_addc_u32 s1, s1, 0
	s_add_i32 s4, s4, -1
	v_sub_u32_e32 v9, v1, v9
	s_cmp_lg_u32 s4, 0
	v_mov_b32_e32 v1, v7
	v_mad_u64_u32 v[8:9], s[6:7], v9, s16, v[8:9]
	s_cbranch_scc1 .LBB158_46
.LBB158_47:                             ;   in Loop: Header=BB158_9 Depth=1
	s_cbranch_execnz .LBB158_7
.LBB158_48:                             ;   in Loop: Header=BB158_9 Depth=1
	v_mul_hi_u32 v1, v0, s10
	v_add_u32_e32 v1, v1, v0
	v_lshrrev_b32_e32 v1, s11, v1
	v_mul_lo_u32 v7, v1, s9
	v_sub_u32_e32 v0, v0, v7
	s_andn2_b64 vcc, exec, s[48:49]
	v_mul_lo_u32 v8, v0, s46
	s_cbranch_vccnz .LBB158_7
; %bb.49:                               ;   in Loop: Header=BB158_9 Depth=1
	v_mul_hi_u32 v0, s8, v1
	v_add_u32_e32 v0, v1, v0
	v_lshrrev_b32_e32 v0, s14, v0
	v_mul_lo_u32 v0, v0, s12
	v_sub_u32_e32 v0, v1, v0
	v_mad_u64_u32 v[8:9], s[0:1], v0, s47, v[8:9]
	s_branch .LBB158_7
.LBB158_50:
	s_endpgm
.LBB158_51:
                                        ; implicit-def: $sgpr2_sgpr3
	s_andn2_b64 vcc, exec, s[0:1]
	s_cbranch_vccz .LBB158_4
	s_branch .LBB158_5
	.section	.rodata,"a",@progbits
	.p2align	6, 0x0
	.amdhsa_kernel _ZN2at6native12_GLOBAL__N_143distribution_elementwise_grid_stride_kernelIfLi4EZNS0_9templates4cuda21uniform_and_transformIbfPNS_17CUDAGeneratorImplEZZZNS4_16bernoulli_kernelIS7_EEvRNS_18TensorIteratorBaseEdT_ENKUlvE_clEvENKUlvE8_clEvEUlfE_EEvSA_T1_T2_EUlP25hiprandStatePhilox4_32_10E_ZNS1_27distribution_nullary_kernelIbf15HIP_vector_typeIdLj2EES7_SJ_SE_EEvSA_SG_RKT3_T4_EUlifE0_EEvlNS_15PhiloxCudaStateESF_SG_
		.amdhsa_group_segment_fixed_size 0
		.amdhsa_private_segment_fixed_size 0
		.amdhsa_kernarg_size 584
		.amdhsa_user_sgpr_count 6
		.amdhsa_user_sgpr_private_segment_buffer 1
		.amdhsa_user_sgpr_dispatch_ptr 0
		.amdhsa_user_sgpr_queue_ptr 0
		.amdhsa_user_sgpr_kernarg_segment_ptr 1
		.amdhsa_user_sgpr_dispatch_id 0
		.amdhsa_user_sgpr_flat_scratch_init 0
		.amdhsa_user_sgpr_kernarg_preload_length 0
		.amdhsa_user_sgpr_kernarg_preload_offset 0
		.amdhsa_user_sgpr_private_segment_size 0
		.amdhsa_uses_dynamic_stack 0
		.amdhsa_system_sgpr_private_segment_wavefront_offset 0
		.amdhsa_system_sgpr_workgroup_id_x 1
		.amdhsa_system_sgpr_workgroup_id_y 0
		.amdhsa_system_sgpr_workgroup_id_z 0
		.amdhsa_system_sgpr_workgroup_info 0
		.amdhsa_system_vgpr_workitem_id 0
		.amdhsa_next_free_vgpr 42
		.amdhsa_next_free_sgpr 63
		.amdhsa_accum_offset 44
		.amdhsa_reserve_vcc 1
		.amdhsa_reserve_flat_scratch 0
		.amdhsa_float_round_mode_32 0
		.amdhsa_float_round_mode_16_64 0
		.amdhsa_float_denorm_mode_32 3
		.amdhsa_float_denorm_mode_16_64 3
		.amdhsa_dx10_clamp 1
		.amdhsa_ieee_mode 1
		.amdhsa_fp16_overflow 0
		.amdhsa_tg_split 0
		.amdhsa_exception_fp_ieee_invalid_op 0
		.amdhsa_exception_fp_denorm_src 0
		.amdhsa_exception_fp_ieee_div_zero 0
		.amdhsa_exception_fp_ieee_overflow 0
		.amdhsa_exception_fp_ieee_underflow 0
		.amdhsa_exception_fp_ieee_inexact 0
		.amdhsa_exception_int_div_zero 0
	.end_amdhsa_kernel
	.section	.text._ZN2at6native12_GLOBAL__N_143distribution_elementwise_grid_stride_kernelIfLi4EZNS0_9templates4cuda21uniform_and_transformIbfPNS_17CUDAGeneratorImplEZZZNS4_16bernoulli_kernelIS7_EEvRNS_18TensorIteratorBaseEdT_ENKUlvE_clEvENKUlvE8_clEvEUlfE_EEvSA_T1_T2_EUlP25hiprandStatePhilox4_32_10E_ZNS1_27distribution_nullary_kernelIbf15HIP_vector_typeIdLj2EES7_SJ_SE_EEvSA_SG_RKT3_T4_EUlifE0_EEvlNS_15PhiloxCudaStateESF_SG_,"axG",@progbits,_ZN2at6native12_GLOBAL__N_143distribution_elementwise_grid_stride_kernelIfLi4EZNS0_9templates4cuda21uniform_and_transformIbfPNS_17CUDAGeneratorImplEZZZNS4_16bernoulli_kernelIS7_EEvRNS_18TensorIteratorBaseEdT_ENKUlvE_clEvENKUlvE8_clEvEUlfE_EEvSA_T1_T2_EUlP25hiprandStatePhilox4_32_10E_ZNS1_27distribution_nullary_kernelIbf15HIP_vector_typeIdLj2EES7_SJ_SE_EEvSA_SG_RKT3_T4_EUlifE0_EEvlNS_15PhiloxCudaStateESF_SG_,comdat
.Lfunc_end158:
	.size	_ZN2at6native12_GLOBAL__N_143distribution_elementwise_grid_stride_kernelIfLi4EZNS0_9templates4cuda21uniform_and_transformIbfPNS_17CUDAGeneratorImplEZZZNS4_16bernoulli_kernelIS7_EEvRNS_18TensorIteratorBaseEdT_ENKUlvE_clEvENKUlvE8_clEvEUlfE_EEvSA_T1_T2_EUlP25hiprandStatePhilox4_32_10E_ZNS1_27distribution_nullary_kernelIbf15HIP_vector_typeIdLj2EES7_SJ_SE_EEvSA_SG_RKT3_T4_EUlifE0_EEvlNS_15PhiloxCudaStateESF_SG_, .Lfunc_end158-_ZN2at6native12_GLOBAL__N_143distribution_elementwise_grid_stride_kernelIfLi4EZNS0_9templates4cuda21uniform_and_transformIbfPNS_17CUDAGeneratorImplEZZZNS4_16bernoulli_kernelIS7_EEvRNS_18TensorIteratorBaseEdT_ENKUlvE_clEvENKUlvE8_clEvEUlfE_EEvSA_T1_T2_EUlP25hiprandStatePhilox4_32_10E_ZNS1_27distribution_nullary_kernelIbf15HIP_vector_typeIdLj2EES7_SJ_SE_EEvSA_SG_RKT3_T4_EUlifE0_EEvlNS_15PhiloxCudaStateESF_SG_
                                        ; -- End function
	.section	.AMDGPU.csdata,"",@progbits
; Kernel info:
; codeLenInByte = 3312
; NumSgprs: 67
; NumVgprs: 42
; NumAgprs: 0
; TotalNumVgprs: 42
; ScratchSize: 0
; MemoryBound: 0
; FloatMode: 240
; IeeeMode: 1
; LDSByteSize: 0 bytes/workgroup (compile time only)
; SGPRBlocks: 8
; VGPRBlocks: 5
; NumSGPRsForWavesPerEU: 67
; NumVGPRsForWavesPerEU: 42
; AccumOffset: 44
; Occupancy: 8
; WaveLimiterHint : 1
; COMPUTE_PGM_RSRC2:SCRATCH_EN: 0
; COMPUTE_PGM_RSRC2:USER_SGPR: 6
; COMPUTE_PGM_RSRC2:TRAP_HANDLER: 0
; COMPUTE_PGM_RSRC2:TGID_X_EN: 1
; COMPUTE_PGM_RSRC2:TGID_Y_EN: 0
; COMPUTE_PGM_RSRC2:TGID_Z_EN: 0
; COMPUTE_PGM_RSRC2:TIDIG_COMP_CNT: 0
; COMPUTE_PGM_RSRC3_GFX90A:ACCUM_OFFSET: 10
; COMPUTE_PGM_RSRC3_GFX90A:TG_SPLIT: 0
	.section	.text._ZN2at6native12_GLOBAL__N_143distribution_elementwise_grid_stride_kernelIfLi4EZNS0_9templates4cuda21uniform_and_transformIbfPNS_17CUDAGeneratorImplEZZZNS4_16bernoulli_kernelIS7_EEvRNS_18TensorIteratorBaseEdT_ENKUlvE_clEvENKUlvE8_clEvEUlfE_EEvSA_T1_T2_EUlP25hiprandStatePhilox4_32_10E0_ZNS1_27distribution_nullary_kernelIbf15HIP_vector_typeIfLj4EES7_SJ_SE_EEvSA_SG_RKT3_T4_EUlifE_EEvlNS_15PhiloxCudaStateESF_SG_,"axG",@progbits,_ZN2at6native12_GLOBAL__N_143distribution_elementwise_grid_stride_kernelIfLi4EZNS0_9templates4cuda21uniform_and_transformIbfPNS_17CUDAGeneratorImplEZZZNS4_16bernoulli_kernelIS7_EEvRNS_18TensorIteratorBaseEdT_ENKUlvE_clEvENKUlvE8_clEvEUlfE_EEvSA_T1_T2_EUlP25hiprandStatePhilox4_32_10E0_ZNS1_27distribution_nullary_kernelIbf15HIP_vector_typeIfLj4EES7_SJ_SE_EEvSA_SG_RKT3_T4_EUlifE_EEvlNS_15PhiloxCudaStateESF_SG_,comdat
	.globl	_ZN2at6native12_GLOBAL__N_143distribution_elementwise_grid_stride_kernelIfLi4EZNS0_9templates4cuda21uniform_and_transformIbfPNS_17CUDAGeneratorImplEZZZNS4_16bernoulli_kernelIS7_EEvRNS_18TensorIteratorBaseEdT_ENKUlvE_clEvENKUlvE8_clEvEUlfE_EEvSA_T1_T2_EUlP25hiprandStatePhilox4_32_10E0_ZNS1_27distribution_nullary_kernelIbf15HIP_vector_typeIfLj4EES7_SJ_SE_EEvSA_SG_RKT3_T4_EUlifE_EEvlNS_15PhiloxCudaStateESF_SG_ ; -- Begin function _ZN2at6native12_GLOBAL__N_143distribution_elementwise_grid_stride_kernelIfLi4EZNS0_9templates4cuda21uniform_and_transformIbfPNS_17CUDAGeneratorImplEZZZNS4_16bernoulli_kernelIS7_EEvRNS_18TensorIteratorBaseEdT_ENKUlvE_clEvENKUlvE8_clEvEUlfE_EEvSA_T1_T2_EUlP25hiprandStatePhilox4_32_10E0_ZNS1_27distribution_nullary_kernelIbf15HIP_vector_typeIfLj4EES7_SJ_SE_EEvSA_SG_RKT3_T4_EUlifE_EEvlNS_15PhiloxCudaStateESF_SG_
	.p2align	8
	.type	_ZN2at6native12_GLOBAL__N_143distribution_elementwise_grid_stride_kernelIfLi4EZNS0_9templates4cuda21uniform_and_transformIbfPNS_17CUDAGeneratorImplEZZZNS4_16bernoulli_kernelIS7_EEvRNS_18TensorIteratorBaseEdT_ENKUlvE_clEvENKUlvE8_clEvEUlfE_EEvSA_T1_T2_EUlP25hiprandStatePhilox4_32_10E0_ZNS1_27distribution_nullary_kernelIbf15HIP_vector_typeIfLj4EES7_SJ_SE_EEvSA_SG_RKT3_T4_EUlifE_EEvlNS_15PhiloxCudaStateESF_SG_,@function
_ZN2at6native12_GLOBAL__N_143distribution_elementwise_grid_stride_kernelIfLi4EZNS0_9templates4cuda21uniform_and_transformIbfPNS_17CUDAGeneratorImplEZZZNS4_16bernoulli_kernelIS7_EEvRNS_18TensorIteratorBaseEdT_ENKUlvE_clEvENKUlvE8_clEvEUlfE_EEvSA_T1_T2_EUlP25hiprandStatePhilox4_32_10E0_ZNS1_27distribution_nullary_kernelIbf15HIP_vector_typeIfLj4EES7_SJ_SE_EEvSA_SG_RKT3_T4_EUlifE_EEvlNS_15PhiloxCudaStateESF_SG_: ; @_ZN2at6native12_GLOBAL__N_143distribution_elementwise_grid_stride_kernelIfLi4EZNS0_9templates4cuda21uniform_and_transformIbfPNS_17CUDAGeneratorImplEZZZNS4_16bernoulli_kernelIS7_EEvRNS_18TensorIteratorBaseEdT_ENKUlvE_clEvENKUlvE8_clEvEUlfE_EEvSA_T1_T2_EUlP25hiprandStatePhilox4_32_10E0_ZNS1_27distribution_nullary_kernelIbf15HIP_vector_typeIfLj4EES7_SJ_SE_EEvSA_SG_RKT3_T4_EUlifE_EEvlNS_15PhiloxCudaStateESF_SG_
; %bb.0:
	s_load_dword s7, s[4:5], 0x20
	s_load_dwordx2 s[10:11], s[4:5], 0x10
	s_load_dwordx4 s[0:3], s[4:5], 0x0
	s_mov_b32 s8, 0
	s_waitcnt lgkmcnt(0)
	s_bitcmp0_b32 s7, 0
	v_pk_mov_b32 v[2:3], s[10:11], s[10:11] op_sel:[0,1]
	v_pk_mov_b32 v[14:15], s[2:3], s[2:3] op_sel:[0,1]
	s_cbranch_scc1 .LBB159_2
; %bb.1:
	v_pk_mov_b32 v[2:3], s[10:11], s[10:11] op_sel:[0,1]
	flat_load_dwordx2 v[2:3], v[2:3]
	v_pk_mov_b32 v[4:5], s[2:3], s[2:3] op_sel:[0,1]
	flat_load_dwordx2 v[14:15], v[4:5]
	s_load_dwordx2 s[2:3], s[4:5], 0x18
	s_waitcnt lgkmcnt(0)
	v_mov_b32_e32 v1, s3
	s_waitcnt vmcnt(0)
	v_add_co_u32_e32 v2, vcc, s2, v2
	v_addc_co_u32_e32 v3, vcc, v3, v1, vcc
.LBB159_2:
	s_load_dword s2, s[4:5], 0x54
	s_load_dword s17, s[4:5], 0x48
	s_waitcnt lgkmcnt(0)
	s_and_b32 s7, s2, 0xffff
	s_add_u32 s10, s0, -1
	s_mul_i32 s12, s17, s7
	s_addc_u32 s9, s1, -1
	s_lshl_b32 s13, s12, 2
	s_cmp_lg_u64 s[8:9], 0
	s_mov_b64 s[2:3], -1
	s_cbranch_scc0 .LBB159_27
; %bb.3:
	v_cvt_f32_u32_e32 v1, s13
	v_cvt_f32_ubyte0_e32 v4, 0
	s_sub_u32 s8, 0, s13
	s_subb_u32 s11, 0, 0
	v_madmk_f32 v1, v4, 0x4f800000, v1
	v_rcp_f32_e32 v1, v1
	v_mul_f32_e32 v1, 0x5f7ffffc, v1
	v_mul_f32_e32 v4, 0x2f800000, v1
	v_trunc_f32_e32 v4, v4
	v_madmk_f32 v1, v4, 0xcf800000, v1
	v_cvt_u32_f32_e32 v4, v4
	v_cvt_u32_f32_e32 v1, v1
	v_readfirstlane_b32 s14, v4
	v_readfirstlane_b32 s15, v1
	s_mul_i32 s16, s8, s14
	s_mul_hi_u32 s19, s8, s15
	s_mul_i32 s18, s11, s15
	s_add_i32 s16, s19, s16
	s_add_i32 s16, s16, s18
	s_mul_i32 s20, s8, s15
	s_mul_hi_u32 s18, s15, s16
	s_mul_i32 s19, s15, s16
	s_mul_hi_u32 s15, s15, s20
	s_add_u32 s15, s15, s19
	s_addc_u32 s18, 0, s18
	s_mul_hi_u32 s21, s14, s20
	s_mul_i32 s20, s14, s20
	s_add_u32 s15, s15, s20
	s_mul_hi_u32 s19, s14, s16
	s_addc_u32 s15, s18, s21
	s_addc_u32 s18, s19, 0
	s_mul_i32 s16, s14, s16
	s_add_u32 s15, s15, s16
	s_addc_u32 s16, 0, s18
	v_add_co_u32_e32 v1, vcc, s15, v1
	s_cmp_lg_u64 vcc, 0
	s_addc_u32 s14, s14, s16
	v_readfirstlane_b32 s16, v1
	s_mul_i32 s15, s8, s14
	s_mul_hi_u32 s18, s8, s16
	s_add_i32 s15, s18, s15
	s_mul_i32 s11, s11, s16
	s_add_i32 s15, s15, s11
	s_mul_i32 s8, s8, s16
	s_mul_hi_u32 s18, s14, s8
	s_mul_i32 s19, s14, s8
	s_mul_i32 s21, s16, s15
	s_mul_hi_u32 s8, s16, s8
	s_mul_hi_u32 s20, s16, s15
	s_add_u32 s8, s8, s21
	s_addc_u32 s16, 0, s20
	s_add_u32 s8, s8, s19
	s_mul_hi_u32 s11, s14, s15
	s_addc_u32 s8, s16, s18
	s_addc_u32 s11, s11, 0
	s_mul_i32 s15, s14, s15
	s_add_u32 s8, s8, s15
	s_addc_u32 s11, 0, s11
	v_add_co_u32_e32 v1, vcc, s8, v1
	s_cmp_lg_u64 vcc, 0
	s_addc_u32 s11, s14, s11
	s_ashr_i32 s14, s9, 31
	s_add_u32 s8, s10, s14
	s_mov_b32 s15, s14
	s_addc_u32 s9, s9, s14
	s_xor_b64 s[8:9], s[8:9], s[14:15]
	v_readfirstlane_b32 s19, v1
	s_mul_i32 s18, s8, s11
	s_mul_hi_u32 s20, s8, s19
	s_mul_hi_u32 s16, s8, s11
	s_add_u32 s18, s20, s18
	s_addc_u32 s16, 0, s16
	s_mul_hi_u32 s21, s9, s19
	s_mul_i32 s19, s9, s19
	s_add_u32 s18, s18, s19
	s_mul_hi_u32 s20, s9, s11
	s_addc_u32 s16, s16, s21
	s_addc_u32 s18, s20, 0
	s_mul_i32 s11, s9, s11
	s_add_u32 s11, s16, s11
	s_addc_u32 s16, 0, s18
	s_add_u32 s18, s11, 1
	s_addc_u32 s19, s16, 0
	s_add_u32 s20, s11, 2
	s_mul_i32 s22, s13, s16
	s_mul_hi_u32 s23, s13, s11
	s_addc_u32 s21, s16, 0
	s_add_i32 s23, s23, s22
	s_mul_i32 s22, s13, s11
	v_mov_b32_e32 v1, s22
	v_sub_co_u32_e32 v1, vcc, s8, v1
	s_cmp_lg_u64 vcc, 0
	s_subb_u32 s8, s9, s23
	v_subrev_co_u32_e32 v4, vcc, s13, v1
	s_cmp_lg_u64 vcc, 0
	s_subb_u32 s9, s8, 0
	v_readfirstlane_b32 s22, v4
	s_cmp_ge_u32 s22, s13
	s_cselect_b32 s22, -1, 0
	s_cmp_eq_u32 s9, 0
	s_cselect_b32 s9, s22, -1
	s_cmp_lg_u32 s9, 0
	s_cselect_b32 s9, s21, s19
	v_readfirstlane_b32 s19, v1
	s_cselect_b32 s18, s20, s18
	s_cmp_ge_u32 s19, s13
	s_cselect_b32 s19, -1, 0
	s_cmp_eq_u32 s8, 0
	s_cselect_b32 s8, s19, -1
	s_cmp_lg_u32 s8, 0
	s_cselect_b32 s9, s9, s16
	s_cselect_b32 s8, s18, s11
	s_xor_b64 s[8:9], s[8:9], s[14:15]
	s_sub_u32 s8, s8, s14
	s_subb_u32 s9, s9, s14
	s_cbranch_execnz .LBB159_5
.LBB159_4:
	v_cvt_f32_u32_e32 v1, s13
	s_sub_i32 s2, 0, s13
	s_mov_b32 s9, 0
	v_rcp_iflag_f32_e32 v1, v1
	v_mul_f32_e32 v1, 0x4f7ffffe, v1
	v_cvt_u32_f32_e32 v1, v1
	v_readfirstlane_b32 s3, v1
	s_mul_i32 s2, s2, s3
	s_mul_hi_u32 s2, s3, s2
	s_add_i32 s3, s3, s2
	s_mul_hi_u32 s2, s10, s3
	s_mul_i32 s8, s2, s13
	s_sub_i32 s8, s10, s8
	s_add_i32 s3, s2, 1
	s_sub_i32 s10, s8, s13
	s_cmp_ge_u32 s8, s13
	s_cselect_b32 s2, s3, s2
	s_cselect_b32 s8, s10, s8
	s_add_i32 s3, s2, 1
	s_cmp_ge_u32 s8, s13
	s_cselect_b32 s8, s3, s2
.LBB159_5:
	v_mov_b32_e32 v1, 0
	v_mov_b32_e32 v4, s6
	v_mad_u64_u32 v[16:17], s[2:3], s7, v4, v[0:1]
	s_add_u32 s2, s8, 1
	s_addc_u32 s3, s9, 0
	s_mul_hi_u32 s8, s17, s7
	s_mul_i32 s3, s12, s3
	s_mul_hi_u32 s9, s12, s2
	s_add_i32 s3, s9, s3
	s_mul_i32 s8, s8, s2
	s_add_i32 s3, s3, s8
	s_mul_i32 s2, s12, s2
	s_lshl_b64 s[2:3], s[2:3], 2
	v_cmp_gt_i64_e32 vcc, s[2:3], v[16:17]
	s_and_saveexec_b64 s[8:9], vcc
	s_cbranch_execz .LBB159_26
; %bb.6:
	s_load_dwordx2 s[8:9], s[4:5], 0x30
	s_load_dword s23, s[4:5], 0x38
	s_load_dwordx2 s[10:11], s[4:5], 0x40
	s_mov_b32 s4, 0x5384540f
	v_mov_b32_e32 v4, v15
	v_add_co_u32_e32 v22, vcc, s4, v14
	s_mov_b32 s4, 0x646e171e
	v_add_co_u32_e32 v23, vcc, s4, v4
	s_mov_b32 s4, 0x1715609d
	;; [unrolled: 2-line block ×6, first 2 shown]
	v_alignbit_b32 v29, v3, v2, 2
	s_mov_b32 s15, 0xd2511f53
	v_add_co_u32_e32 v28, vcc, s4, v14
	v_mad_u64_u32 v[6:7], s[4:5], v29, s15, 0
	v_xor_b32_e32 v1, v7, v15
	v_xor_b32_e32 v1, v1, v17
	s_mov_b32 s16, 0xcd9e8d57
	v_mad_u64_u32 v[8:9], s[4:5], v1, s16, 0
	v_xor_b32_e32 v1, v28, v9
	v_mad_u64_u32 v[10:11], s[4:5], v16, s16, 0
	v_and_b32_e32 v18, 3, v2
	v_xor_b32_e32 v1, v1, v10
	v_xor_b32_e32 v2, v14, v11
	v_lshrrev_b32_e32 v30, 2, v3
	v_mad_u64_u32 v[12:13], s[4:5], v1, s15, 0
	v_xor_b32_e32 v2, v2, v30
	v_xor_b32_e32 v1, v27, v13
	v_mad_u64_u32 v[2:3], s[4:5], v2, s15, 0
	v_xor_b32_e32 v1, v1, v2
	v_mad_u64_u32 v[10:11], s[4:5], v1, s16, 0
	s_mov_b32 s4, 0xbb67ae85
	v_add_co_u32_e32 v31, vcc, s4, v4
	v_xor_b32_e32 v2, v31, v3
	v_xor_b32_e32 v2, v2, v6
	v_xor_b32_e32 v1, v26, v11
	v_mad_u64_u32 v[2:3], s[4:5], v2, s16, 0
	v_xor_b32_e32 v1, v1, v2
	v_mad_u64_u32 v[6:7], s[4:5], v1, s15, 0
	s_mov_b32 s4, 0x3c6ef372
	v_add_co_u32_e32 v32, vcc, s4, v14
	v_xor_b32_e32 v2, v32, v3
	;; [unrolled: 8-line block ×6, first 2 shown]
	v_add_co_u32_e32 v21, vcc, 0xdb3d7428, v4
	v_xor_b32_e32 v2, v2, v8
	v_xor_b32_e32 v1, v21, v7
	v_mad_u64_u32 v[2:3], s[4:5], v2, s15, 0
	v_xor_b32_e32 v1, v1, v2
	v_mad_u64_u32 v[8:9], s[4:5], v1, s16, 0
	s_mov_b32 s4, 0x1fd5c5a3
	v_add_co_u32_e32 v37, vcc, s4, v4
	v_xor_b32_e32 v1, v37, v3
	v_xor_b32_e32 v1, v1, v12
	v_mad_u64_u32 v[2:3], s[4:5], v1, s16, 0
	s_mov_b32 s4, 0xf1bbcdc8
	v_add_u32_e32 v19, 0x8ff34781, v14
	v_xor_b32_e32 v1, v9, v2
	v_add_co_u32_e32 v38, vcc, s4, v14
	v_xor_b32_e32 v2, v19, v1
	v_xor_b32_e32 v1, v38, v3
	;; [unrolled: 1-line block ×3, first 2 shown]
	v_mad_u64_u32 v[10:11], s[4:5], v1, s15, 0
	v_add_u32_e32 v20, 0x96a522ad, v15
	v_xor_b32_e32 v1, v11, v6
	s_mul_i32 s4, s6, s7
	v_xor_b32_e32 v4, v20, v1
	v_add_u32_e32 v1, s4, v0
	s_waitcnt lgkmcnt(0)
	s_mul_i32 s4, s17, s23
	s_mul_i32 s4, s4, s7
	s_lshl_b32 s22, s4, 2
	s_mul_i32 s4, s17, 3
	s_add_i32 s4, s6, s4
	s_mul_i32 s4, s4, s7
	v_mul_lo_u32 v40, s23, v1
	v_add_u32_e32 v1, s4, v0
	s_lshl_b32 s4, s17, 1
	s_add_i32 s4, s6, s4
	s_mul_i32 s4, s4, s7
	v_mul_lo_u32 v41, s23, v1
	v_add_u32_e32 v1, s4, v0
	s_add_i32 s4, s6, s17
	s_mul_i32 s4, s4, s7
	s_mov_b32 s14, 0
	v_add_u32_e32 v0, s4, v0
	v_mov_b32_e32 v3, v8
	v_mov_b32_e32 v5, v10
	v_cvt_f32_f64_e32 v39, s[10:11]
	s_lshl_b32 s18, s12, 1
	s_mov_b32 s19, s14
	s_mul_i32 s20, s12, 3
	s_mov_b32 s21, s14
	v_mul_lo_u32 v42, s23, v1
	v_mul_lo_u32 v43, s23, v0
	s_mov_b64 s[4:5], 0
	s_mov_b32 s17, s14
	v_mov_b32_e32 v44, v16
	v_mov_b32_e32 v45, v17
	s_branch .LBB159_8
.LBB159_7:                              ;   in Loop: Header=BB159_8 Depth=1
	s_or_b64 exec, exec, s[6:7]
	v_add_co_u32_e32 v16, vcc, s13, v16
	v_addc_co_u32_e32 v17, vcc, 0, v17, vcc
	v_mov_b32_e32 v9, v0
	s_add_i32 s17, s17, s22
	v_cmp_le_i64_e32 vcc, s[2:3], v[16:17]
	v_pk_mov_b32 v[2:3], v[6:7], v[6:7] op_sel:[0,1]
	s_or_b64 s[4:5], vcc, s[4:5]
	v_pk_mov_b32 v[4:5], v[8:9], v[8:9] op_sel:[0,1]
	s_barrier
	s_andn2_b64 exec, exec, s[4:5]
	s_cbranch_execz .LBB159_26
.LBB159_8:                              ; =>This Inner Loop Header: Depth=1
	v_add_co_u32_e32 v29, vcc, 1, v29
	v_cndmask_b32_e64 v0, 0, 1, vcc
	v_addc_co_u32_e32 v30, vcc, 0, v30, vcc
	v_cmp_eq_u32_e32 vcc, 0, v30
	v_cndmask_b32_e32 v0, 0, v0, vcc
	v_add_u32_e32 v44, v0, v44
	v_cmp_eq_u32_e32 vcc, 0, v44
	v_cndmask_b32_e32 v0, 0, v0, vcc
	v_add_u32_e32 v45, v0, v45
	v_mad_u64_u32 v[0:1], s[6:7], v29, s15, 0
	v_mad_u64_u32 v[6:7], s[6:7], v44, s16, 0
	v_xor_b32_e32 v1, v1, v15
	v_xor_b32_e32 v7, v7, v14
	v_xor_b32_e32 v1, v45, v1
	v_xor_b32_e32 v7, v30, v7
	v_mad_u64_u32 v[10:11], s[6:7], v1, s16, 0
	v_mad_u64_u32 v[8:9], s[6:7], v7, s15, 0
	v_xor_b32_e32 v1, v28, v11
	v_xor_b32_e32 v1, v1, v6
	v_xor_b32_e32 v6, v31, v9
	v_xor_b32_e32 v6, v6, v0
	;; [unrolled: 6-line block ×10, first 2 shown]
	v_mov_b32_e32 v7, v12
	v_mov_b32_e32 v8, v13
	v_cmp_lt_i32_e32 vcc, 1, v18
	s_and_saveexec_b64 s[6:7], vcc
	s_xor_b64 s[6:7], exec, s[6:7]
	s_cbranch_execnz .LBB159_18
; %bb.9:                                ;   in Loop: Header=BB159_8 Depth=1
	s_andn2_saveexec_b64 s[6:7], s[6:7]
	s_cbranch_execnz .LBB159_23
.LBB159_10:                             ;   in Loop: Header=BB159_8 Depth=1
	s_or_b64 exec, exec, s[6:7]
	v_cmp_gt_i64_e32 vcc, s[0:1], v[16:17]
	s_and_saveexec_b64 s[6:7], vcc
	s_cbranch_execz .LBB159_12
.LBB159_11:                             ;   in Loop: Header=BB159_8 Depth=1
	v_cvt_f32_u32_e32 v1, v2
	v_mov_b32_e32 v2, 0x2f800000
	v_add_u32_e32 v9, s17, v40
	v_ashrrev_i32_e32 v11, 31, v9
	v_fmac_f32_e32 v2, 0x2f800000, v1
	v_mov_b32_e32 v1, s9
	v_add_co_u32_e32 v10, vcc, s8, v9
	v_addc_co_u32_e32 v11, vcc, v1, v11, vcc
	v_cmp_lt_f32_e32 vcc, v2, v39
	v_cndmask_b32_e64 v1, 0, 1, vcc
	global_store_byte v[10:11], v1, off
.LBB159_12:                             ;   in Loop: Header=BB159_8 Depth=1
	s_or_b64 exec, exec, s[6:7]
	v_mov_b32_e32 v1, s14
	v_add_co_u32_e32 v10, vcc, s12, v16
	v_addc_co_u32_e32 v11, vcc, v1, v17, vcc
	v_cmp_gt_i64_e32 vcc, s[0:1], v[10:11]
	s_and_saveexec_b64 s[6:7], vcc
	s_cbranch_execz .LBB159_14
; %bb.13:                               ;   in Loop: Header=BB159_8 Depth=1
	v_cvt_f32_u32_e32 v1, v3
	v_mov_b32_e32 v9, 0x2f800000
	v_add_u32_e32 v2, s17, v43
	v_ashrrev_i32_e32 v3, 31, v2
	v_fmac_f32_e32 v9, 0x2f800000, v1
	v_mov_b32_e32 v1, s9
	v_add_co_u32_e32 v2, vcc, s8, v2
	v_addc_co_u32_e32 v3, vcc, v1, v3, vcc
	v_cmp_lt_f32_e32 vcc, v9, v39
	v_cndmask_b32_e64 v1, 0, 1, vcc
	global_store_byte v[2:3], v1, off
.LBB159_14:                             ;   in Loop: Header=BB159_8 Depth=1
	s_or_b64 exec, exec, s[6:7]
	v_mov_b32_e32 v1, s19
	v_add_co_u32_e32 v2, vcc, s18, v16
	v_addc_co_u32_e32 v3, vcc, v1, v17, vcc
	v_cmp_gt_i64_e32 vcc, s[0:1], v[2:3]
	s_and_saveexec_b64 s[6:7], vcc
	s_cbranch_execz .LBB159_16
; %bb.15:                               ;   in Loop: Header=BB159_8 Depth=1
	v_cvt_f32_u32_e32 v1, v4
	v_mov_b32_e32 v4, 0x2f800000
	v_add_u32_e32 v2, s17, v42
	v_ashrrev_i32_e32 v3, 31, v2
	v_fmac_f32_e32 v4, 0x2f800000, v1
	v_mov_b32_e32 v1, s9
	v_add_co_u32_e32 v2, vcc, s8, v2
	v_addc_co_u32_e32 v3, vcc, v1, v3, vcc
	v_cmp_lt_f32_e32 vcc, v4, v39
	v_cndmask_b32_e64 v1, 0, 1, vcc
	global_store_byte v[2:3], v1, off
.LBB159_16:                             ;   in Loop: Header=BB159_8 Depth=1
	s_or_b64 exec, exec, s[6:7]
	v_mov_b32_e32 v1, s21
	v_add_co_u32_e32 v2, vcc, s20, v16
	v_addc_co_u32_e32 v3, vcc, v1, v17, vcc
	v_cmp_gt_i64_e32 vcc, s[0:1], v[2:3]
	s_and_saveexec_b64 s[6:7], vcc
	s_cbranch_execz .LBB159_7
; %bb.17:                               ;   in Loop: Header=BB159_8 Depth=1
	v_cvt_f32_u32_e32 v1, v5
	v_mov_b32_e32 v4, 0x2f800000
	v_add_u32_e32 v2, s17, v41
	v_ashrrev_i32_e32 v3, 31, v2
	v_fmac_f32_e32 v4, 0x2f800000, v1
	v_mov_b32_e32 v1, s9
	v_add_co_u32_e32 v2, vcc, s8, v2
	v_addc_co_u32_e32 v3, vcc, v1, v3, vcc
	v_cmp_lt_f32_e32 vcc, v4, v39
	v_cndmask_b32_e64 v1, 0, 1, vcc
	global_store_byte v[2:3], v1, off
	s_branch .LBB159_7
.LBB159_18:                             ;   in Loop: Header=BB159_8 Depth=1
	v_cmp_lt_i32_e32 vcc, 2, v18
	s_and_saveexec_b64 s[10:11], vcc
	s_xor_b64 s[10:11], exec, s[10:11]
; %bb.19:                               ;   in Loop: Header=BB159_8 Depth=1
	v_mov_b32_e32 v10, v5
	v_mov_b32_e32 v11, v6
	v_pk_mov_b32 v[2:3], v[10:11], v[10:11] op_sel:[0,1]
	v_pk_mov_b32 v[4:5], v[12:13], v[12:13] op_sel:[0,1]
                                        ; implicit-def: $vgpr12_vgpr13
; %bb.20:                               ;   in Loop: Header=BB159_8 Depth=1
	s_andn2_saveexec_b64 s[10:11], s[10:11]
; %bb.21:                               ;   in Loop: Header=BB159_8 Depth=1
	v_mov_b32_e32 v2, v4
	v_mov_b32_e32 v3, v5
	;; [unrolled: 1-line block ×4, first 2 shown]
; %bb.22:                               ;   in Loop: Header=BB159_8 Depth=1
	s_or_b64 exec, exec, s[10:11]
	s_andn2_saveexec_b64 s[6:7], s[6:7]
	s_cbranch_execz .LBB159_10
.LBB159_23:                             ;   in Loop: Header=BB159_8 Depth=1
	v_cmp_eq_u32_e32 vcc, 1, v18
	s_and_saveexec_b64 s[10:11], vcc
; %bb.24:                               ;   in Loop: Header=BB159_8 Depth=1
	v_mov_b32_e32 v2, v3
	v_mov_b32_e32 v3, v4
	;; [unrolled: 1-line block ×4, first 2 shown]
; %bb.25:                               ;   in Loop: Header=BB159_8 Depth=1
	s_or_b64 exec, exec, s[10:11]
	s_or_b64 exec, exec, s[6:7]
	v_cmp_gt_i64_e32 vcc, s[0:1], v[16:17]
	s_and_saveexec_b64 s[6:7], vcc
	s_cbranch_execnz .LBB159_11
	s_branch .LBB159_12
.LBB159_26:
	s_endpgm
.LBB159_27:
                                        ; implicit-def: $sgpr8_sgpr9
	s_andn2_b64 vcc, exec, s[2:3]
	s_cbranch_vccz .LBB159_4
	s_branch .LBB159_5
	.section	.rodata,"a",@progbits
	.p2align	6, 0x0
	.amdhsa_kernel _ZN2at6native12_GLOBAL__N_143distribution_elementwise_grid_stride_kernelIfLi4EZNS0_9templates4cuda21uniform_and_transformIbfPNS_17CUDAGeneratorImplEZZZNS4_16bernoulli_kernelIS7_EEvRNS_18TensorIteratorBaseEdT_ENKUlvE_clEvENKUlvE8_clEvEUlfE_EEvSA_T1_T2_EUlP25hiprandStatePhilox4_32_10E0_ZNS1_27distribution_nullary_kernelIbf15HIP_vector_typeIfLj4EES7_SJ_SE_EEvSA_SG_RKT3_T4_EUlifE_EEvlNS_15PhiloxCudaStateESF_SG_
		.amdhsa_group_segment_fixed_size 0
		.amdhsa_private_segment_fixed_size 0
		.amdhsa_kernarg_size 328
		.amdhsa_user_sgpr_count 6
		.amdhsa_user_sgpr_private_segment_buffer 1
		.amdhsa_user_sgpr_dispatch_ptr 0
		.amdhsa_user_sgpr_queue_ptr 0
		.amdhsa_user_sgpr_kernarg_segment_ptr 1
		.amdhsa_user_sgpr_dispatch_id 0
		.amdhsa_user_sgpr_flat_scratch_init 0
		.amdhsa_user_sgpr_kernarg_preload_length 0
		.amdhsa_user_sgpr_kernarg_preload_offset 0
		.amdhsa_user_sgpr_private_segment_size 0
		.amdhsa_uses_dynamic_stack 0
		.amdhsa_system_sgpr_private_segment_wavefront_offset 0
		.amdhsa_system_sgpr_workgroup_id_x 1
		.amdhsa_system_sgpr_workgroup_id_y 0
		.amdhsa_system_sgpr_workgroup_id_z 0
		.amdhsa_system_sgpr_workgroup_info 0
		.amdhsa_system_vgpr_workitem_id 0
		.amdhsa_next_free_vgpr 48
		.amdhsa_next_free_sgpr 24
		.amdhsa_accum_offset 48
		.amdhsa_reserve_vcc 1
		.amdhsa_reserve_flat_scratch 0
		.amdhsa_float_round_mode_32 0
		.amdhsa_float_round_mode_16_64 0
		.amdhsa_float_denorm_mode_32 3
		.amdhsa_float_denorm_mode_16_64 3
		.amdhsa_dx10_clamp 1
		.amdhsa_ieee_mode 1
		.amdhsa_fp16_overflow 0
		.amdhsa_tg_split 0
		.amdhsa_exception_fp_ieee_invalid_op 0
		.amdhsa_exception_fp_denorm_src 0
		.amdhsa_exception_fp_ieee_div_zero 0
		.amdhsa_exception_fp_ieee_overflow 0
		.amdhsa_exception_fp_ieee_underflow 0
		.amdhsa_exception_fp_ieee_inexact 0
		.amdhsa_exception_int_div_zero 0
	.end_amdhsa_kernel
	.section	.text._ZN2at6native12_GLOBAL__N_143distribution_elementwise_grid_stride_kernelIfLi4EZNS0_9templates4cuda21uniform_and_transformIbfPNS_17CUDAGeneratorImplEZZZNS4_16bernoulli_kernelIS7_EEvRNS_18TensorIteratorBaseEdT_ENKUlvE_clEvENKUlvE8_clEvEUlfE_EEvSA_T1_T2_EUlP25hiprandStatePhilox4_32_10E0_ZNS1_27distribution_nullary_kernelIbf15HIP_vector_typeIfLj4EES7_SJ_SE_EEvSA_SG_RKT3_T4_EUlifE_EEvlNS_15PhiloxCudaStateESF_SG_,"axG",@progbits,_ZN2at6native12_GLOBAL__N_143distribution_elementwise_grid_stride_kernelIfLi4EZNS0_9templates4cuda21uniform_and_transformIbfPNS_17CUDAGeneratorImplEZZZNS4_16bernoulli_kernelIS7_EEvRNS_18TensorIteratorBaseEdT_ENKUlvE_clEvENKUlvE8_clEvEUlfE_EEvSA_T1_T2_EUlP25hiprandStatePhilox4_32_10E0_ZNS1_27distribution_nullary_kernelIbf15HIP_vector_typeIfLj4EES7_SJ_SE_EEvSA_SG_RKT3_T4_EUlifE_EEvlNS_15PhiloxCudaStateESF_SG_,comdat
.Lfunc_end159:
	.size	_ZN2at6native12_GLOBAL__N_143distribution_elementwise_grid_stride_kernelIfLi4EZNS0_9templates4cuda21uniform_and_transformIbfPNS_17CUDAGeneratorImplEZZZNS4_16bernoulli_kernelIS7_EEvRNS_18TensorIteratorBaseEdT_ENKUlvE_clEvENKUlvE8_clEvEUlfE_EEvSA_T1_T2_EUlP25hiprandStatePhilox4_32_10E0_ZNS1_27distribution_nullary_kernelIbf15HIP_vector_typeIfLj4EES7_SJ_SE_EEvSA_SG_RKT3_T4_EUlifE_EEvlNS_15PhiloxCudaStateESF_SG_, .Lfunc_end159-_ZN2at6native12_GLOBAL__N_143distribution_elementwise_grid_stride_kernelIfLi4EZNS0_9templates4cuda21uniform_and_transformIbfPNS_17CUDAGeneratorImplEZZZNS4_16bernoulli_kernelIS7_EEvRNS_18TensorIteratorBaseEdT_ENKUlvE_clEvENKUlvE8_clEvEUlfE_EEvSA_T1_T2_EUlP25hiprandStatePhilox4_32_10E0_ZNS1_27distribution_nullary_kernelIbf15HIP_vector_typeIfLj4EES7_SJ_SE_EEvSA_SG_RKT3_T4_EUlifE_EEvlNS_15PhiloxCudaStateESF_SG_
                                        ; -- End function
	.section	.AMDGPU.csdata,"",@progbits
; Kernel info:
; codeLenInByte = 2476
; NumSgprs: 28
; NumVgprs: 48
; NumAgprs: 0
; TotalNumVgprs: 48
; ScratchSize: 0
; MemoryBound: 0
; FloatMode: 240
; IeeeMode: 1
; LDSByteSize: 0 bytes/workgroup (compile time only)
; SGPRBlocks: 3
; VGPRBlocks: 5
; NumSGPRsForWavesPerEU: 28
; NumVGPRsForWavesPerEU: 48
; AccumOffset: 48
; Occupancy: 8
; WaveLimiterHint : 0
; COMPUTE_PGM_RSRC2:SCRATCH_EN: 0
; COMPUTE_PGM_RSRC2:USER_SGPR: 6
; COMPUTE_PGM_RSRC2:TRAP_HANDLER: 0
; COMPUTE_PGM_RSRC2:TGID_X_EN: 1
; COMPUTE_PGM_RSRC2:TGID_Y_EN: 0
; COMPUTE_PGM_RSRC2:TGID_Z_EN: 0
; COMPUTE_PGM_RSRC2:TIDIG_COMP_CNT: 0
; COMPUTE_PGM_RSRC3_GFX90A:ACCUM_OFFSET: 11
; COMPUTE_PGM_RSRC3_GFX90A:TG_SPLIT: 0
	.section	.text._ZN2at6native12_GLOBAL__N_143distribution_elementwise_grid_stride_kernelIfLi4EZNS0_9templates4cuda21uniform_and_transformIbfPNS_17CUDAGeneratorImplEZZZNS4_16bernoulli_kernelIS7_EEvRNS_18TensorIteratorBaseEdT_ENKUlvE_clEvENKUlvE8_clEvEUlfE_EEvSA_T1_T2_EUlP25hiprandStatePhilox4_32_10E0_ZNS1_27distribution_nullary_kernelIbf15HIP_vector_typeIfLj4EES7_SJ_SE_EEvSA_SG_RKT3_T4_EUlifE0_EEvlNS_15PhiloxCudaStateESF_SG_,"axG",@progbits,_ZN2at6native12_GLOBAL__N_143distribution_elementwise_grid_stride_kernelIfLi4EZNS0_9templates4cuda21uniform_and_transformIbfPNS_17CUDAGeneratorImplEZZZNS4_16bernoulli_kernelIS7_EEvRNS_18TensorIteratorBaseEdT_ENKUlvE_clEvENKUlvE8_clEvEUlfE_EEvSA_T1_T2_EUlP25hiprandStatePhilox4_32_10E0_ZNS1_27distribution_nullary_kernelIbf15HIP_vector_typeIfLj4EES7_SJ_SE_EEvSA_SG_RKT3_T4_EUlifE0_EEvlNS_15PhiloxCudaStateESF_SG_,comdat
	.globl	_ZN2at6native12_GLOBAL__N_143distribution_elementwise_grid_stride_kernelIfLi4EZNS0_9templates4cuda21uniform_and_transformIbfPNS_17CUDAGeneratorImplEZZZNS4_16bernoulli_kernelIS7_EEvRNS_18TensorIteratorBaseEdT_ENKUlvE_clEvENKUlvE8_clEvEUlfE_EEvSA_T1_T2_EUlP25hiprandStatePhilox4_32_10E0_ZNS1_27distribution_nullary_kernelIbf15HIP_vector_typeIfLj4EES7_SJ_SE_EEvSA_SG_RKT3_T4_EUlifE0_EEvlNS_15PhiloxCudaStateESF_SG_ ; -- Begin function _ZN2at6native12_GLOBAL__N_143distribution_elementwise_grid_stride_kernelIfLi4EZNS0_9templates4cuda21uniform_and_transformIbfPNS_17CUDAGeneratorImplEZZZNS4_16bernoulli_kernelIS7_EEvRNS_18TensorIteratorBaseEdT_ENKUlvE_clEvENKUlvE8_clEvEUlfE_EEvSA_T1_T2_EUlP25hiprandStatePhilox4_32_10E0_ZNS1_27distribution_nullary_kernelIbf15HIP_vector_typeIfLj4EES7_SJ_SE_EEvSA_SG_RKT3_T4_EUlifE0_EEvlNS_15PhiloxCudaStateESF_SG_
	.p2align	8
	.type	_ZN2at6native12_GLOBAL__N_143distribution_elementwise_grid_stride_kernelIfLi4EZNS0_9templates4cuda21uniform_and_transformIbfPNS_17CUDAGeneratorImplEZZZNS4_16bernoulli_kernelIS7_EEvRNS_18TensorIteratorBaseEdT_ENKUlvE_clEvENKUlvE8_clEvEUlfE_EEvSA_T1_T2_EUlP25hiprandStatePhilox4_32_10E0_ZNS1_27distribution_nullary_kernelIbf15HIP_vector_typeIfLj4EES7_SJ_SE_EEvSA_SG_RKT3_T4_EUlifE0_EEvlNS_15PhiloxCudaStateESF_SG_,@function
_ZN2at6native12_GLOBAL__N_143distribution_elementwise_grid_stride_kernelIfLi4EZNS0_9templates4cuda21uniform_and_transformIbfPNS_17CUDAGeneratorImplEZZZNS4_16bernoulli_kernelIS7_EEvRNS_18TensorIteratorBaseEdT_ENKUlvE_clEvENKUlvE8_clEvEUlfE_EEvSA_T1_T2_EUlP25hiprandStatePhilox4_32_10E0_ZNS1_27distribution_nullary_kernelIbf15HIP_vector_typeIfLj4EES7_SJ_SE_EEvSA_SG_RKT3_T4_EUlifE0_EEvlNS_15PhiloxCudaStateESF_SG_: ; @_ZN2at6native12_GLOBAL__N_143distribution_elementwise_grid_stride_kernelIfLi4EZNS0_9templates4cuda21uniform_and_transformIbfPNS_17CUDAGeneratorImplEZZZNS4_16bernoulli_kernelIS7_EEvRNS_18TensorIteratorBaseEdT_ENKUlvE_clEvENKUlvE8_clEvEUlfE_EEvSA_T1_T2_EUlP25hiprandStatePhilox4_32_10E0_ZNS1_27distribution_nullary_kernelIbf15HIP_vector_typeIfLj4EES7_SJ_SE_EEvSA_SG_RKT3_T4_EUlifE0_EEvlNS_15PhiloxCudaStateESF_SG_
; %bb.0:
	s_load_dword s2, s[4:5], 0x20
	s_load_dwordx2 s[0:1], s[4:5], 0x10
	s_load_dwordx4 s[24:27], s[4:5], 0x0
	s_waitcnt lgkmcnt(0)
	s_bitcmp0_b32 s2, 0
	s_mov_b32 s2, 0
	v_pk_mov_b32 v[2:3], s[0:1], s[0:1] op_sel:[0,1]
	v_pk_mov_b32 v[12:13], s[26:27], s[26:27] op_sel:[0,1]
	s_cbranch_scc1 .LBB160_2
; %bb.1:
	v_pk_mov_b32 v[2:3], s[0:1], s[0:1] op_sel:[0,1]
	flat_load_dwordx2 v[2:3], v[2:3]
	v_pk_mov_b32 v[4:5], s[26:27], s[26:27] op_sel:[0,1]
	flat_load_dwordx2 v[12:13], v[4:5]
	s_load_dwordx2 s[0:1], s[4:5], 0x18
	s_waitcnt lgkmcnt(0)
	v_mov_b32_e32 v1, s1
	s_waitcnt vmcnt(0)
	v_add_co_u32_e32 v2, vcc, s0, v2
	v_addc_co_u32_e32 v3, vcc, v3, v1, vcc
.LBB160_2:
	s_load_dword s0, s[4:5], 0x154
	s_load_dword s7, s[4:5], 0x148
	s_waitcnt lgkmcnt(0)
	s_and_b32 s8, s0, 0xffff
	s_add_u32 s9, s24, -1
	s_mul_i32 s33, s7, s8
	s_addc_u32 s3, s25, -1
	s_lshl_b32 s58, s33, 2
	s_cmp_lg_u64 s[2:3], 0
	s_mov_b64 s[0:1], -1
	s_cbranch_scc0 .LBB160_83
; %bb.3:
	v_cvt_f32_u32_e32 v1, s58
	v_cvt_f32_ubyte0_e32 v4, 0
	s_sub_u32 s2, 0, s58
	s_subb_u32 s10, 0, 0
	v_madmk_f32 v1, v4, 0x4f800000, v1
	v_rcp_f32_e32 v1, v1
	v_mul_f32_e32 v1, 0x5f7ffffc, v1
	v_mul_f32_e32 v4, 0x2f800000, v1
	v_trunc_f32_e32 v4, v4
	v_madmk_f32 v1, v4, 0xcf800000, v1
	v_cvt_u32_f32_e32 v4, v4
	v_cvt_u32_f32_e32 v1, v1
	v_readfirstlane_b32 s11, v4
	v_readfirstlane_b32 s12, v1
	s_mul_i32 s13, s2, s11
	s_mul_hi_u32 s15, s2, s12
	s_mul_i32 s14, s10, s12
	s_add_i32 s13, s15, s13
	s_add_i32 s13, s13, s14
	s_mul_i32 s16, s2, s12
	s_mul_hi_u32 s14, s12, s13
	s_mul_i32 s15, s12, s13
	s_mul_hi_u32 s12, s12, s16
	s_add_u32 s12, s12, s15
	s_addc_u32 s14, 0, s14
	s_mul_hi_u32 s17, s11, s16
	s_mul_i32 s16, s11, s16
	s_add_u32 s12, s12, s16
	s_mul_hi_u32 s15, s11, s13
	s_addc_u32 s12, s14, s17
	s_addc_u32 s14, s15, 0
	s_mul_i32 s13, s11, s13
	s_add_u32 s12, s12, s13
	s_addc_u32 s13, 0, s14
	v_add_co_u32_e32 v1, vcc, s12, v1
	s_cmp_lg_u64 vcc, 0
	s_addc_u32 s11, s11, s13
	v_readfirstlane_b32 s13, v1
	s_mul_i32 s12, s2, s11
	s_mul_hi_u32 s14, s2, s13
	s_add_i32 s12, s14, s12
	s_mul_i32 s10, s10, s13
	s_add_i32 s12, s12, s10
	s_mul_i32 s2, s2, s13
	s_mul_hi_u32 s14, s11, s2
	s_mul_i32 s15, s11, s2
	s_mul_i32 s17, s13, s12
	s_mul_hi_u32 s2, s13, s2
	s_mul_hi_u32 s16, s13, s12
	s_add_u32 s2, s2, s17
	s_addc_u32 s13, 0, s16
	s_add_u32 s2, s2, s15
	s_mul_hi_u32 s10, s11, s12
	s_addc_u32 s2, s13, s14
	s_addc_u32 s10, s10, 0
	s_mul_i32 s12, s11, s12
	s_add_u32 s2, s2, s12
	s_addc_u32 s10, 0, s10
	v_add_co_u32_e32 v1, vcc, s2, v1
	s_cmp_lg_u64 vcc, 0
	s_addc_u32 s12, s11, s10
	s_ashr_i32 s10, s3, 31
	s_add_u32 s2, s9, s10
	s_mov_b32 s11, s10
	s_addc_u32 s3, s3, s10
	s_xor_b64 s[2:3], s[2:3], s[10:11]
	v_readfirstlane_b32 s15, v1
	s_mul_i32 s14, s2, s12
	s_mul_hi_u32 s16, s2, s15
	s_mul_hi_u32 s13, s2, s12
	s_add_u32 s14, s16, s14
	s_addc_u32 s13, 0, s13
	s_mul_hi_u32 s17, s3, s15
	s_mul_i32 s15, s3, s15
	s_add_u32 s14, s14, s15
	s_mul_hi_u32 s16, s3, s12
	s_addc_u32 s13, s13, s17
	s_addc_u32 s14, s16, 0
	s_mul_i32 s12, s3, s12
	s_add_u32 s12, s13, s12
	s_addc_u32 s13, 0, s14
	s_add_u32 s14, s12, 1
	s_addc_u32 s15, s13, 0
	s_add_u32 s16, s12, 2
	s_mul_i32 s18, s58, s13
	s_mul_hi_u32 s19, s58, s12
	s_addc_u32 s17, s13, 0
	s_add_i32 s19, s19, s18
	s_mul_i32 s18, s58, s12
	v_mov_b32_e32 v1, s18
	v_sub_co_u32_e32 v1, vcc, s2, v1
	s_cmp_lg_u64 vcc, 0
	s_subb_u32 s2, s3, s19
	v_subrev_co_u32_e32 v4, vcc, s58, v1
	s_cmp_lg_u64 vcc, 0
	s_subb_u32 s3, s2, 0
	v_readfirstlane_b32 s18, v4
	s_cmp_ge_u32 s18, s58
	s_cselect_b32 s18, -1, 0
	s_cmp_eq_u32 s3, 0
	s_cselect_b32 s3, s18, -1
	s_cmp_lg_u32 s3, 0
	s_cselect_b32 s3, s17, s15
	v_readfirstlane_b32 s15, v1
	s_cselect_b32 s14, s16, s14
	s_cmp_ge_u32 s15, s58
	s_cselect_b32 s15, -1, 0
	s_cmp_eq_u32 s2, 0
	s_cselect_b32 s2, s15, -1
	s_cmp_lg_u32 s2, 0
	s_cselect_b32 s3, s3, s13
	s_cselect_b32 s2, s14, s12
	s_xor_b64 s[2:3], s[2:3], s[10:11]
	s_sub_u32 s2, s2, s10
	s_subb_u32 s3, s3, s10
	s_cbranch_execnz .LBB160_5
.LBB160_4:
	v_cvt_f32_u32_e32 v1, s58
	s_sub_i32 s0, 0, s58
	s_mov_b32 s3, 0
	v_rcp_iflag_f32_e32 v1, v1
	v_mul_f32_e32 v1, 0x4f7ffffe, v1
	v_cvt_u32_f32_e32 v1, v1
	v_readfirstlane_b32 s1, v1
	s_mul_i32 s0, s0, s1
	s_mul_hi_u32 s0, s1, s0
	s_add_i32 s1, s1, s0
	s_mul_hi_u32 s0, s9, s1
	s_mul_i32 s2, s0, s58
	s_sub_i32 s2, s9, s2
	s_add_i32 s1, s0, 1
	s_sub_i32 s9, s2, s58
	s_cmp_ge_u32 s2, s58
	s_cselect_b32 s0, s1, s0
	s_cselect_b32 s2, s9, s2
	s_add_i32 s1, s0, 1
	s_cmp_ge_u32 s2, s58
	s_cselect_b32 s2, s1, s0
.LBB160_5:
	v_mov_b32_e32 v1, 0
	v_mov_b32_e32 v4, s6
	v_mad_u64_u32 v[14:15], s[0:1], s8, v4, v[0:1]
	s_add_u32 s0, s2, 1
	s_addc_u32 s1, s3, 0
	s_mul_hi_u32 s2, s7, s8
	s_mul_i32 s1, s33, s1
	s_mul_hi_u32 s3, s33, s0
	s_add_i32 s1, s3, s1
	s_mul_i32 s2, s2, s0
	s_add_i32 s1, s1, s2
	s_mul_i32 s0, s33, s0
	s_lshl_b64 s[26:27], s[0:1], 2
	v_cmp_gt_i64_e32 vcc, s[26:27], v[14:15]
	s_and_saveexec_b64 s[0:1], vcc
	s_cbranch_execz .LBB160_82
; %bb.6:
	s_mov_b32 s0, 0x5384540f
	v_mov_b32_e32 v0, v13
	v_add_co_u32_e32 v22, vcc, s0, v12
	s_mov_b32 s0, 0x646e171e
	v_add_co_u32_e32 v23, vcc, s0, v0
	s_mov_b32 s0, 0x1715609d
	;; [unrolled: 2-line block ×6, first 2 shown]
	v_alignbit_b32 v29, v3, v2, 2
	s_mov_b32 s60, 0xd2511f53
	v_add_co_u32_e32 v28, vcc, s0, v12
	v_mad_u64_u32 v[4:5], s[0:1], v29, s60, 0
	v_xor_b32_e32 v1, v5, v13
	v_xor_b32_e32 v1, v1, v15
	s_mov_b32 s61, 0xcd9e8d57
	v_mad_u64_u32 v[6:7], s[0:1], v1, s61, 0
	v_xor_b32_e32 v1, v28, v7
	v_mad_u64_u32 v[8:9], s[0:1], v14, s61, 0
	v_and_b32_e32 v18, 3, v2
	v_xor_b32_e32 v1, v1, v8
	v_xor_b32_e32 v2, v12, v9
	v_lshrrev_b32_e32 v30, 2, v3
	v_mad_u64_u32 v[10:11], s[0:1], v1, s60, 0
	v_xor_b32_e32 v2, v2, v30
	v_xor_b32_e32 v1, v27, v11
	v_mad_u64_u32 v[2:3], s[0:1], v2, s60, 0
	v_xor_b32_e32 v1, v1, v2
	v_mad_u64_u32 v[8:9], s[0:1], v1, s61, 0
	s_mov_b32 s0, 0xbb67ae85
	v_add_co_u32_e32 v31, vcc, s0, v0
	v_xor_b32_e32 v2, v31, v3
	v_xor_b32_e32 v2, v2, v4
	v_xor_b32_e32 v1, v26, v9
	v_mad_u64_u32 v[2:3], s[0:1], v2, s61, 0
	v_xor_b32_e32 v1, v1, v2
	v_mad_u64_u32 v[4:5], s[0:1], v1, s60, 0
	s_mov_b32 s0, 0x3c6ef372
	v_add_co_u32_e32 v32, vcc, s0, v12
	v_xor_b32_e32 v2, v32, v3
	;; [unrolled: 8-line block ×6, first 2 shown]
	v_add_co_u32_e32 v21, vcc, 0xdb3d7428, v0
	v_xor_b32_e32 v2, v2, v6
	v_xor_b32_e32 v1, v21, v5
	v_mad_u64_u32 v[2:3], s[0:1], v2, s60, 0
	v_xor_b32_e32 v1, v1, v2
	v_mad_u64_u32 v[6:7], s[0:1], v1, s61, 0
	s_mov_b32 s0, 0x1fd5c5a3
	v_add_co_u32_e32 v37, vcc, s0, v0
	v_xor_b32_e32 v0, v37, v3
	v_xor_b32_e32 v0, v0, v10
	v_mad_u64_u32 v[0:1], s[0:1], v0, s61, 0
	s_mov_b32 s0, 0xf1bbcdc8
	s_load_dwordx8 s[8:15], s[4:5], 0x30
	v_add_co_u32_e32 v38, vcc, s0, v12
	v_xor_b32_e32 v1, v38, v1
	v_xor_b32_e32 v1, v1, v8
	s_add_u32 s34, s4, 48
	v_mad_u64_u32 v[8:9], s[0:1], v1, s60, 0
	s_addc_u32 s35, s5, 0
	s_waitcnt lgkmcnt(0)
	s_add_i32 s0, s8, -1
	s_cmp_gt_u32 s0, 1
	s_cselect_b64 s[40:41], -1, 0
	s_cmp_lg_u32 s8, 0
	s_cselect_b64 s[42:43], -1, 0
	s_add_u32 s44, s4, 0xf4
	s_addc_u32 s45, s5, 0
	s_load_dwordx2 s[46:47], s[4:5], 0xf4
	s_load_dwordx4 s[28:31], s[4:5], 0x138
	s_min_u32 s1, s0, 15
	s_cmp_gt_u32 s8, 1
	s_cselect_b64 s[48:49], -1, 0
	s_add_i32 s1, s1, 1
	s_mov_b32 s8, s13
	s_lshl_b32 s13, s33, 1
	s_and_b32 s64, s1, 3
	s_cmp_lg_u32 s0, 2
	s_waitcnt lgkmcnt(0)
	v_cvt_f32_f64_e32 v39, s[30:31]
	s_cselect_b64 s[30:31], -1, 0
	s_and_b32 s65, s1, 28
	s_mov_b32 s59, 0
	v_add_u32_e32 v19, 0x8ff34781, v12
	v_add_u32_e32 v20, 0x96a522ad, v13
	v_xor_b32_e32 v0, v7, v0
	v_xor_b32_e32 v1, v9, v4
	s_cmp_lg_u32 s64, 0
	v_xor_b32_e32 v0, v19, v0
	v_xor_b32_e32 v2, v20, v1
	v_mov_b32_e32 v1, v6
	v_mov_b32_e32 v3, v8
	s_mov_b32 s15, s59
	s_mul_i32 s62, s33, 3
	s_mov_b32 s63, s59
	s_mov_b64 s[50:51], 0
	s_cselect_b64 s[52:53], -1, 0
	v_mov_b32_e32 v40, v14
	v_mov_b32_e32 v41, v15
	s_branch .LBB160_9
.LBB160_7:                              ;   in Loop: Header=BB160_9 Depth=1
	v_cvt_f32_u32_e32 v0, v3
	v_mov_b32_e32 v1, 0x2f800000
	v_fmac_f32_e32 v1, 0x2f800000, v0
	v_cmp_lt_f32_e32 vcc, v1, v39
	v_cndmask_b32_e64 v0, 0, 1, vcc
	global_store_byte v8, v0, s[28:29]
.LBB160_8:                              ;   in Loop: Header=BB160_9 Depth=1
	s_or_b64 exec, exec, s[36:37]
	v_add_co_u32_e32 v14, vcc, s58, v14
	v_addc_co_u32_e32 v15, vcc, 0, v15, vcc
	v_mov_b32_e32 v7, v16
	v_cmp_le_i64_e32 vcc, s[26:27], v[14:15]
	v_pk_mov_b32 v[0:1], v[4:5], v[4:5] op_sel:[0,1]
	s_or_b64 s[50:51], vcc, s[50:51]
	v_pk_mov_b32 v[2:3], v[6:7], v[6:7] op_sel:[0,1]
	s_barrier
	s_andn2_b64 exec, exec, s[50:51]
	s_cbranch_execz .LBB160_82
.LBB160_9:                              ; =>This Loop Header: Depth=1
                                        ;     Child Loop BB160_24 Depth 2
                                        ;     Child Loop BB160_30 Depth 2
	;; [unrolled: 1-line block ×8, first 2 shown]
	v_add_co_u32_e32 v29, vcc, 1, v29
	v_cndmask_b32_e64 v4, 0, 1, vcc
	v_addc_co_u32_e32 v30, vcc, 0, v30, vcc
	v_cmp_eq_u32_e32 vcc, 0, v30
	v_cndmask_b32_e32 v4, 0, v4, vcc
	v_add_u32_e32 v40, v4, v40
	v_cmp_eq_u32_e32 vcc, 0, v40
	v_cndmask_b32_e32 v4, 0, v4, vcc
	v_add_u32_e32 v41, v4, v41
	v_mad_u64_u32 v[4:5], s[0:1], v29, s60, 0
	v_mad_u64_u32 v[6:7], s[0:1], v40, s61, 0
	v_xor_b32_e32 v5, v5, v13
	v_xor_b32_e32 v7, v7, v12
	v_xor_b32_e32 v5, v41, v5
	v_xor_b32_e32 v7, v30, v7
	v_mad_u64_u32 v[10:11], s[0:1], v5, s61, 0
	v_mad_u64_u32 v[8:9], s[0:1], v7, s60, 0
	v_xor_b32_e32 v5, v28, v11
	v_xor_b32_e32 v5, v5, v6
	v_xor_b32_e32 v6, v31, v9
	v_xor_b32_e32 v6, v6, v4
	;; [unrolled: 6-line block ×10, first 2 shown]
	v_mov_b32_e32 v5, v10
	v_mov_b32_e32 v6, v11
	v_cmp_lt_i32_e32 vcc, 1, v18
	s_and_saveexec_b64 s[0:1], vcc
	s_xor_b64 s[0:1], exec, s[0:1]
	s_cbranch_execz .LBB160_15
; %bb.10:                               ;   in Loop: Header=BB160_9 Depth=1
	v_cmp_lt_i32_e32 vcc, 2, v18
	s_and_saveexec_b64 s[2:3], vcc
	s_xor_b64 s[2:3], exec, s[2:3]
; %bb.11:                               ;   in Loop: Header=BB160_9 Depth=1
	v_mov_b32_e32 v8, v3
	v_mov_b32_e32 v9, v4
	v_pk_mov_b32 v[0:1], v[8:9], v[8:9] op_sel:[0,1]
	v_pk_mov_b32 v[2:3], v[10:11], v[10:11] op_sel:[0,1]
                                        ; implicit-def: $vgpr10_vgpr11
; %bb.12:                               ;   in Loop: Header=BB160_9 Depth=1
	s_andn2_saveexec_b64 s[2:3], s[2:3]
; %bb.13:                               ;   in Loop: Header=BB160_9 Depth=1
	v_mov_b32_e32 v0, v2
	v_mov_b32_e32 v1, v3
	;; [unrolled: 1-line block ×4, first 2 shown]
; %bb.14:                               ;   in Loop: Header=BB160_9 Depth=1
	s_or_b64 exec, exec, s[2:3]
.LBB160_15:                             ;   in Loop: Header=BB160_9 Depth=1
	s_andn2_saveexec_b64 s[0:1], s[0:1]
	s_cbranch_execz .LBB160_19
; %bb.16:                               ;   in Loop: Header=BB160_9 Depth=1
	v_cmp_eq_u32_e32 vcc, 1, v18
	s_and_saveexec_b64 s[2:3], vcc
; %bb.17:                               ;   in Loop: Header=BB160_9 Depth=1
	v_mov_b32_e32 v0, v1
	v_mov_b32_e32 v1, v2
	;; [unrolled: 1-line block ×4, first 2 shown]
; %bb.18:                               ;   in Loop: Header=BB160_9 Depth=1
	s_or_b64 exec, exec, s[2:3]
.LBB160_19:                             ;   in Loop: Header=BB160_9 Depth=1
	s_or_b64 exec, exec, s[0:1]
	v_cndmask_b32_e64 v7, 0, 1, s[40:41]
	v_cmp_gt_i64_e32 vcc, s[24:25], v[14:15]
	v_cmp_ne_u32_e64 s[0:1], 1, v7
	s_and_saveexec_b64 s[2:3], vcc
	s_cbranch_execz .LBB160_35
; %bb.20:                               ;   in Loop: Header=BB160_9 Depth=1
	s_and_b64 vcc, exec, s[0:1]
	s_cbranch_vccnz .LBB160_26
; %bb.21:                               ;   in Loop: Header=BB160_9 Depth=1
	s_andn2_b64 vcc, exec, s[42:43]
	s_cbranch_vccnz .LBB160_27
; %bb.22:                               ;   in Loop: Header=BB160_9 Depth=1
	s_mov_b32 s6, 0
	s_andn2_b64 vcc, exec, s[30:31]
	v_mov_b32_e32 v8, 0
	s_cbranch_vccnz .LBB160_28
; %bb.23:                               ;   in Loop: Header=BB160_9 Depth=1
	s_mov_b32 s66, 0
	v_mov_b32_e32 v8, 0
	s_mov_b64 s[54:55], s[34:35]
	s_mov_b64 s[56:57], s[44:45]
	v_mov_b32_e32 v7, v14
.LBB160_24:                             ;   Parent Loop BB160_9 Depth=1
                                        ; =>  This Inner Loop Header: Depth=2
	s_load_dwordx8 s[16:23], s[54:55], 0x4
	s_load_dwordx4 s[4:7], s[54:55], 0x24
	s_load_dwordx4 s[36:39], s[56:57], 0x0
	s_add_u32 s54, s54, 48
	s_addc_u32 s55, s55, 0
	s_waitcnt lgkmcnt(0)
	v_mul_hi_u32 v9, s17, v7
	v_add_u32_e32 v9, v7, v9
	v_lshrrev_b32_e32 v9, s18, v9
	v_mul_lo_u32 v10, v9, s16
	v_mul_hi_u32 v11, s20, v9
	v_sub_u32_e32 v7, v7, v10
	v_add_u32_e32 v10, v9, v11
	v_lshrrev_b32_e32 v10, s21, v10
	v_mul_lo_u32 v11, v10, s19
	v_mul_hi_u32 v17, s23, v10
	v_sub_u32_e32 v9, v9, v11
	v_add_u32_e32 v11, v10, v17
	v_mul_lo_u32 v7, v7, s36
	v_mul_lo_u32 v9, v9, s37
	v_lshrrev_b32_e32 v11, s4, v11
	v_add3_u32 v8, v7, v8, v9
	v_mul_lo_u32 v7, v11, s22
	v_mul_hi_u32 v9, s6, v11
	v_sub_u32_e32 v7, v10, v7
	v_add_u32_e32 v9, v11, v9
	v_mul_lo_u32 v10, v7, s38
	v_lshrrev_b32_e32 v7, s7, v9
	s_add_i32 s66, s66, 4
	v_mul_lo_u32 v9, v7, s5
	s_add_u32 s56, s56, 16
	v_sub_u32_e32 v9, v11, v9
	s_addc_u32 s57, s57, 0
	v_mul_lo_u32 v9, v9, s39
	s_cmp_lg_u32 s65, s66
	v_add3_u32 v8, v10, v8, v9
	s_cbranch_scc1 .LBB160_24
; %bb.25:                               ;   in Loop: Header=BB160_9 Depth=1
	s_mov_b32 s6, s65
	s_andn2_b64 vcc, exec, s[52:53]
	s_cbranch_vccz .LBB160_29
	s_branch .LBB160_31
.LBB160_26:                             ;   in Loop: Header=BB160_9 Depth=1
                                        ; implicit-def: $vgpr8
	s_branch .LBB160_32
.LBB160_27:                             ;   in Loop: Header=BB160_9 Depth=1
	v_mov_b32_e32 v8, 0
	s_branch .LBB160_31
.LBB160_28:                             ;   in Loop: Header=BB160_9 Depth=1
	v_mov_b32_e32 v7, v14
	s_andn2_b64 vcc, exec, s[52:53]
	s_cbranch_vccnz .LBB160_31
.LBB160_29:                             ;   in Loop: Header=BB160_9 Depth=1
	s_lshl_b32 s4, s6, 2
	s_add_u32 s4, s44, s4
	s_addc_u32 s5, s45, 0
	s_mul_i32 s6, s6, 12
	s_add_u32 s6, s34, s6
	s_addc_u32 s7, s35, 0
	s_mov_b32 s16, s64
.LBB160_30:                             ;   Parent Loop BB160_9 Depth=1
                                        ; =>  This Inner Loop Header: Depth=2
	s_load_dwordx2 s[18:19], s[6:7], 0x4
	s_load_dword s17, s[6:7], 0xc
	s_load_dword s20, s[4:5], 0x0
	s_add_u32 s6, s6, 12
	s_addc_u32 s7, s7, 0
	s_waitcnt lgkmcnt(0)
	v_mul_hi_u32 v9, s19, v7
	v_add_u32_e32 v9, v7, v9
	v_lshrrev_b32_e32 v9, s17, v9
	s_add_u32 s4, s4, 4
	v_mul_lo_u32 v10, v9, s18
	s_addc_u32 s5, s5, 0
	s_add_i32 s16, s16, -1
	v_sub_u32_e32 v10, v7, v10
	s_cmp_lg_u32 s16, 0
	v_mov_b32_e32 v7, v9
	v_mad_u64_u32 v[8:9], s[18:19], v10, s20, v[8:9]
	s_cbranch_scc1 .LBB160_30
.LBB160_31:                             ;   in Loop: Header=BB160_9 Depth=1
	s_cbranch_execnz .LBB160_34
.LBB160_32:                             ;   in Loop: Header=BB160_9 Depth=1
	v_mul_hi_u32 v7, v14, s10
	v_add_u32_e32 v7, v7, v14
	v_lshrrev_b32_e32 v7, s11, v7
	v_mul_lo_u32 v8, v7, s9
	v_sub_u32_e32 v8, v14, v8
	s_andn2_b64 vcc, exec, s[48:49]
	v_mul_lo_u32 v8, v8, s46
	s_cbranch_vccnz .LBB160_34
; %bb.33:                               ;   in Loop: Header=BB160_9 Depth=1
	v_mul_hi_u32 v9, s8, v7
	v_add_u32_e32 v9, v7, v9
	v_lshrrev_b32_e32 v9, s14, v9
	v_mul_lo_u32 v9, v9, s12
	v_sub_u32_e32 v7, v7, v9
	v_mad_u64_u32 v[8:9], s[4:5], v7, s47, v[8:9]
.LBB160_34:                             ;   in Loop: Header=BB160_9 Depth=1
	v_cvt_f32_u32_e32 v0, v0
	v_mov_b32_e32 v7, 0x2f800000
	v_fmac_f32_e32 v7, 0x2f800000, v0
	v_cmp_lt_f32_e32 vcc, v7, v39
	v_cndmask_b32_e64 v0, 0, 1, vcc
	global_store_byte v8, v0, s[28:29]
.LBB160_35:                             ;   in Loop: Header=BB160_9 Depth=1
	s_or_b64 exec, exec, s[2:3]
	v_mov_b32_e32 v0, s59
	v_add_co_u32_e32 v8, vcc, s33, v14
	v_addc_co_u32_e32 v9, vcc, v15, v0, vcc
	v_cmp_gt_i64_e32 vcc, s[24:25], v[8:9]
	s_and_saveexec_b64 s[2:3], vcc
	s_cbranch_execz .LBB160_51
; %bb.36:                               ;   in Loop: Header=BB160_9 Depth=1
	s_and_b64 vcc, exec, s[0:1]
	s_cbranch_vccnz .LBB160_42
; %bb.37:                               ;   in Loop: Header=BB160_9 Depth=1
	s_andn2_b64 vcc, exec, s[42:43]
	s_cbranch_vccnz .LBB160_43
; %bb.38:                               ;   in Loop: Header=BB160_9 Depth=1
	s_mov_b32 s6, 0
	s_andn2_b64 vcc, exec, s[30:31]
	v_mov_b32_e32 v10, 0
	s_cbranch_vccnz .LBB160_44
; %bb.39:                               ;   in Loop: Header=BB160_9 Depth=1
	s_mov_b32 s66, 0
	v_mov_b32_e32 v10, 0
	s_mov_b64 s[54:55], s[34:35]
	s_mov_b64 s[56:57], s[44:45]
	v_mov_b32_e32 v0, v8
.LBB160_40:                             ;   Parent Loop BB160_9 Depth=1
                                        ; =>  This Inner Loop Header: Depth=2
	s_load_dwordx8 s[16:23], s[54:55], 0x4
	s_load_dwordx4 s[4:7], s[54:55], 0x24
	s_load_dwordx4 s[36:39], s[56:57], 0x0
	s_add_u32 s54, s54, 48
	s_addc_u32 s55, s55, 0
	s_waitcnt lgkmcnt(0)
	v_mul_hi_u32 v7, s17, v0
	v_add_u32_e32 v7, v0, v7
	v_lshrrev_b32_e32 v7, s18, v7
	v_mul_lo_u32 v9, v7, s16
	v_mul_hi_u32 v11, s20, v7
	v_sub_u32_e32 v0, v0, v9
	v_add_u32_e32 v9, v7, v11
	v_lshrrev_b32_e32 v9, s21, v9
	v_mul_lo_u32 v11, v9, s19
	v_mul_hi_u32 v17, s23, v9
	v_sub_u32_e32 v7, v7, v11
	v_add_u32_e32 v11, v9, v17
	v_mul_lo_u32 v0, v0, s36
	v_mul_lo_u32 v7, v7, s37
	v_lshrrev_b32_e32 v11, s4, v11
	v_add3_u32 v7, v0, v10, v7
	v_mul_lo_u32 v0, v11, s22
	v_mul_hi_u32 v10, s6, v11
	v_sub_u32_e32 v0, v9, v0
	v_add_u32_e32 v9, v11, v10
	v_mul_lo_u32 v10, v0, s38
	v_lshrrev_b32_e32 v0, s7, v9
	s_add_i32 s66, s66, 4
	v_mul_lo_u32 v9, v0, s5
	s_add_u32 s56, s56, 16
	v_sub_u32_e32 v9, v11, v9
	s_addc_u32 s57, s57, 0
	v_mul_lo_u32 v9, v9, s39
	s_cmp_eq_u32 s65, s66
	v_add3_u32 v10, v10, v7, v9
	s_cbranch_scc0 .LBB160_40
; %bb.41:                               ;   in Loop: Header=BB160_9 Depth=1
	s_mov_b32 s6, s65
	s_andn2_b64 vcc, exec, s[52:53]
	s_cbranch_vccz .LBB160_45
	s_branch .LBB160_47
.LBB160_42:                             ;   in Loop: Header=BB160_9 Depth=1
                                        ; implicit-def: $vgpr10
	s_branch .LBB160_48
.LBB160_43:                             ;   in Loop: Header=BB160_9 Depth=1
	v_mov_b32_e32 v10, 0
	s_branch .LBB160_47
.LBB160_44:                             ;   in Loop: Header=BB160_9 Depth=1
	v_mov_b32_e32 v0, v8
	s_andn2_b64 vcc, exec, s[52:53]
	s_cbranch_vccnz .LBB160_47
.LBB160_45:                             ;   in Loop: Header=BB160_9 Depth=1
	s_lshl_b32 s4, s6, 2
	s_add_u32 s4, s44, s4
	s_addc_u32 s5, s45, 0
	s_mul_i32 s6, s6, 12
	s_add_u32 s6, s34, s6
	s_addc_u32 s7, s35, 0
	s_mov_b32 s16, s64
.LBB160_46:                             ;   Parent Loop BB160_9 Depth=1
                                        ; =>  This Inner Loop Header: Depth=2
	s_load_dwordx2 s[18:19], s[6:7], 0x4
	s_load_dword s17, s[6:7], 0xc
	s_load_dword s20, s[4:5], 0x0
	s_add_u32 s6, s6, 12
	s_addc_u32 s7, s7, 0
	s_waitcnt lgkmcnt(0)
	v_mul_hi_u32 v7, s19, v0
	v_add_u32_e32 v7, v0, v7
	v_lshrrev_b32_e32 v7, s17, v7
	s_add_u32 s4, s4, 4
	v_mul_lo_u32 v9, v7, s18
	s_addc_u32 s5, s5, 0
	s_add_i32 s16, s16, -1
	v_sub_u32_e32 v9, v0, v9
	s_cmp_lg_u32 s16, 0
	v_mov_b32_e32 v0, v7
	v_mad_u64_u32 v[10:11], s[18:19], v9, s20, v[10:11]
	s_cbranch_scc1 .LBB160_46
.LBB160_47:                             ;   in Loop: Header=BB160_9 Depth=1
	s_cbranch_execnz .LBB160_50
.LBB160_48:                             ;   in Loop: Header=BB160_9 Depth=1
	v_mul_hi_u32 v0, v8, s10
	v_add_u32_e32 v0, v0, v8
	v_lshrrev_b32_e32 v0, s11, v0
	v_mul_lo_u32 v7, v0, s9
	v_sub_u32_e32 v7, v8, v7
	s_andn2_b64 vcc, exec, s[48:49]
	v_mul_lo_u32 v10, v7, s46
	s_cbranch_vccnz .LBB160_50
; %bb.49:                               ;   in Loop: Header=BB160_9 Depth=1
	v_mul_hi_u32 v7, s8, v0
	v_add_u32_e32 v7, v0, v7
	v_lshrrev_b32_e32 v7, s14, v7
	v_mul_lo_u32 v7, v7, s12
	v_sub_u32_e32 v0, v0, v7
	v_mad_u64_u32 v[10:11], s[4:5], v0, s47, v[10:11]
.LBB160_50:                             ;   in Loop: Header=BB160_9 Depth=1
	v_cvt_f32_u32_e32 v0, v1
	v_mov_b32_e32 v1, 0x2f800000
	v_fmac_f32_e32 v1, 0x2f800000, v0
	v_cmp_lt_f32_e32 vcc, v1, v39
	v_cndmask_b32_e64 v0, 0, 1, vcc
	global_store_byte v10, v0, s[28:29]
.LBB160_51:                             ;   in Loop: Header=BB160_9 Depth=1
	s_or_b64 exec, exec, s[2:3]
	v_mov_b32_e32 v1, s15
	v_add_co_u32_e32 v0, vcc, s13, v14
	v_addc_co_u32_e32 v1, vcc, v15, v1, vcc
	v_cmp_gt_i64_e32 vcc, s[24:25], v[0:1]
	s_and_saveexec_b64 s[2:3], vcc
	s_cbranch_execz .LBB160_67
; %bb.52:                               ;   in Loop: Header=BB160_9 Depth=1
	s_and_b64 vcc, exec, s[0:1]
	s_cbranch_vccnz .LBB160_58
; %bb.53:                               ;   in Loop: Header=BB160_9 Depth=1
	s_andn2_b64 vcc, exec, s[42:43]
	s_cbranch_vccnz .LBB160_59
; %bb.54:                               ;   in Loop: Header=BB160_9 Depth=1
	s_mov_b32 s6, 0
	s_andn2_b64 vcc, exec, s[30:31]
	v_mov_b32_e32 v8, 0
	s_cbranch_vccnz .LBB160_60
; %bb.55:                               ;   in Loop: Header=BB160_9 Depth=1
	s_mov_b32 s66, 0
	v_mov_b32_e32 v8, 0
	s_mov_b64 s[54:55], s[34:35]
	s_mov_b64 s[56:57], s[44:45]
	v_mov_b32_e32 v1, v0
.LBB160_56:                             ;   Parent Loop BB160_9 Depth=1
                                        ; =>  This Inner Loop Header: Depth=2
	s_load_dwordx8 s[16:23], s[54:55], 0x4
	s_load_dwordx4 s[4:7], s[54:55], 0x24
	s_load_dwordx4 s[36:39], s[56:57], 0x0
	s_add_u32 s54, s54, 48
	s_addc_u32 s55, s55, 0
	s_waitcnt lgkmcnt(0)
	v_mul_hi_u32 v7, s17, v1
	v_add_u32_e32 v7, v1, v7
	v_lshrrev_b32_e32 v7, s18, v7
	v_mul_lo_u32 v9, v7, s16
	v_mul_hi_u32 v10, s20, v7
	v_sub_u32_e32 v1, v1, v9
	v_add_u32_e32 v9, v7, v10
	v_lshrrev_b32_e32 v9, s21, v9
	v_mul_lo_u32 v10, v9, s19
	v_mul_hi_u32 v11, s23, v9
	v_sub_u32_e32 v7, v7, v10
	v_add_u32_e32 v10, v9, v11
	v_mul_lo_u32 v1, v1, s36
	v_mul_lo_u32 v7, v7, s37
	v_lshrrev_b32_e32 v10, s4, v10
	v_add3_u32 v7, v1, v8, v7
	v_mul_lo_u32 v1, v10, s22
	v_mul_hi_u32 v8, s6, v10
	v_sub_u32_e32 v1, v9, v1
	v_add_u32_e32 v8, v10, v8
	v_mul_lo_u32 v9, v1, s38
	v_lshrrev_b32_e32 v1, s7, v8
	s_add_i32 s66, s66, 4
	v_mul_lo_u32 v8, v1, s5
	s_add_u32 s56, s56, 16
	v_sub_u32_e32 v8, v10, v8
	s_addc_u32 s57, s57, 0
	v_mul_lo_u32 v8, v8, s39
	s_cmp_eq_u32 s65, s66
	v_add3_u32 v8, v9, v7, v8
	s_cbranch_scc0 .LBB160_56
; %bb.57:                               ;   in Loop: Header=BB160_9 Depth=1
	s_mov_b32 s6, s65
	s_andn2_b64 vcc, exec, s[52:53]
	s_cbranch_vccz .LBB160_61
	s_branch .LBB160_63
.LBB160_58:                             ;   in Loop: Header=BB160_9 Depth=1
                                        ; implicit-def: $vgpr8
	s_branch .LBB160_64
.LBB160_59:                             ;   in Loop: Header=BB160_9 Depth=1
	v_mov_b32_e32 v8, 0
	s_branch .LBB160_63
.LBB160_60:                             ;   in Loop: Header=BB160_9 Depth=1
	v_mov_b32_e32 v1, v0
	s_andn2_b64 vcc, exec, s[52:53]
	s_cbranch_vccnz .LBB160_63
.LBB160_61:                             ;   in Loop: Header=BB160_9 Depth=1
	s_lshl_b32 s4, s6, 2
	s_add_u32 s4, s44, s4
	s_addc_u32 s5, s45, 0
	s_mul_i32 s6, s6, 12
	s_add_u32 s6, s34, s6
	s_addc_u32 s7, s35, 0
	s_mov_b32 s16, s64
.LBB160_62:                             ;   Parent Loop BB160_9 Depth=1
                                        ; =>  This Inner Loop Header: Depth=2
	s_load_dwordx2 s[18:19], s[6:7], 0x4
	s_load_dword s17, s[6:7], 0xc
	s_load_dword s20, s[4:5], 0x0
	s_add_u32 s6, s6, 12
	s_addc_u32 s7, s7, 0
	s_waitcnt lgkmcnt(0)
	v_mul_hi_u32 v7, s19, v1
	v_add_u32_e32 v7, v1, v7
	v_lshrrev_b32_e32 v7, s17, v7
	s_add_u32 s4, s4, 4
	v_mul_lo_u32 v9, v7, s18
	s_addc_u32 s5, s5, 0
	s_add_i32 s16, s16, -1
	v_sub_u32_e32 v9, v1, v9
	s_cmp_lg_u32 s16, 0
	v_mov_b32_e32 v1, v7
	v_mad_u64_u32 v[8:9], s[18:19], v9, s20, v[8:9]
	s_cbranch_scc1 .LBB160_62
.LBB160_63:                             ;   in Loop: Header=BB160_9 Depth=1
	s_cbranch_execnz .LBB160_66
.LBB160_64:                             ;   in Loop: Header=BB160_9 Depth=1
	v_mul_hi_u32 v1, v0, s10
	v_add_u32_e32 v1, v1, v0
	v_lshrrev_b32_e32 v1, s11, v1
	v_mul_lo_u32 v7, v1, s9
	v_sub_u32_e32 v0, v0, v7
	s_andn2_b64 vcc, exec, s[48:49]
	v_mul_lo_u32 v8, v0, s46
	s_cbranch_vccnz .LBB160_66
; %bb.65:                               ;   in Loop: Header=BB160_9 Depth=1
	v_mul_hi_u32 v0, s8, v1
	v_add_u32_e32 v0, v1, v0
	v_lshrrev_b32_e32 v0, s14, v0
	v_mul_lo_u32 v0, v0, s12
	v_sub_u32_e32 v0, v1, v0
	v_mad_u64_u32 v[8:9], s[4:5], v0, s47, v[8:9]
.LBB160_66:                             ;   in Loop: Header=BB160_9 Depth=1
	v_cvt_f32_u32_e32 v0, v2
	v_mov_b32_e32 v1, 0x2f800000
	v_fmac_f32_e32 v1, 0x2f800000, v0
	v_cmp_lt_f32_e32 vcc, v1, v39
	v_cndmask_b32_e64 v0, 0, 1, vcc
	global_store_byte v8, v0, s[28:29]
.LBB160_67:                             ;   in Loop: Header=BB160_9 Depth=1
	s_or_b64 exec, exec, s[2:3]
	v_mov_b32_e32 v1, s63
	v_add_co_u32_e32 v0, vcc, s62, v14
	v_addc_co_u32_e32 v1, vcc, v15, v1, vcc
	v_cmp_gt_i64_e32 vcc, s[24:25], v[0:1]
	s_and_saveexec_b64 s[36:37], vcc
	s_cbranch_execz .LBB160_8
; %bb.68:                               ;   in Loop: Header=BB160_9 Depth=1
	s_and_b64 vcc, exec, s[0:1]
	s_cbranch_vccnz .LBB160_74
; %bb.69:                               ;   in Loop: Header=BB160_9 Depth=1
	s_andn2_b64 vcc, exec, s[42:43]
	s_cbranch_vccnz .LBB160_75
; %bb.70:                               ;   in Loop: Header=BB160_9 Depth=1
	s_mov_b32 s2, 0
	s_andn2_b64 vcc, exec, s[30:31]
	v_mov_b32_e32 v8, 0
	s_cbranch_vccnz .LBB160_76
; %bb.71:                               ;   in Loop: Header=BB160_9 Depth=1
	s_mov_b32 s56, 0
	v_mov_b32_e32 v8, 0
	s_mov_b64 s[38:39], s[34:35]
	s_mov_b64 s[54:55], s[44:45]
	v_mov_b32_e32 v1, v0
.LBB160_72:                             ;   Parent Loop BB160_9 Depth=1
                                        ; =>  This Inner Loop Header: Depth=2
	s_load_dwordx8 s[0:7], s[38:39], 0x4
	s_load_dwordx4 s[16:19], s[38:39], 0x24
	s_load_dwordx4 s[20:23], s[54:55], 0x0
	s_add_u32 s38, s38, 48
	s_addc_u32 s39, s39, 0
	s_waitcnt lgkmcnt(0)
	v_mul_hi_u32 v2, s1, v1
	v_add_u32_e32 v2, v1, v2
	v_lshrrev_b32_e32 v2, s2, v2
	v_mul_lo_u32 v7, v2, s0
	v_mul_hi_u32 v9, s4, v2
	v_sub_u32_e32 v1, v1, v7
	v_add_u32_e32 v7, v2, v9
	v_lshrrev_b32_e32 v7, s5, v7
	v_mul_lo_u32 v9, v7, s3
	v_mul_hi_u32 v10, s7, v7
	v_sub_u32_e32 v2, v2, v9
	v_add_u32_e32 v9, v7, v10
	v_mul_lo_u32 v1, v1, s20
	v_mul_lo_u32 v2, v2, s21
	v_lshrrev_b32_e32 v9, s16, v9
	v_add3_u32 v2, v1, v8, v2
	v_mul_lo_u32 v1, v9, s6
	v_mul_hi_u32 v8, s18, v9
	v_sub_u32_e32 v1, v7, v1
	v_add_u32_e32 v7, v9, v8
	v_mul_lo_u32 v8, v1, s22
	v_lshrrev_b32_e32 v1, s19, v7
	s_add_i32 s56, s56, 4
	v_mul_lo_u32 v7, v1, s17
	s_add_u32 s54, s54, 16
	v_sub_u32_e32 v7, v9, v7
	s_addc_u32 s55, s55, 0
	v_mul_lo_u32 v7, v7, s23
	s_cmp_eq_u32 s65, s56
	v_add3_u32 v8, v8, v2, v7
	s_cbranch_scc0 .LBB160_72
; %bb.73:                               ;   in Loop: Header=BB160_9 Depth=1
	s_mov_b32 s2, s65
	s_andn2_b64 vcc, exec, s[52:53]
	s_cbranch_vccz .LBB160_77
	s_branch .LBB160_79
.LBB160_74:                             ;   in Loop: Header=BB160_9 Depth=1
                                        ; implicit-def: $vgpr8
	s_branch .LBB160_80
.LBB160_75:                             ;   in Loop: Header=BB160_9 Depth=1
	v_mov_b32_e32 v8, 0
	s_branch .LBB160_79
.LBB160_76:                             ;   in Loop: Header=BB160_9 Depth=1
	v_mov_b32_e32 v1, v0
	s_andn2_b64 vcc, exec, s[52:53]
	s_cbranch_vccnz .LBB160_79
.LBB160_77:                             ;   in Loop: Header=BB160_9 Depth=1
	s_lshl_b32 s0, s2, 2
	s_add_u32 s0, s44, s0
	s_addc_u32 s1, s45, 0
	s_mul_i32 s2, s2, 12
	s_add_u32 s2, s34, s2
	s_addc_u32 s3, s35, 0
	s_mov_b32 s4, s64
.LBB160_78:                             ;   Parent Loop BB160_9 Depth=1
                                        ; =>  This Inner Loop Header: Depth=2
	s_load_dwordx2 s[6:7], s[2:3], 0x4
	s_load_dword s5, s[2:3], 0xc
	s_load_dword s16, s[0:1], 0x0
	s_add_u32 s2, s2, 12
	s_addc_u32 s3, s3, 0
	s_waitcnt lgkmcnt(0)
	v_mul_hi_u32 v2, s7, v1
	v_add_u32_e32 v2, v1, v2
	v_lshrrev_b32_e32 v2, s5, v2
	s_add_u32 s0, s0, 4
	v_mul_lo_u32 v7, v2, s6
	s_addc_u32 s1, s1, 0
	s_add_i32 s4, s4, -1
	v_sub_u32_e32 v7, v1, v7
	s_cmp_lg_u32 s4, 0
	v_mov_b32_e32 v1, v2
	v_mad_u64_u32 v[8:9], s[6:7], v7, s16, v[8:9]
	s_cbranch_scc1 .LBB160_78
.LBB160_79:                             ;   in Loop: Header=BB160_9 Depth=1
	s_cbranch_execnz .LBB160_7
.LBB160_80:                             ;   in Loop: Header=BB160_9 Depth=1
	v_mul_hi_u32 v1, v0, s10
	v_add_u32_e32 v1, v1, v0
	v_lshrrev_b32_e32 v1, s11, v1
	v_mul_lo_u32 v2, v1, s9
	v_sub_u32_e32 v0, v0, v2
	s_andn2_b64 vcc, exec, s[48:49]
	v_mul_lo_u32 v8, v0, s46
	s_cbranch_vccnz .LBB160_7
; %bb.81:                               ;   in Loop: Header=BB160_9 Depth=1
	v_mul_hi_u32 v0, s8, v1
	v_add_u32_e32 v0, v1, v0
	v_lshrrev_b32_e32 v0, s14, v0
	v_mul_lo_u32 v0, v0, s12
	v_sub_u32_e32 v0, v1, v0
	v_mad_u64_u32 v[8:9], s[0:1], v0, s47, v[8:9]
	s_branch .LBB160_7
.LBB160_82:
	s_endpgm
.LBB160_83:
                                        ; implicit-def: $sgpr2_sgpr3
	s_andn2_b64 vcc, exec, s[0:1]
	s_cbranch_vccz .LBB160_4
	s_branch .LBB160_5
	.section	.rodata,"a",@progbits
	.p2align	6, 0x0
	.amdhsa_kernel _ZN2at6native12_GLOBAL__N_143distribution_elementwise_grid_stride_kernelIfLi4EZNS0_9templates4cuda21uniform_and_transformIbfPNS_17CUDAGeneratorImplEZZZNS4_16bernoulli_kernelIS7_EEvRNS_18TensorIteratorBaseEdT_ENKUlvE_clEvENKUlvE8_clEvEUlfE_EEvSA_T1_T2_EUlP25hiprandStatePhilox4_32_10E0_ZNS1_27distribution_nullary_kernelIbf15HIP_vector_typeIfLj4EES7_SJ_SE_EEvSA_SG_RKT3_T4_EUlifE0_EEvlNS_15PhiloxCudaStateESF_SG_
		.amdhsa_group_segment_fixed_size 0
		.amdhsa_private_segment_fixed_size 0
		.amdhsa_kernarg_size 584
		.amdhsa_user_sgpr_count 6
		.amdhsa_user_sgpr_private_segment_buffer 1
		.amdhsa_user_sgpr_dispatch_ptr 0
		.amdhsa_user_sgpr_queue_ptr 0
		.amdhsa_user_sgpr_kernarg_segment_ptr 1
		.amdhsa_user_sgpr_dispatch_id 0
		.amdhsa_user_sgpr_flat_scratch_init 0
		.amdhsa_user_sgpr_kernarg_preload_length 0
		.amdhsa_user_sgpr_kernarg_preload_offset 0
		.amdhsa_user_sgpr_private_segment_size 0
		.amdhsa_uses_dynamic_stack 0
		.amdhsa_system_sgpr_private_segment_wavefront_offset 0
		.amdhsa_system_sgpr_workgroup_id_x 1
		.amdhsa_system_sgpr_workgroup_id_y 0
		.amdhsa_system_sgpr_workgroup_id_z 0
		.amdhsa_system_sgpr_workgroup_info 0
		.amdhsa_system_vgpr_workitem_id 0
		.amdhsa_next_free_vgpr 42
		.amdhsa_next_free_sgpr 67
		.amdhsa_accum_offset 44
		.amdhsa_reserve_vcc 1
		.amdhsa_reserve_flat_scratch 0
		.amdhsa_float_round_mode_32 0
		.amdhsa_float_round_mode_16_64 0
		.amdhsa_float_denorm_mode_32 3
		.amdhsa_float_denorm_mode_16_64 3
		.amdhsa_dx10_clamp 1
		.amdhsa_ieee_mode 1
		.amdhsa_fp16_overflow 0
		.amdhsa_tg_split 0
		.amdhsa_exception_fp_ieee_invalid_op 0
		.amdhsa_exception_fp_denorm_src 0
		.amdhsa_exception_fp_ieee_div_zero 0
		.amdhsa_exception_fp_ieee_overflow 0
		.amdhsa_exception_fp_ieee_underflow 0
		.amdhsa_exception_fp_ieee_inexact 0
		.amdhsa_exception_int_div_zero 0
	.end_amdhsa_kernel
	.section	.text._ZN2at6native12_GLOBAL__N_143distribution_elementwise_grid_stride_kernelIfLi4EZNS0_9templates4cuda21uniform_and_transformIbfPNS_17CUDAGeneratorImplEZZZNS4_16bernoulli_kernelIS7_EEvRNS_18TensorIteratorBaseEdT_ENKUlvE_clEvENKUlvE8_clEvEUlfE_EEvSA_T1_T2_EUlP25hiprandStatePhilox4_32_10E0_ZNS1_27distribution_nullary_kernelIbf15HIP_vector_typeIfLj4EES7_SJ_SE_EEvSA_SG_RKT3_T4_EUlifE0_EEvlNS_15PhiloxCudaStateESF_SG_,"axG",@progbits,_ZN2at6native12_GLOBAL__N_143distribution_elementwise_grid_stride_kernelIfLi4EZNS0_9templates4cuda21uniform_and_transformIbfPNS_17CUDAGeneratorImplEZZZNS4_16bernoulli_kernelIS7_EEvRNS_18TensorIteratorBaseEdT_ENKUlvE_clEvENKUlvE8_clEvEUlfE_EEvSA_T1_T2_EUlP25hiprandStatePhilox4_32_10E0_ZNS1_27distribution_nullary_kernelIbf15HIP_vector_typeIfLj4EES7_SJ_SE_EEvSA_SG_RKT3_T4_EUlifE0_EEvlNS_15PhiloxCudaStateESF_SG_,comdat
.Lfunc_end160:
	.size	_ZN2at6native12_GLOBAL__N_143distribution_elementwise_grid_stride_kernelIfLi4EZNS0_9templates4cuda21uniform_and_transformIbfPNS_17CUDAGeneratorImplEZZZNS4_16bernoulli_kernelIS7_EEvRNS_18TensorIteratorBaseEdT_ENKUlvE_clEvENKUlvE8_clEvEUlfE_EEvSA_T1_T2_EUlP25hiprandStatePhilox4_32_10E0_ZNS1_27distribution_nullary_kernelIbf15HIP_vector_typeIfLj4EES7_SJ_SE_EEvSA_SG_RKT3_T4_EUlifE0_EEvlNS_15PhiloxCudaStateESF_SG_, .Lfunc_end160-_ZN2at6native12_GLOBAL__N_143distribution_elementwise_grid_stride_kernelIfLi4EZNS0_9templates4cuda21uniform_and_transformIbfPNS_17CUDAGeneratorImplEZZZNS4_16bernoulli_kernelIS7_EEvRNS_18TensorIteratorBaseEdT_ENKUlvE_clEvENKUlvE8_clEvEUlfE_EEvSA_T1_T2_EUlP25hiprandStatePhilox4_32_10E0_ZNS1_27distribution_nullary_kernelIbf15HIP_vector_typeIfLj4EES7_SJ_SE_EEvSA_SG_RKT3_T4_EUlifE0_EEvlNS_15PhiloxCudaStateESF_SG_
                                        ; -- End function
	.section	.AMDGPU.csdata,"",@progbits
; Kernel info:
; codeLenInByte = 4432
; NumSgprs: 71
; NumVgprs: 42
; NumAgprs: 0
; TotalNumVgprs: 42
; ScratchSize: 0
; MemoryBound: 0
; FloatMode: 240
; IeeeMode: 1
; LDSByteSize: 0 bytes/workgroup (compile time only)
; SGPRBlocks: 8
; VGPRBlocks: 5
; NumSGPRsForWavesPerEU: 71
; NumVGPRsForWavesPerEU: 42
; AccumOffset: 44
; Occupancy: 8
; WaveLimiterHint : 1
; COMPUTE_PGM_RSRC2:SCRATCH_EN: 0
; COMPUTE_PGM_RSRC2:USER_SGPR: 6
; COMPUTE_PGM_RSRC2:TRAP_HANDLER: 0
; COMPUTE_PGM_RSRC2:TGID_X_EN: 1
; COMPUTE_PGM_RSRC2:TGID_Y_EN: 0
; COMPUTE_PGM_RSRC2:TGID_Z_EN: 0
; COMPUTE_PGM_RSRC2:TIDIG_COMP_CNT: 0
; COMPUTE_PGM_RSRC3_GFX90A:ACCUM_OFFSET: 10
; COMPUTE_PGM_RSRC3_GFX90A:TG_SPLIT: 0
	.text
	.p2alignl 6, 3212836864
	.fill 256, 4, 3212836864
	.type	__hip_cuid_ad22ecf2270c3fc7,@object ; @__hip_cuid_ad22ecf2270c3fc7
	.section	.bss,"aw",@nobits
	.globl	__hip_cuid_ad22ecf2270c3fc7
__hip_cuid_ad22ecf2270c3fc7:
	.byte	0                               ; 0x0
	.size	__hip_cuid_ad22ecf2270c3fc7, 1

	.ident	"AMD clang version 19.0.0git (https://github.com/RadeonOpenCompute/llvm-project roc-6.4.0 25133 c7fe45cf4b819c5991fe208aaa96edf142730f1d)"
	.section	".note.GNU-stack","",@progbits
	.addrsig
	.addrsig_sym __hip_cuid_ad22ecf2270c3fc7
	.amdgpu_metadata
---
amdhsa.kernels:
  - .agpr_count:     0
    .args:
      - .offset:         0
        .size:           216
        .value_kind:     by_value
      - .offset:         216
        .size:           216
        .value_kind:     by_value
      - .offset:         432
        .size:           4
        .value_kind:     by_value
      - .offset:         440
        .size:           32
        .value_kind:     by_value
      - .offset:         472
        .size:           4
        .value_kind:     hidden_block_count_x
      - .offset:         476
        .size:           4
        .value_kind:     hidden_block_count_y
      - .offset:         480
        .size:           4
        .value_kind:     hidden_block_count_z
      - .offset:         484
        .size:           2
        .value_kind:     hidden_group_size_x
      - .offset:         486
        .size:           2
        .value_kind:     hidden_group_size_y
      - .offset:         488
        .size:           2
        .value_kind:     hidden_group_size_z
      - .offset:         490
        .size:           2
        .value_kind:     hidden_remainder_x
      - .offset:         492
        .size:           2
        .value_kind:     hidden_remainder_y
      - .offset:         494
        .size:           2
        .value_kind:     hidden_remainder_z
      - .offset:         512
        .size:           8
        .value_kind:     hidden_global_offset_x
      - .offset:         520
        .size:           8
        .value_kind:     hidden_global_offset_y
      - .offset:         528
        .size:           8
        .value_kind:     hidden_global_offset_z
      - .offset:         536
        .size:           2
        .value_kind:     hidden_grid_dims
    .group_segment_fixed_size: 0
    .kernarg_segment_align: 8
    .kernarg_segment_size: 728
    .language:       OpenCL C
    .language_version:
      - 2
      - 0
    .max_flat_workgroup_size: 512
    .name:           _ZN2at4cuda12_GLOBAL__N_121kernelPointwiseApply2IZNS_6native9templates4cuda28bernoulli_tensor_cuda_kernelIddEEvRKNS_10TensorBaseES9_NS_15PhiloxCudaStateEEUliRdSB_SB_SB_RKdSD_SD_SD_E_dSC_jLi1ELi1ELi4ELi512ELi2EEEvNS0_6detail10TensorInfoIT0_T2_EENSG_IT1_SI_EESI_T_
    .private_segment_fixed_size: 0
    .sgpr_count:     62
    .sgpr_spill_count: 0
    .symbol:         _ZN2at4cuda12_GLOBAL__N_121kernelPointwiseApply2IZNS_6native9templates4cuda28bernoulli_tensor_cuda_kernelIddEEvRKNS_10TensorBaseES9_NS_15PhiloxCudaStateEEUliRdSB_SB_SB_RKdSD_SD_SD_E_dSC_jLi1ELi1ELi4ELi512ELi2EEEvNS0_6detail10TensorInfoIT0_T2_EENSG_IT1_SI_EESI_T_.kd
    .uniform_work_group_size: 1
    .uses_dynamic_stack: false
    .vgpr_count:     52
    .vgpr_spill_count: 0
    .wavefront_size: 64
  - .agpr_count:     0
    .args:
      - .offset:         0
        .size:           216
        .value_kind:     by_value
      - .offset:         216
        .size:           216
        .value_kind:     by_value
      - .offset:         432
        .size:           4
        .value_kind:     by_value
      - .offset:         440
        .size:           32
        .value_kind:     by_value
      - .offset:         472
        .size:           4
        .value_kind:     hidden_block_count_x
      - .offset:         476
        .size:           4
        .value_kind:     hidden_block_count_y
      - .offset:         480
        .size:           4
        .value_kind:     hidden_block_count_z
      - .offset:         484
        .size:           2
        .value_kind:     hidden_group_size_x
      - .offset:         486
        .size:           2
        .value_kind:     hidden_group_size_y
      - .offset:         488
        .size:           2
        .value_kind:     hidden_group_size_z
      - .offset:         490
        .size:           2
        .value_kind:     hidden_remainder_x
      - .offset:         492
        .size:           2
        .value_kind:     hidden_remainder_y
      - .offset:         494
        .size:           2
        .value_kind:     hidden_remainder_z
      - .offset:         512
        .size:           8
        .value_kind:     hidden_global_offset_x
      - .offset:         520
        .size:           8
        .value_kind:     hidden_global_offset_y
      - .offset:         528
        .size:           8
        .value_kind:     hidden_global_offset_z
      - .offset:         536
        .size:           2
        .value_kind:     hidden_grid_dims
    .group_segment_fixed_size: 0
    .kernarg_segment_align: 8
    .kernarg_segment_size: 728
    .language:       OpenCL C
    .language_version:
      - 2
      - 0
    .max_flat_workgroup_size: 512
    .name:           _ZN2at4cuda12_GLOBAL__N_121kernelPointwiseApply2IZNS_6native9templates4cuda28bernoulli_tensor_cuda_kernelIddEEvRKNS_10TensorBaseES9_NS_15PhiloxCudaStateEEUliRdSB_SB_SB_RKdSD_SD_SD_E_dSC_jLi1ELi2ELi4ELi512ELi2EEEvNS0_6detail10TensorInfoIT0_T2_EENSG_IT1_SI_EESI_T_
    .private_segment_fixed_size: 0
    .sgpr_count:     68
    .sgpr_spill_count: 0
    .symbol:         _ZN2at4cuda12_GLOBAL__N_121kernelPointwiseApply2IZNS_6native9templates4cuda28bernoulli_tensor_cuda_kernelIddEEvRKNS_10TensorBaseES9_NS_15PhiloxCudaStateEEUliRdSB_SB_SB_RKdSD_SD_SD_E_dSC_jLi1ELi2ELi4ELi512ELi2EEEvNS0_6detail10TensorInfoIT0_T2_EENSG_IT1_SI_EESI_T_.kd
    .uniform_work_group_size: 1
    .uses_dynamic_stack: false
    .vgpr_count:     56
    .vgpr_spill_count: 0
    .wavefront_size: 64
  - .agpr_count:     0
    .args:
      - .offset:         0
        .size:           216
        .value_kind:     by_value
      - .offset:         216
        .size:           216
        .value_kind:     by_value
      - .offset:         432
        .size:           4
        .value_kind:     by_value
      - .offset:         440
        .size:           32
        .value_kind:     by_value
      - .offset:         472
        .size:           4
        .value_kind:     hidden_block_count_x
      - .offset:         476
        .size:           4
        .value_kind:     hidden_block_count_y
      - .offset:         480
        .size:           4
        .value_kind:     hidden_block_count_z
      - .offset:         484
        .size:           2
        .value_kind:     hidden_group_size_x
      - .offset:         486
        .size:           2
        .value_kind:     hidden_group_size_y
      - .offset:         488
        .size:           2
        .value_kind:     hidden_group_size_z
      - .offset:         490
        .size:           2
        .value_kind:     hidden_remainder_x
      - .offset:         492
        .size:           2
        .value_kind:     hidden_remainder_y
      - .offset:         494
        .size:           2
        .value_kind:     hidden_remainder_z
      - .offset:         512
        .size:           8
        .value_kind:     hidden_global_offset_x
      - .offset:         520
        .size:           8
        .value_kind:     hidden_global_offset_y
      - .offset:         528
        .size:           8
        .value_kind:     hidden_global_offset_z
      - .offset:         536
        .size:           2
        .value_kind:     hidden_grid_dims
    .group_segment_fixed_size: 0
    .kernarg_segment_align: 8
    .kernarg_segment_size: 728
    .language:       OpenCL C
    .language_version:
      - 2
      - 0
    .max_flat_workgroup_size: 512
    .name:           _ZN2at4cuda12_GLOBAL__N_121kernelPointwiseApply2IZNS_6native9templates4cuda28bernoulli_tensor_cuda_kernelIddEEvRKNS_10TensorBaseES9_NS_15PhiloxCudaStateEEUliRdSB_SB_SB_RKdSD_SD_SD_E_dSC_jLi1ELin1ELi4ELi512ELi2EEEvNS0_6detail10TensorInfoIT0_T2_EENSG_IT1_SI_EESI_T_
    .private_segment_fixed_size: 0
    .sgpr_count:     71
    .sgpr_spill_count: 0
    .symbol:         _ZN2at4cuda12_GLOBAL__N_121kernelPointwiseApply2IZNS_6native9templates4cuda28bernoulli_tensor_cuda_kernelIddEEvRKNS_10TensorBaseES9_NS_15PhiloxCudaStateEEUliRdSB_SB_SB_RKdSD_SD_SD_E_dSC_jLi1ELin1ELi4ELi512ELi2EEEvNS0_6detail10TensorInfoIT0_T2_EENSG_IT1_SI_EESI_T_.kd
    .uniform_work_group_size: 1
    .uses_dynamic_stack: false
    .vgpr_count:     53
    .vgpr_spill_count: 0
    .wavefront_size: 64
  - .agpr_count:     0
    .args:
      - .offset:         0
        .size:           216
        .value_kind:     by_value
      - .offset:         216
        .size:           216
        .value_kind:     by_value
      - .offset:         432
        .size:           4
        .value_kind:     by_value
      - .offset:         440
        .size:           32
        .value_kind:     by_value
      - .offset:         472
        .size:           4
        .value_kind:     hidden_block_count_x
      - .offset:         476
        .size:           4
        .value_kind:     hidden_block_count_y
      - .offset:         480
        .size:           4
        .value_kind:     hidden_block_count_z
      - .offset:         484
        .size:           2
        .value_kind:     hidden_group_size_x
      - .offset:         486
        .size:           2
        .value_kind:     hidden_group_size_y
      - .offset:         488
        .size:           2
        .value_kind:     hidden_group_size_z
      - .offset:         490
        .size:           2
        .value_kind:     hidden_remainder_x
      - .offset:         492
        .size:           2
        .value_kind:     hidden_remainder_y
      - .offset:         494
        .size:           2
        .value_kind:     hidden_remainder_z
      - .offset:         512
        .size:           8
        .value_kind:     hidden_global_offset_x
      - .offset:         520
        .size:           8
        .value_kind:     hidden_global_offset_y
      - .offset:         528
        .size:           8
        .value_kind:     hidden_global_offset_z
      - .offset:         536
        .size:           2
        .value_kind:     hidden_grid_dims
    .group_segment_fixed_size: 0
    .kernarg_segment_align: 8
    .kernarg_segment_size: 728
    .language:       OpenCL C
    .language_version:
      - 2
      - 0
    .max_flat_workgroup_size: 512
    .name:           _ZN2at4cuda12_GLOBAL__N_121kernelPointwiseApply2IZNS_6native9templates4cuda28bernoulli_tensor_cuda_kernelIddEEvRKNS_10TensorBaseES9_NS_15PhiloxCudaStateEEUliRdSB_SB_SB_RKdSD_SD_SD_E_dSC_jLi2ELi1ELi4ELi512ELi2EEEvNS0_6detail10TensorInfoIT0_T2_EENSG_IT1_SI_EESI_T_
    .private_segment_fixed_size: 0
    .sgpr_count:     68
    .sgpr_spill_count: 0
    .symbol:         _ZN2at4cuda12_GLOBAL__N_121kernelPointwiseApply2IZNS_6native9templates4cuda28bernoulli_tensor_cuda_kernelIddEEvRKNS_10TensorBaseES9_NS_15PhiloxCudaStateEEUliRdSB_SB_SB_RKdSD_SD_SD_E_dSC_jLi2ELi1ELi4ELi512ELi2EEEvNS0_6detail10TensorInfoIT0_T2_EENSG_IT1_SI_EESI_T_.kd
    .uniform_work_group_size: 1
    .uses_dynamic_stack: false
    .vgpr_count:     56
    .vgpr_spill_count: 0
    .wavefront_size: 64
  - .agpr_count:     0
    .args:
      - .offset:         0
        .size:           216
        .value_kind:     by_value
      - .offset:         216
        .size:           216
        .value_kind:     by_value
      - .offset:         432
        .size:           4
        .value_kind:     by_value
      - .offset:         440
        .size:           32
        .value_kind:     by_value
      - .offset:         472
        .size:           4
        .value_kind:     hidden_block_count_x
      - .offset:         476
        .size:           4
        .value_kind:     hidden_block_count_y
      - .offset:         480
        .size:           4
        .value_kind:     hidden_block_count_z
      - .offset:         484
        .size:           2
        .value_kind:     hidden_group_size_x
      - .offset:         486
        .size:           2
        .value_kind:     hidden_group_size_y
      - .offset:         488
        .size:           2
        .value_kind:     hidden_group_size_z
      - .offset:         490
        .size:           2
        .value_kind:     hidden_remainder_x
      - .offset:         492
        .size:           2
        .value_kind:     hidden_remainder_y
      - .offset:         494
        .size:           2
        .value_kind:     hidden_remainder_z
      - .offset:         512
        .size:           8
        .value_kind:     hidden_global_offset_x
      - .offset:         520
        .size:           8
        .value_kind:     hidden_global_offset_y
      - .offset:         528
        .size:           8
        .value_kind:     hidden_global_offset_z
      - .offset:         536
        .size:           2
        .value_kind:     hidden_grid_dims
    .group_segment_fixed_size: 0
    .kernarg_segment_align: 8
    .kernarg_segment_size: 728
    .language:       OpenCL C
    .language_version:
      - 2
      - 0
    .max_flat_workgroup_size: 512
    .name:           _ZN2at4cuda12_GLOBAL__N_121kernelPointwiseApply2IZNS_6native9templates4cuda28bernoulli_tensor_cuda_kernelIddEEvRKNS_10TensorBaseES9_NS_15PhiloxCudaStateEEUliRdSB_SB_SB_RKdSD_SD_SD_E_dSC_jLi2ELi2ELi4ELi512ELi2EEEvNS0_6detail10TensorInfoIT0_T2_EENSG_IT1_SI_EESI_T_
    .private_segment_fixed_size: 0
    .sgpr_count:     66
    .sgpr_spill_count: 0
    .symbol:         _ZN2at4cuda12_GLOBAL__N_121kernelPointwiseApply2IZNS_6native9templates4cuda28bernoulli_tensor_cuda_kernelIddEEvRKNS_10TensorBaseES9_NS_15PhiloxCudaStateEEUliRdSB_SB_SB_RKdSD_SD_SD_E_dSC_jLi2ELi2ELi4ELi512ELi2EEEvNS0_6detail10TensorInfoIT0_T2_EENSG_IT1_SI_EESI_T_.kd
    .uniform_work_group_size: 1
    .uses_dynamic_stack: false
    .vgpr_count:     57
    .vgpr_spill_count: 0
    .wavefront_size: 64
  - .agpr_count:     0
    .args:
      - .offset:         0
        .size:           216
        .value_kind:     by_value
      - .offset:         216
        .size:           216
        .value_kind:     by_value
      - .offset:         432
        .size:           4
        .value_kind:     by_value
      - .offset:         440
        .size:           32
        .value_kind:     by_value
      - .offset:         472
        .size:           4
        .value_kind:     hidden_block_count_x
      - .offset:         476
        .size:           4
        .value_kind:     hidden_block_count_y
      - .offset:         480
        .size:           4
        .value_kind:     hidden_block_count_z
      - .offset:         484
        .size:           2
        .value_kind:     hidden_group_size_x
      - .offset:         486
        .size:           2
        .value_kind:     hidden_group_size_y
      - .offset:         488
        .size:           2
        .value_kind:     hidden_group_size_z
      - .offset:         490
        .size:           2
        .value_kind:     hidden_remainder_x
      - .offset:         492
        .size:           2
        .value_kind:     hidden_remainder_y
      - .offset:         494
        .size:           2
        .value_kind:     hidden_remainder_z
      - .offset:         512
        .size:           8
        .value_kind:     hidden_global_offset_x
      - .offset:         520
        .size:           8
        .value_kind:     hidden_global_offset_y
      - .offset:         528
        .size:           8
        .value_kind:     hidden_global_offset_z
      - .offset:         536
        .size:           2
        .value_kind:     hidden_grid_dims
    .group_segment_fixed_size: 0
    .kernarg_segment_align: 8
    .kernarg_segment_size: 728
    .language:       OpenCL C
    .language_version:
      - 2
      - 0
    .max_flat_workgroup_size: 512
    .name:           _ZN2at4cuda12_GLOBAL__N_121kernelPointwiseApply2IZNS_6native9templates4cuda28bernoulli_tensor_cuda_kernelIddEEvRKNS_10TensorBaseES9_NS_15PhiloxCudaStateEEUliRdSB_SB_SB_RKdSD_SD_SD_E_dSC_jLi2ELin1ELi4ELi512ELi2EEEvNS0_6detail10TensorInfoIT0_T2_EENSG_IT1_SI_EESI_T_
    .private_segment_fixed_size: 0
    .sgpr_count:     65
    .sgpr_spill_count: 0
    .symbol:         _ZN2at4cuda12_GLOBAL__N_121kernelPointwiseApply2IZNS_6native9templates4cuda28bernoulli_tensor_cuda_kernelIddEEvRKNS_10TensorBaseES9_NS_15PhiloxCudaStateEEUliRdSB_SB_SB_RKdSD_SD_SD_E_dSC_jLi2ELin1ELi4ELi512ELi2EEEvNS0_6detail10TensorInfoIT0_T2_EENSG_IT1_SI_EESI_T_.kd
    .uniform_work_group_size: 1
    .uses_dynamic_stack: false
    .vgpr_count:     56
    .vgpr_spill_count: 0
    .wavefront_size: 64
  - .agpr_count:     0
    .args:
      - .offset:         0
        .size:           216
        .value_kind:     by_value
      - .offset:         216
        .size:           216
        .value_kind:     by_value
      - .offset:         432
        .size:           4
        .value_kind:     by_value
      - .offset:         440
        .size:           32
        .value_kind:     by_value
      - .offset:         472
        .size:           4
        .value_kind:     hidden_block_count_x
      - .offset:         476
        .size:           4
        .value_kind:     hidden_block_count_y
      - .offset:         480
        .size:           4
        .value_kind:     hidden_block_count_z
      - .offset:         484
        .size:           2
        .value_kind:     hidden_group_size_x
      - .offset:         486
        .size:           2
        .value_kind:     hidden_group_size_y
      - .offset:         488
        .size:           2
        .value_kind:     hidden_group_size_z
      - .offset:         490
        .size:           2
        .value_kind:     hidden_remainder_x
      - .offset:         492
        .size:           2
        .value_kind:     hidden_remainder_y
      - .offset:         494
        .size:           2
        .value_kind:     hidden_remainder_z
      - .offset:         512
        .size:           8
        .value_kind:     hidden_global_offset_x
      - .offset:         520
        .size:           8
        .value_kind:     hidden_global_offset_y
      - .offset:         528
        .size:           8
        .value_kind:     hidden_global_offset_z
      - .offset:         536
        .size:           2
        .value_kind:     hidden_grid_dims
    .group_segment_fixed_size: 0
    .kernarg_segment_align: 8
    .kernarg_segment_size: 728
    .language:       OpenCL C
    .language_version:
      - 2
      - 0
    .max_flat_workgroup_size: 512
    .name:           _ZN2at4cuda12_GLOBAL__N_121kernelPointwiseApply2IZNS_6native9templates4cuda28bernoulli_tensor_cuda_kernelIddEEvRKNS_10TensorBaseES9_NS_15PhiloxCudaStateEEUliRdSB_SB_SB_RKdSD_SD_SD_E_dSC_jLin1ELi1ELi4ELi512ELi2EEEvNS0_6detail10TensorInfoIT0_T2_EENSG_IT1_SI_EESI_T_
    .private_segment_fixed_size: 0
    .sgpr_count:     73
    .sgpr_spill_count: 0
    .symbol:         _ZN2at4cuda12_GLOBAL__N_121kernelPointwiseApply2IZNS_6native9templates4cuda28bernoulli_tensor_cuda_kernelIddEEvRKNS_10TensorBaseES9_NS_15PhiloxCudaStateEEUliRdSB_SB_SB_RKdSD_SD_SD_E_dSC_jLin1ELi1ELi4ELi512ELi2EEEvNS0_6detail10TensorInfoIT0_T2_EENSG_IT1_SI_EESI_T_.kd
    .uniform_work_group_size: 1
    .uses_dynamic_stack: false
    .vgpr_count:     53
    .vgpr_spill_count: 0
    .wavefront_size: 64
  - .agpr_count:     0
    .args:
      - .offset:         0
        .size:           216
        .value_kind:     by_value
      - .offset:         216
        .size:           216
        .value_kind:     by_value
      - .offset:         432
        .size:           4
        .value_kind:     by_value
      - .offset:         440
        .size:           32
        .value_kind:     by_value
      - .offset:         472
        .size:           4
        .value_kind:     hidden_block_count_x
      - .offset:         476
        .size:           4
        .value_kind:     hidden_block_count_y
      - .offset:         480
        .size:           4
        .value_kind:     hidden_block_count_z
      - .offset:         484
        .size:           2
        .value_kind:     hidden_group_size_x
      - .offset:         486
        .size:           2
        .value_kind:     hidden_group_size_y
      - .offset:         488
        .size:           2
        .value_kind:     hidden_group_size_z
      - .offset:         490
        .size:           2
        .value_kind:     hidden_remainder_x
      - .offset:         492
        .size:           2
        .value_kind:     hidden_remainder_y
      - .offset:         494
        .size:           2
        .value_kind:     hidden_remainder_z
      - .offset:         512
        .size:           8
        .value_kind:     hidden_global_offset_x
      - .offset:         520
        .size:           8
        .value_kind:     hidden_global_offset_y
      - .offset:         528
        .size:           8
        .value_kind:     hidden_global_offset_z
      - .offset:         536
        .size:           2
        .value_kind:     hidden_grid_dims
    .group_segment_fixed_size: 0
    .kernarg_segment_align: 8
    .kernarg_segment_size: 728
    .language:       OpenCL C
    .language_version:
      - 2
      - 0
    .max_flat_workgroup_size: 512
    .name:           _ZN2at4cuda12_GLOBAL__N_121kernelPointwiseApply2IZNS_6native9templates4cuda28bernoulli_tensor_cuda_kernelIddEEvRKNS_10TensorBaseES9_NS_15PhiloxCudaStateEEUliRdSB_SB_SB_RKdSD_SD_SD_E_dSC_jLin1ELi2ELi4ELi512ELi2EEEvNS0_6detail10TensorInfoIT0_T2_EENSG_IT1_SI_EESI_T_
    .private_segment_fixed_size: 0
    .sgpr_count:     67
    .sgpr_spill_count: 0
    .symbol:         _ZN2at4cuda12_GLOBAL__N_121kernelPointwiseApply2IZNS_6native9templates4cuda28bernoulli_tensor_cuda_kernelIddEEvRKNS_10TensorBaseES9_NS_15PhiloxCudaStateEEUliRdSB_SB_SB_RKdSD_SD_SD_E_dSC_jLin1ELi2ELi4ELi512ELi2EEEvNS0_6detail10TensorInfoIT0_T2_EENSG_IT1_SI_EESI_T_.kd
    .uniform_work_group_size: 1
    .uses_dynamic_stack: false
    .vgpr_count:     55
    .vgpr_spill_count: 0
    .wavefront_size: 64
  - .agpr_count:     0
    .args:
      - .offset:         0
        .size:           216
        .value_kind:     by_value
      - .offset:         216
        .size:           216
        .value_kind:     by_value
      - .offset:         432
        .size:           4
        .value_kind:     by_value
      - .offset:         440
        .size:           32
        .value_kind:     by_value
      - .offset:         472
        .size:           4
        .value_kind:     hidden_block_count_x
      - .offset:         476
        .size:           4
        .value_kind:     hidden_block_count_y
      - .offset:         480
        .size:           4
        .value_kind:     hidden_block_count_z
      - .offset:         484
        .size:           2
        .value_kind:     hidden_group_size_x
      - .offset:         486
        .size:           2
        .value_kind:     hidden_group_size_y
      - .offset:         488
        .size:           2
        .value_kind:     hidden_group_size_z
      - .offset:         490
        .size:           2
        .value_kind:     hidden_remainder_x
      - .offset:         492
        .size:           2
        .value_kind:     hidden_remainder_y
      - .offset:         494
        .size:           2
        .value_kind:     hidden_remainder_z
      - .offset:         512
        .size:           8
        .value_kind:     hidden_global_offset_x
      - .offset:         520
        .size:           8
        .value_kind:     hidden_global_offset_y
      - .offset:         528
        .size:           8
        .value_kind:     hidden_global_offset_z
      - .offset:         536
        .size:           2
        .value_kind:     hidden_grid_dims
    .group_segment_fixed_size: 0
    .kernarg_segment_align: 8
    .kernarg_segment_size: 728
    .language:       OpenCL C
    .language_version:
      - 2
      - 0
    .max_flat_workgroup_size: 512
    .name:           _ZN2at4cuda12_GLOBAL__N_121kernelPointwiseApply2IZNS_6native9templates4cuda28bernoulli_tensor_cuda_kernelIddEEvRKNS_10TensorBaseES9_NS_15PhiloxCudaStateEEUliRdSB_SB_SB_RKdSD_SD_SD_E_dSC_jLin1ELin1ELi4ELi512ELi2EEEvNS0_6detail10TensorInfoIT0_T2_EENSG_IT1_SI_EESI_T_
    .private_segment_fixed_size: 0
    .sgpr_count:     68
    .sgpr_spill_count: 0
    .symbol:         _ZN2at4cuda12_GLOBAL__N_121kernelPointwiseApply2IZNS_6native9templates4cuda28bernoulli_tensor_cuda_kernelIddEEvRKNS_10TensorBaseES9_NS_15PhiloxCudaStateEEUliRdSB_SB_SB_RKdSD_SD_SD_E_dSC_jLin1ELin1ELi4ELi512ELi2EEEvNS0_6detail10TensorInfoIT0_T2_EENSG_IT1_SI_EESI_T_.kd
    .uniform_work_group_size: 1
    .uses_dynamic_stack: false
    .vgpr_count:     55
    .vgpr_spill_count: 0
    .wavefront_size: 64
  - .agpr_count:     0
    .args:
      - .offset:         0
        .size:           416
        .value_kind:     by_value
      - .offset:         416
        .size:           416
        .value_kind:     by_value
      - .offset:         832
        .size:           8
        .value_kind:     by_value
      - .offset:         840
        .size:           32
        .value_kind:     by_value
      - .offset:         872
        .size:           4
        .value_kind:     hidden_block_count_x
      - .offset:         876
        .size:           4
        .value_kind:     hidden_block_count_y
      - .offset:         880
        .size:           4
        .value_kind:     hidden_block_count_z
      - .offset:         884
        .size:           2
        .value_kind:     hidden_group_size_x
      - .offset:         886
        .size:           2
        .value_kind:     hidden_group_size_y
      - .offset:         888
        .size:           2
        .value_kind:     hidden_group_size_z
      - .offset:         890
        .size:           2
        .value_kind:     hidden_remainder_x
      - .offset:         892
        .size:           2
        .value_kind:     hidden_remainder_y
      - .offset:         894
        .size:           2
        .value_kind:     hidden_remainder_z
      - .offset:         912
        .size:           8
        .value_kind:     hidden_global_offset_x
      - .offset:         920
        .size:           8
        .value_kind:     hidden_global_offset_y
      - .offset:         928
        .size:           8
        .value_kind:     hidden_global_offset_z
      - .offset:         936
        .size:           2
        .value_kind:     hidden_grid_dims
    .group_segment_fixed_size: 0
    .kernarg_segment_align: 8
    .kernarg_segment_size: 1128
    .language:       OpenCL C
    .language_version:
      - 2
      - 0
    .max_flat_workgroup_size: 512
    .name:           _ZN2at4cuda12_GLOBAL__N_121kernelPointwiseApply2IZNS_6native9templates4cuda28bernoulli_tensor_cuda_kernelIddEEvRKNS_10TensorBaseES9_NS_15PhiloxCudaStateEEUliRdSB_SB_SB_RKdSD_SD_SD_E_dSC_mLi1ELi1ELi4ELi512ELi2EEEvNS0_6detail10TensorInfoIT0_T2_EENSG_IT1_SI_EESI_T_
    .private_segment_fixed_size: 0
    .sgpr_count:     68
    .sgpr_spill_count: 0
    .symbol:         _ZN2at4cuda12_GLOBAL__N_121kernelPointwiseApply2IZNS_6native9templates4cuda28bernoulli_tensor_cuda_kernelIddEEvRKNS_10TensorBaseES9_NS_15PhiloxCudaStateEEUliRdSB_SB_SB_RKdSD_SD_SD_E_dSC_mLi1ELi1ELi4ELi512ELi2EEEvNS0_6detail10TensorInfoIT0_T2_EENSG_IT1_SI_EESI_T_.kd
    .uniform_work_group_size: 1
    .uses_dynamic_stack: false
    .vgpr_count:     61
    .vgpr_spill_count: 0
    .wavefront_size: 64
  - .agpr_count:     0
    .args:
      - .offset:         0
        .size:           416
        .value_kind:     by_value
      - .offset:         416
        .size:           416
        .value_kind:     by_value
      - .offset:         832
        .size:           8
        .value_kind:     by_value
      - .offset:         840
        .size:           32
        .value_kind:     by_value
      - .offset:         872
        .size:           4
        .value_kind:     hidden_block_count_x
      - .offset:         876
        .size:           4
        .value_kind:     hidden_block_count_y
      - .offset:         880
        .size:           4
        .value_kind:     hidden_block_count_z
      - .offset:         884
        .size:           2
        .value_kind:     hidden_group_size_x
      - .offset:         886
        .size:           2
        .value_kind:     hidden_group_size_y
      - .offset:         888
        .size:           2
        .value_kind:     hidden_group_size_z
      - .offset:         890
        .size:           2
        .value_kind:     hidden_remainder_x
      - .offset:         892
        .size:           2
        .value_kind:     hidden_remainder_y
      - .offset:         894
        .size:           2
        .value_kind:     hidden_remainder_z
      - .offset:         912
        .size:           8
        .value_kind:     hidden_global_offset_x
      - .offset:         920
        .size:           8
        .value_kind:     hidden_global_offset_y
      - .offset:         928
        .size:           8
        .value_kind:     hidden_global_offset_z
      - .offset:         936
        .size:           2
        .value_kind:     hidden_grid_dims
    .group_segment_fixed_size: 0
    .kernarg_segment_align: 8
    .kernarg_segment_size: 1128
    .language:       OpenCL C
    .language_version:
      - 2
      - 0
    .max_flat_workgroup_size: 512
    .name:           _ZN2at4cuda12_GLOBAL__N_121kernelPointwiseApply2IZNS_6native9templates4cuda28bernoulli_tensor_cuda_kernelIddEEvRKNS_10TensorBaseES9_NS_15PhiloxCudaStateEEUliRdSB_SB_SB_RKdSD_SD_SD_E_dSC_mLin1ELin1ELi4ELi512ELi2EEEvNS0_6detail10TensorInfoIT0_T2_EENSG_IT1_SI_EESI_T_
    .private_segment_fixed_size: 0
    .sgpr_count:     72
    .sgpr_spill_count: 0
    .symbol:         _ZN2at4cuda12_GLOBAL__N_121kernelPointwiseApply2IZNS_6native9templates4cuda28bernoulli_tensor_cuda_kernelIddEEvRKNS_10TensorBaseES9_NS_15PhiloxCudaStateEEUliRdSB_SB_SB_RKdSD_SD_SD_E_dSC_mLin1ELin1ELi4ELi512ELi2EEEvNS0_6detail10TensorInfoIT0_T2_EENSG_IT1_SI_EESI_T_.kd
    .uniform_work_group_size: 1
    .uses_dynamic_stack: false
    .vgpr_count:     59
    .vgpr_spill_count: 0
    .wavefront_size: 64
  - .agpr_count:     0
    .args:
      - .offset:         0
        .size:           216
        .value_kind:     by_value
      - .offset:         216
        .size:           216
        .value_kind:     by_value
      - .offset:         432
        .size:           4
        .value_kind:     by_value
      - .offset:         440
        .size:           32
        .value_kind:     by_value
      - .offset:         472
        .size:           4
        .value_kind:     hidden_block_count_x
      - .offset:         476
        .size:           4
        .value_kind:     hidden_block_count_y
      - .offset:         480
        .size:           4
        .value_kind:     hidden_block_count_z
      - .offset:         484
        .size:           2
        .value_kind:     hidden_group_size_x
      - .offset:         486
        .size:           2
        .value_kind:     hidden_group_size_y
      - .offset:         488
        .size:           2
        .value_kind:     hidden_group_size_z
      - .offset:         490
        .size:           2
        .value_kind:     hidden_remainder_x
      - .offset:         492
        .size:           2
        .value_kind:     hidden_remainder_y
      - .offset:         494
        .size:           2
        .value_kind:     hidden_remainder_z
      - .offset:         512
        .size:           8
        .value_kind:     hidden_global_offset_x
      - .offset:         520
        .size:           8
        .value_kind:     hidden_global_offset_y
      - .offset:         528
        .size:           8
        .value_kind:     hidden_global_offset_z
      - .offset:         536
        .size:           2
        .value_kind:     hidden_grid_dims
    .group_segment_fixed_size: 0
    .kernarg_segment_align: 8
    .kernarg_segment_size: 728
    .language:       OpenCL C
    .language_version:
      - 2
      - 0
    .max_flat_workgroup_size: 512
    .name:           _ZN2at4cuda12_GLOBAL__N_121kernelPointwiseApply2IZNS_6native9templates4cuda28bernoulli_tensor_cuda_kernelIhfEEvRKNS_10TensorBaseES9_NS_15PhiloxCudaStateEEUliRhSB_SB_SB_RKfSD_SD_SD_E_hSC_jLi1ELi1ELi4ELi512ELi2EEEvNS0_6detail10TensorInfoIT0_T2_EENSG_IT1_SI_EESI_T_
    .private_segment_fixed_size: 0
    .sgpr_count:     62
    .sgpr_spill_count: 0
    .symbol:         _ZN2at4cuda12_GLOBAL__N_121kernelPointwiseApply2IZNS_6native9templates4cuda28bernoulli_tensor_cuda_kernelIhfEEvRKNS_10TensorBaseES9_NS_15PhiloxCudaStateEEUliRhSB_SB_SB_RKfSD_SD_SD_E_hSC_jLi1ELi1ELi4ELi512ELi2EEEvNS0_6detail10TensorInfoIT0_T2_EENSG_IT1_SI_EESI_T_.kd
    .uniform_work_group_size: 1
    .uses_dynamic_stack: false
    .vgpr_count:     50
    .vgpr_spill_count: 0
    .wavefront_size: 64
  - .agpr_count:     0
    .args:
      - .offset:         0
        .size:           216
        .value_kind:     by_value
      - .offset:         216
        .size:           216
        .value_kind:     by_value
      - .offset:         432
        .size:           4
        .value_kind:     by_value
      - .offset:         440
        .size:           32
        .value_kind:     by_value
      - .offset:         472
        .size:           4
        .value_kind:     hidden_block_count_x
      - .offset:         476
        .size:           4
        .value_kind:     hidden_block_count_y
      - .offset:         480
        .size:           4
        .value_kind:     hidden_block_count_z
      - .offset:         484
        .size:           2
        .value_kind:     hidden_group_size_x
      - .offset:         486
        .size:           2
        .value_kind:     hidden_group_size_y
      - .offset:         488
        .size:           2
        .value_kind:     hidden_group_size_z
      - .offset:         490
        .size:           2
        .value_kind:     hidden_remainder_x
      - .offset:         492
        .size:           2
        .value_kind:     hidden_remainder_y
      - .offset:         494
        .size:           2
        .value_kind:     hidden_remainder_z
      - .offset:         512
        .size:           8
        .value_kind:     hidden_global_offset_x
      - .offset:         520
        .size:           8
        .value_kind:     hidden_global_offset_y
      - .offset:         528
        .size:           8
        .value_kind:     hidden_global_offset_z
      - .offset:         536
        .size:           2
        .value_kind:     hidden_grid_dims
    .group_segment_fixed_size: 0
    .kernarg_segment_align: 8
    .kernarg_segment_size: 728
    .language:       OpenCL C
    .language_version:
      - 2
      - 0
    .max_flat_workgroup_size: 512
    .name:           _ZN2at4cuda12_GLOBAL__N_121kernelPointwiseApply2IZNS_6native9templates4cuda28bernoulli_tensor_cuda_kernelIhfEEvRKNS_10TensorBaseES9_NS_15PhiloxCudaStateEEUliRhSB_SB_SB_RKfSD_SD_SD_E_hSC_jLi1ELi2ELi4ELi512ELi2EEEvNS0_6detail10TensorInfoIT0_T2_EENSG_IT1_SI_EESI_T_
    .private_segment_fixed_size: 0
    .sgpr_count:     68
    .sgpr_spill_count: 0
    .symbol:         _ZN2at4cuda12_GLOBAL__N_121kernelPointwiseApply2IZNS_6native9templates4cuda28bernoulli_tensor_cuda_kernelIhfEEvRKNS_10TensorBaseES9_NS_15PhiloxCudaStateEEUliRhSB_SB_SB_RKfSD_SD_SD_E_hSC_jLi1ELi2ELi4ELi512ELi2EEEvNS0_6detail10TensorInfoIT0_T2_EENSG_IT1_SI_EESI_T_.kd
    .uniform_work_group_size: 1
    .uses_dynamic_stack: false
    .vgpr_count:     54
    .vgpr_spill_count: 0
    .wavefront_size: 64
  - .agpr_count:     0
    .args:
      - .offset:         0
        .size:           216
        .value_kind:     by_value
      - .offset:         216
        .size:           216
        .value_kind:     by_value
      - .offset:         432
        .size:           4
        .value_kind:     by_value
      - .offset:         440
        .size:           32
        .value_kind:     by_value
      - .offset:         472
        .size:           4
        .value_kind:     hidden_block_count_x
      - .offset:         476
        .size:           4
        .value_kind:     hidden_block_count_y
      - .offset:         480
        .size:           4
        .value_kind:     hidden_block_count_z
      - .offset:         484
        .size:           2
        .value_kind:     hidden_group_size_x
      - .offset:         486
        .size:           2
        .value_kind:     hidden_group_size_y
      - .offset:         488
        .size:           2
        .value_kind:     hidden_group_size_z
      - .offset:         490
        .size:           2
        .value_kind:     hidden_remainder_x
      - .offset:         492
        .size:           2
        .value_kind:     hidden_remainder_y
      - .offset:         494
        .size:           2
        .value_kind:     hidden_remainder_z
      - .offset:         512
        .size:           8
        .value_kind:     hidden_global_offset_x
      - .offset:         520
        .size:           8
        .value_kind:     hidden_global_offset_y
      - .offset:         528
        .size:           8
        .value_kind:     hidden_global_offset_z
      - .offset:         536
        .size:           2
        .value_kind:     hidden_grid_dims
    .group_segment_fixed_size: 0
    .kernarg_segment_align: 8
    .kernarg_segment_size: 728
    .language:       OpenCL C
    .language_version:
      - 2
      - 0
    .max_flat_workgroup_size: 512
    .name:           _ZN2at4cuda12_GLOBAL__N_121kernelPointwiseApply2IZNS_6native9templates4cuda28bernoulli_tensor_cuda_kernelIhfEEvRKNS_10TensorBaseES9_NS_15PhiloxCudaStateEEUliRhSB_SB_SB_RKfSD_SD_SD_E_hSC_jLi1ELin1ELi4ELi512ELi2EEEvNS0_6detail10TensorInfoIT0_T2_EENSG_IT1_SI_EESI_T_
    .private_segment_fixed_size: 0
    .sgpr_count:     71
    .sgpr_spill_count: 0
    .symbol:         _ZN2at4cuda12_GLOBAL__N_121kernelPointwiseApply2IZNS_6native9templates4cuda28bernoulli_tensor_cuda_kernelIhfEEvRKNS_10TensorBaseES9_NS_15PhiloxCudaStateEEUliRhSB_SB_SB_RKfSD_SD_SD_E_hSC_jLi1ELin1ELi4ELi512ELi2EEEvNS0_6detail10TensorInfoIT0_T2_EENSG_IT1_SI_EESI_T_.kd
    .uniform_work_group_size: 1
    .uses_dynamic_stack: false
    .vgpr_count:     51
    .vgpr_spill_count: 0
    .wavefront_size: 64
  - .agpr_count:     0
    .args:
      - .offset:         0
        .size:           216
        .value_kind:     by_value
      - .offset:         216
        .size:           216
        .value_kind:     by_value
      - .offset:         432
        .size:           4
        .value_kind:     by_value
      - .offset:         440
        .size:           32
        .value_kind:     by_value
      - .offset:         472
        .size:           4
        .value_kind:     hidden_block_count_x
      - .offset:         476
        .size:           4
        .value_kind:     hidden_block_count_y
      - .offset:         480
        .size:           4
        .value_kind:     hidden_block_count_z
      - .offset:         484
        .size:           2
        .value_kind:     hidden_group_size_x
      - .offset:         486
        .size:           2
        .value_kind:     hidden_group_size_y
      - .offset:         488
        .size:           2
        .value_kind:     hidden_group_size_z
      - .offset:         490
        .size:           2
        .value_kind:     hidden_remainder_x
      - .offset:         492
        .size:           2
        .value_kind:     hidden_remainder_y
      - .offset:         494
        .size:           2
        .value_kind:     hidden_remainder_z
      - .offset:         512
        .size:           8
        .value_kind:     hidden_global_offset_x
      - .offset:         520
        .size:           8
        .value_kind:     hidden_global_offset_y
      - .offset:         528
        .size:           8
        .value_kind:     hidden_global_offset_z
      - .offset:         536
        .size:           2
        .value_kind:     hidden_grid_dims
    .group_segment_fixed_size: 0
    .kernarg_segment_align: 8
    .kernarg_segment_size: 728
    .language:       OpenCL C
    .language_version:
      - 2
      - 0
    .max_flat_workgroup_size: 512
    .name:           _ZN2at4cuda12_GLOBAL__N_121kernelPointwiseApply2IZNS_6native9templates4cuda28bernoulli_tensor_cuda_kernelIhfEEvRKNS_10TensorBaseES9_NS_15PhiloxCudaStateEEUliRhSB_SB_SB_RKfSD_SD_SD_E_hSC_jLi2ELi1ELi4ELi512ELi2EEEvNS0_6detail10TensorInfoIT0_T2_EENSG_IT1_SI_EESI_T_
    .private_segment_fixed_size: 0
    .sgpr_count:     68
    .sgpr_spill_count: 0
    .symbol:         _ZN2at4cuda12_GLOBAL__N_121kernelPointwiseApply2IZNS_6native9templates4cuda28bernoulli_tensor_cuda_kernelIhfEEvRKNS_10TensorBaseES9_NS_15PhiloxCudaStateEEUliRhSB_SB_SB_RKfSD_SD_SD_E_hSC_jLi2ELi1ELi4ELi512ELi2EEEvNS0_6detail10TensorInfoIT0_T2_EENSG_IT1_SI_EESI_T_.kd
    .uniform_work_group_size: 1
    .uses_dynamic_stack: false
    .vgpr_count:     54
    .vgpr_spill_count: 0
    .wavefront_size: 64
  - .agpr_count:     0
    .args:
      - .offset:         0
        .size:           216
        .value_kind:     by_value
      - .offset:         216
        .size:           216
        .value_kind:     by_value
      - .offset:         432
        .size:           4
        .value_kind:     by_value
      - .offset:         440
        .size:           32
        .value_kind:     by_value
      - .offset:         472
        .size:           4
        .value_kind:     hidden_block_count_x
      - .offset:         476
        .size:           4
        .value_kind:     hidden_block_count_y
      - .offset:         480
        .size:           4
        .value_kind:     hidden_block_count_z
      - .offset:         484
        .size:           2
        .value_kind:     hidden_group_size_x
      - .offset:         486
        .size:           2
        .value_kind:     hidden_group_size_y
      - .offset:         488
        .size:           2
        .value_kind:     hidden_group_size_z
      - .offset:         490
        .size:           2
        .value_kind:     hidden_remainder_x
      - .offset:         492
        .size:           2
        .value_kind:     hidden_remainder_y
      - .offset:         494
        .size:           2
        .value_kind:     hidden_remainder_z
      - .offset:         512
        .size:           8
        .value_kind:     hidden_global_offset_x
      - .offset:         520
        .size:           8
        .value_kind:     hidden_global_offset_y
      - .offset:         528
        .size:           8
        .value_kind:     hidden_global_offset_z
      - .offset:         536
        .size:           2
        .value_kind:     hidden_grid_dims
    .group_segment_fixed_size: 0
    .kernarg_segment_align: 8
    .kernarg_segment_size: 728
    .language:       OpenCL C
    .language_version:
      - 2
      - 0
    .max_flat_workgroup_size: 512
    .name:           _ZN2at4cuda12_GLOBAL__N_121kernelPointwiseApply2IZNS_6native9templates4cuda28bernoulli_tensor_cuda_kernelIhfEEvRKNS_10TensorBaseES9_NS_15PhiloxCudaStateEEUliRhSB_SB_SB_RKfSD_SD_SD_E_hSC_jLi2ELi2ELi4ELi512ELi2EEEvNS0_6detail10TensorInfoIT0_T2_EENSG_IT1_SI_EESI_T_
    .private_segment_fixed_size: 0
    .sgpr_count:     66
    .sgpr_spill_count: 0
    .symbol:         _ZN2at4cuda12_GLOBAL__N_121kernelPointwiseApply2IZNS_6native9templates4cuda28bernoulli_tensor_cuda_kernelIhfEEvRKNS_10TensorBaseES9_NS_15PhiloxCudaStateEEUliRhSB_SB_SB_RKfSD_SD_SD_E_hSC_jLi2ELi2ELi4ELi512ELi2EEEvNS0_6detail10TensorInfoIT0_T2_EENSG_IT1_SI_EESI_T_.kd
    .uniform_work_group_size: 1
    .uses_dynamic_stack: false
    .vgpr_count:     55
    .vgpr_spill_count: 0
    .wavefront_size: 64
  - .agpr_count:     0
    .args:
      - .offset:         0
        .size:           216
        .value_kind:     by_value
      - .offset:         216
        .size:           216
        .value_kind:     by_value
      - .offset:         432
        .size:           4
        .value_kind:     by_value
      - .offset:         440
        .size:           32
        .value_kind:     by_value
      - .offset:         472
        .size:           4
        .value_kind:     hidden_block_count_x
      - .offset:         476
        .size:           4
        .value_kind:     hidden_block_count_y
      - .offset:         480
        .size:           4
        .value_kind:     hidden_block_count_z
      - .offset:         484
        .size:           2
        .value_kind:     hidden_group_size_x
      - .offset:         486
        .size:           2
        .value_kind:     hidden_group_size_y
      - .offset:         488
        .size:           2
        .value_kind:     hidden_group_size_z
      - .offset:         490
        .size:           2
        .value_kind:     hidden_remainder_x
      - .offset:         492
        .size:           2
        .value_kind:     hidden_remainder_y
      - .offset:         494
        .size:           2
        .value_kind:     hidden_remainder_z
      - .offset:         512
        .size:           8
        .value_kind:     hidden_global_offset_x
      - .offset:         520
        .size:           8
        .value_kind:     hidden_global_offset_y
      - .offset:         528
        .size:           8
        .value_kind:     hidden_global_offset_z
      - .offset:         536
        .size:           2
        .value_kind:     hidden_grid_dims
    .group_segment_fixed_size: 0
    .kernarg_segment_align: 8
    .kernarg_segment_size: 728
    .language:       OpenCL C
    .language_version:
      - 2
      - 0
    .max_flat_workgroup_size: 512
    .name:           _ZN2at4cuda12_GLOBAL__N_121kernelPointwiseApply2IZNS_6native9templates4cuda28bernoulli_tensor_cuda_kernelIhfEEvRKNS_10TensorBaseES9_NS_15PhiloxCudaStateEEUliRhSB_SB_SB_RKfSD_SD_SD_E_hSC_jLi2ELin1ELi4ELi512ELi2EEEvNS0_6detail10TensorInfoIT0_T2_EENSG_IT1_SI_EESI_T_
    .private_segment_fixed_size: 0
    .sgpr_count:     65
    .sgpr_spill_count: 0
    .symbol:         _ZN2at4cuda12_GLOBAL__N_121kernelPointwiseApply2IZNS_6native9templates4cuda28bernoulli_tensor_cuda_kernelIhfEEvRKNS_10TensorBaseES9_NS_15PhiloxCudaStateEEUliRhSB_SB_SB_RKfSD_SD_SD_E_hSC_jLi2ELin1ELi4ELi512ELi2EEEvNS0_6detail10TensorInfoIT0_T2_EENSG_IT1_SI_EESI_T_.kd
    .uniform_work_group_size: 1
    .uses_dynamic_stack: false
    .vgpr_count:     53
    .vgpr_spill_count: 0
    .wavefront_size: 64
  - .agpr_count:     0
    .args:
      - .offset:         0
        .size:           216
        .value_kind:     by_value
      - .offset:         216
        .size:           216
        .value_kind:     by_value
      - .offset:         432
        .size:           4
        .value_kind:     by_value
      - .offset:         440
        .size:           32
        .value_kind:     by_value
      - .offset:         472
        .size:           4
        .value_kind:     hidden_block_count_x
      - .offset:         476
        .size:           4
        .value_kind:     hidden_block_count_y
      - .offset:         480
        .size:           4
        .value_kind:     hidden_block_count_z
      - .offset:         484
        .size:           2
        .value_kind:     hidden_group_size_x
      - .offset:         486
        .size:           2
        .value_kind:     hidden_group_size_y
      - .offset:         488
        .size:           2
        .value_kind:     hidden_group_size_z
      - .offset:         490
        .size:           2
        .value_kind:     hidden_remainder_x
      - .offset:         492
        .size:           2
        .value_kind:     hidden_remainder_y
      - .offset:         494
        .size:           2
        .value_kind:     hidden_remainder_z
      - .offset:         512
        .size:           8
        .value_kind:     hidden_global_offset_x
      - .offset:         520
        .size:           8
        .value_kind:     hidden_global_offset_y
      - .offset:         528
        .size:           8
        .value_kind:     hidden_global_offset_z
      - .offset:         536
        .size:           2
        .value_kind:     hidden_grid_dims
    .group_segment_fixed_size: 0
    .kernarg_segment_align: 8
    .kernarg_segment_size: 728
    .language:       OpenCL C
    .language_version:
      - 2
      - 0
    .max_flat_workgroup_size: 512
    .name:           _ZN2at4cuda12_GLOBAL__N_121kernelPointwiseApply2IZNS_6native9templates4cuda28bernoulli_tensor_cuda_kernelIhfEEvRKNS_10TensorBaseES9_NS_15PhiloxCudaStateEEUliRhSB_SB_SB_RKfSD_SD_SD_E_hSC_jLin1ELi1ELi4ELi512ELi2EEEvNS0_6detail10TensorInfoIT0_T2_EENSG_IT1_SI_EESI_T_
    .private_segment_fixed_size: 0
    .sgpr_count:     73
    .sgpr_spill_count: 0
    .symbol:         _ZN2at4cuda12_GLOBAL__N_121kernelPointwiseApply2IZNS_6native9templates4cuda28bernoulli_tensor_cuda_kernelIhfEEvRKNS_10TensorBaseES9_NS_15PhiloxCudaStateEEUliRhSB_SB_SB_RKfSD_SD_SD_E_hSC_jLin1ELi1ELi4ELi512ELi2EEEvNS0_6detail10TensorInfoIT0_T2_EENSG_IT1_SI_EESI_T_.kd
    .uniform_work_group_size: 1
    .uses_dynamic_stack: false
    .vgpr_count:     51
    .vgpr_spill_count: 0
    .wavefront_size: 64
  - .agpr_count:     0
    .args:
      - .offset:         0
        .size:           216
        .value_kind:     by_value
      - .offset:         216
        .size:           216
        .value_kind:     by_value
      - .offset:         432
        .size:           4
        .value_kind:     by_value
      - .offset:         440
        .size:           32
        .value_kind:     by_value
      - .offset:         472
        .size:           4
        .value_kind:     hidden_block_count_x
      - .offset:         476
        .size:           4
        .value_kind:     hidden_block_count_y
      - .offset:         480
        .size:           4
        .value_kind:     hidden_block_count_z
      - .offset:         484
        .size:           2
        .value_kind:     hidden_group_size_x
      - .offset:         486
        .size:           2
        .value_kind:     hidden_group_size_y
      - .offset:         488
        .size:           2
        .value_kind:     hidden_group_size_z
      - .offset:         490
        .size:           2
        .value_kind:     hidden_remainder_x
      - .offset:         492
        .size:           2
        .value_kind:     hidden_remainder_y
      - .offset:         494
        .size:           2
        .value_kind:     hidden_remainder_z
      - .offset:         512
        .size:           8
        .value_kind:     hidden_global_offset_x
      - .offset:         520
        .size:           8
        .value_kind:     hidden_global_offset_y
      - .offset:         528
        .size:           8
        .value_kind:     hidden_global_offset_z
      - .offset:         536
        .size:           2
        .value_kind:     hidden_grid_dims
    .group_segment_fixed_size: 0
    .kernarg_segment_align: 8
    .kernarg_segment_size: 728
    .language:       OpenCL C
    .language_version:
      - 2
      - 0
    .max_flat_workgroup_size: 512
    .name:           _ZN2at4cuda12_GLOBAL__N_121kernelPointwiseApply2IZNS_6native9templates4cuda28bernoulli_tensor_cuda_kernelIhfEEvRKNS_10TensorBaseES9_NS_15PhiloxCudaStateEEUliRhSB_SB_SB_RKfSD_SD_SD_E_hSC_jLin1ELi2ELi4ELi512ELi2EEEvNS0_6detail10TensorInfoIT0_T2_EENSG_IT1_SI_EESI_T_
    .private_segment_fixed_size: 0
    .sgpr_count:     67
    .sgpr_spill_count: 0
    .symbol:         _ZN2at4cuda12_GLOBAL__N_121kernelPointwiseApply2IZNS_6native9templates4cuda28bernoulli_tensor_cuda_kernelIhfEEvRKNS_10TensorBaseES9_NS_15PhiloxCudaStateEEUliRhSB_SB_SB_RKfSD_SD_SD_E_hSC_jLin1ELi2ELi4ELi512ELi2EEEvNS0_6detail10TensorInfoIT0_T2_EENSG_IT1_SI_EESI_T_.kd
    .uniform_work_group_size: 1
    .uses_dynamic_stack: false
    .vgpr_count:     53
    .vgpr_spill_count: 0
    .wavefront_size: 64
  - .agpr_count:     0
    .args:
      - .offset:         0
        .size:           216
        .value_kind:     by_value
      - .offset:         216
        .size:           216
        .value_kind:     by_value
      - .offset:         432
        .size:           4
        .value_kind:     by_value
      - .offset:         440
        .size:           32
        .value_kind:     by_value
      - .offset:         472
        .size:           4
        .value_kind:     hidden_block_count_x
      - .offset:         476
        .size:           4
        .value_kind:     hidden_block_count_y
      - .offset:         480
        .size:           4
        .value_kind:     hidden_block_count_z
      - .offset:         484
        .size:           2
        .value_kind:     hidden_group_size_x
      - .offset:         486
        .size:           2
        .value_kind:     hidden_group_size_y
      - .offset:         488
        .size:           2
        .value_kind:     hidden_group_size_z
      - .offset:         490
        .size:           2
        .value_kind:     hidden_remainder_x
      - .offset:         492
        .size:           2
        .value_kind:     hidden_remainder_y
      - .offset:         494
        .size:           2
        .value_kind:     hidden_remainder_z
      - .offset:         512
        .size:           8
        .value_kind:     hidden_global_offset_x
      - .offset:         520
        .size:           8
        .value_kind:     hidden_global_offset_y
      - .offset:         528
        .size:           8
        .value_kind:     hidden_global_offset_z
      - .offset:         536
        .size:           2
        .value_kind:     hidden_grid_dims
    .group_segment_fixed_size: 0
    .kernarg_segment_align: 8
    .kernarg_segment_size: 728
    .language:       OpenCL C
    .language_version:
      - 2
      - 0
    .max_flat_workgroup_size: 512
    .name:           _ZN2at4cuda12_GLOBAL__N_121kernelPointwiseApply2IZNS_6native9templates4cuda28bernoulli_tensor_cuda_kernelIhfEEvRKNS_10TensorBaseES9_NS_15PhiloxCudaStateEEUliRhSB_SB_SB_RKfSD_SD_SD_E_hSC_jLin1ELin1ELi4ELi512ELi2EEEvNS0_6detail10TensorInfoIT0_T2_EENSG_IT1_SI_EESI_T_
    .private_segment_fixed_size: 0
    .sgpr_count:     68
    .sgpr_spill_count: 0
    .symbol:         _ZN2at4cuda12_GLOBAL__N_121kernelPointwiseApply2IZNS_6native9templates4cuda28bernoulli_tensor_cuda_kernelIhfEEvRKNS_10TensorBaseES9_NS_15PhiloxCudaStateEEUliRhSB_SB_SB_RKfSD_SD_SD_E_hSC_jLin1ELin1ELi4ELi512ELi2EEEvNS0_6detail10TensorInfoIT0_T2_EENSG_IT1_SI_EESI_T_.kd
    .uniform_work_group_size: 1
    .uses_dynamic_stack: false
    .vgpr_count:     52
    .vgpr_spill_count: 0
    .wavefront_size: 64
  - .agpr_count:     0
    .args:
      - .offset:         0
        .size:           416
        .value_kind:     by_value
      - .offset:         416
        .size:           416
        .value_kind:     by_value
      - .offset:         832
        .size:           8
        .value_kind:     by_value
      - .offset:         840
        .size:           32
        .value_kind:     by_value
      - .offset:         872
        .size:           4
        .value_kind:     hidden_block_count_x
      - .offset:         876
        .size:           4
        .value_kind:     hidden_block_count_y
      - .offset:         880
        .size:           4
        .value_kind:     hidden_block_count_z
      - .offset:         884
        .size:           2
        .value_kind:     hidden_group_size_x
      - .offset:         886
        .size:           2
        .value_kind:     hidden_group_size_y
      - .offset:         888
        .size:           2
        .value_kind:     hidden_group_size_z
      - .offset:         890
        .size:           2
        .value_kind:     hidden_remainder_x
      - .offset:         892
        .size:           2
        .value_kind:     hidden_remainder_y
      - .offset:         894
        .size:           2
        .value_kind:     hidden_remainder_z
      - .offset:         912
        .size:           8
        .value_kind:     hidden_global_offset_x
      - .offset:         920
        .size:           8
        .value_kind:     hidden_global_offset_y
      - .offset:         928
        .size:           8
        .value_kind:     hidden_global_offset_z
      - .offset:         936
        .size:           2
        .value_kind:     hidden_grid_dims
    .group_segment_fixed_size: 0
    .kernarg_segment_align: 8
    .kernarg_segment_size: 1128
    .language:       OpenCL C
    .language_version:
      - 2
      - 0
    .max_flat_workgroup_size: 512
    .name:           _ZN2at4cuda12_GLOBAL__N_121kernelPointwiseApply2IZNS_6native9templates4cuda28bernoulli_tensor_cuda_kernelIhfEEvRKNS_10TensorBaseES9_NS_15PhiloxCudaStateEEUliRhSB_SB_SB_RKfSD_SD_SD_E_hSC_mLi1ELi1ELi4ELi512ELi2EEEvNS0_6detail10TensorInfoIT0_T2_EENSG_IT1_SI_EESI_T_
    .private_segment_fixed_size: 0
    .sgpr_count:     68
    .sgpr_spill_count: 0
    .symbol:         _ZN2at4cuda12_GLOBAL__N_121kernelPointwiseApply2IZNS_6native9templates4cuda28bernoulli_tensor_cuda_kernelIhfEEvRKNS_10TensorBaseES9_NS_15PhiloxCudaStateEEUliRhSB_SB_SB_RKfSD_SD_SD_E_hSC_mLi1ELi1ELi4ELi512ELi2EEEvNS0_6detail10TensorInfoIT0_T2_EENSG_IT1_SI_EESI_T_.kd
    .uniform_work_group_size: 1
    .uses_dynamic_stack: false
    .vgpr_count:     58
    .vgpr_spill_count: 0
    .wavefront_size: 64
  - .agpr_count:     0
    .args:
      - .offset:         0
        .size:           416
        .value_kind:     by_value
      - .offset:         416
        .size:           416
        .value_kind:     by_value
      - .offset:         832
        .size:           8
        .value_kind:     by_value
      - .offset:         840
        .size:           32
        .value_kind:     by_value
      - .offset:         872
        .size:           4
        .value_kind:     hidden_block_count_x
      - .offset:         876
        .size:           4
        .value_kind:     hidden_block_count_y
      - .offset:         880
        .size:           4
        .value_kind:     hidden_block_count_z
      - .offset:         884
        .size:           2
        .value_kind:     hidden_group_size_x
      - .offset:         886
        .size:           2
        .value_kind:     hidden_group_size_y
      - .offset:         888
        .size:           2
        .value_kind:     hidden_group_size_z
      - .offset:         890
        .size:           2
        .value_kind:     hidden_remainder_x
      - .offset:         892
        .size:           2
        .value_kind:     hidden_remainder_y
      - .offset:         894
        .size:           2
        .value_kind:     hidden_remainder_z
      - .offset:         912
        .size:           8
        .value_kind:     hidden_global_offset_x
      - .offset:         920
        .size:           8
        .value_kind:     hidden_global_offset_y
      - .offset:         928
        .size:           8
        .value_kind:     hidden_global_offset_z
      - .offset:         936
        .size:           2
        .value_kind:     hidden_grid_dims
    .group_segment_fixed_size: 0
    .kernarg_segment_align: 8
    .kernarg_segment_size: 1128
    .language:       OpenCL C
    .language_version:
      - 2
      - 0
    .max_flat_workgroup_size: 512
    .name:           _ZN2at4cuda12_GLOBAL__N_121kernelPointwiseApply2IZNS_6native9templates4cuda28bernoulli_tensor_cuda_kernelIhfEEvRKNS_10TensorBaseES9_NS_15PhiloxCudaStateEEUliRhSB_SB_SB_RKfSD_SD_SD_E_hSC_mLin1ELin1ELi4ELi512ELi2EEEvNS0_6detail10TensorInfoIT0_T2_EENSG_IT1_SI_EESI_T_
    .private_segment_fixed_size: 0
    .sgpr_count:     72
    .sgpr_spill_count: 0
    .symbol:         _ZN2at4cuda12_GLOBAL__N_121kernelPointwiseApply2IZNS_6native9templates4cuda28bernoulli_tensor_cuda_kernelIhfEEvRKNS_10TensorBaseES9_NS_15PhiloxCudaStateEEUliRhSB_SB_SB_RKfSD_SD_SD_E_hSC_mLin1ELin1ELi4ELi512ELi2EEEvNS0_6detail10TensorInfoIT0_T2_EENSG_IT1_SI_EESI_T_.kd
    .uniform_work_group_size: 1
    .uses_dynamic_stack: false
    .vgpr_count:     57
    .vgpr_spill_count: 0
    .wavefront_size: 64
  - .agpr_count:     0
    .args:
      - .offset:         0
        .size:           216
        .value_kind:     by_value
      - .offset:         216
        .size:           216
        .value_kind:     by_value
      - .offset:         432
        .size:           4
        .value_kind:     by_value
      - .offset:         440
        .size:           32
        .value_kind:     by_value
      - .offset:         472
        .size:           4
        .value_kind:     hidden_block_count_x
      - .offset:         476
        .size:           4
        .value_kind:     hidden_block_count_y
      - .offset:         480
        .size:           4
        .value_kind:     hidden_block_count_z
      - .offset:         484
        .size:           2
        .value_kind:     hidden_group_size_x
      - .offset:         486
        .size:           2
        .value_kind:     hidden_group_size_y
      - .offset:         488
        .size:           2
        .value_kind:     hidden_group_size_z
      - .offset:         490
        .size:           2
        .value_kind:     hidden_remainder_x
      - .offset:         492
        .size:           2
        .value_kind:     hidden_remainder_y
      - .offset:         494
        .size:           2
        .value_kind:     hidden_remainder_z
      - .offset:         512
        .size:           8
        .value_kind:     hidden_global_offset_x
      - .offset:         520
        .size:           8
        .value_kind:     hidden_global_offset_y
      - .offset:         528
        .size:           8
        .value_kind:     hidden_global_offset_z
      - .offset:         536
        .size:           2
        .value_kind:     hidden_grid_dims
    .group_segment_fixed_size: 0
    .kernarg_segment_align: 8
    .kernarg_segment_size: 728
    .language:       OpenCL C
    .language_version:
      - 2
      - 0
    .max_flat_workgroup_size: 512
    .name:           _ZN2at4cuda12_GLOBAL__N_121kernelPointwiseApply2IZNS_6native9templates4cuda28bernoulli_tensor_cuda_kernelIafEEvRKNS_10TensorBaseES9_NS_15PhiloxCudaStateEEUliRaSB_SB_SB_RKfSD_SD_SD_E_aSC_jLi1ELi1ELi4ELi512ELi2EEEvNS0_6detail10TensorInfoIT0_T2_EENSG_IT1_SI_EESI_T_
    .private_segment_fixed_size: 0
    .sgpr_count:     62
    .sgpr_spill_count: 0
    .symbol:         _ZN2at4cuda12_GLOBAL__N_121kernelPointwiseApply2IZNS_6native9templates4cuda28bernoulli_tensor_cuda_kernelIafEEvRKNS_10TensorBaseES9_NS_15PhiloxCudaStateEEUliRaSB_SB_SB_RKfSD_SD_SD_E_aSC_jLi1ELi1ELi4ELi512ELi2EEEvNS0_6detail10TensorInfoIT0_T2_EENSG_IT1_SI_EESI_T_.kd
    .uniform_work_group_size: 1
    .uses_dynamic_stack: false
    .vgpr_count:     50
    .vgpr_spill_count: 0
    .wavefront_size: 64
  - .agpr_count:     0
    .args:
      - .offset:         0
        .size:           216
        .value_kind:     by_value
      - .offset:         216
        .size:           216
        .value_kind:     by_value
      - .offset:         432
        .size:           4
        .value_kind:     by_value
      - .offset:         440
        .size:           32
        .value_kind:     by_value
      - .offset:         472
        .size:           4
        .value_kind:     hidden_block_count_x
      - .offset:         476
        .size:           4
        .value_kind:     hidden_block_count_y
      - .offset:         480
        .size:           4
        .value_kind:     hidden_block_count_z
      - .offset:         484
        .size:           2
        .value_kind:     hidden_group_size_x
      - .offset:         486
        .size:           2
        .value_kind:     hidden_group_size_y
      - .offset:         488
        .size:           2
        .value_kind:     hidden_group_size_z
      - .offset:         490
        .size:           2
        .value_kind:     hidden_remainder_x
      - .offset:         492
        .size:           2
        .value_kind:     hidden_remainder_y
      - .offset:         494
        .size:           2
        .value_kind:     hidden_remainder_z
      - .offset:         512
        .size:           8
        .value_kind:     hidden_global_offset_x
      - .offset:         520
        .size:           8
        .value_kind:     hidden_global_offset_y
      - .offset:         528
        .size:           8
        .value_kind:     hidden_global_offset_z
      - .offset:         536
        .size:           2
        .value_kind:     hidden_grid_dims
    .group_segment_fixed_size: 0
    .kernarg_segment_align: 8
    .kernarg_segment_size: 728
    .language:       OpenCL C
    .language_version:
      - 2
      - 0
    .max_flat_workgroup_size: 512
    .name:           _ZN2at4cuda12_GLOBAL__N_121kernelPointwiseApply2IZNS_6native9templates4cuda28bernoulli_tensor_cuda_kernelIafEEvRKNS_10TensorBaseES9_NS_15PhiloxCudaStateEEUliRaSB_SB_SB_RKfSD_SD_SD_E_aSC_jLi1ELi2ELi4ELi512ELi2EEEvNS0_6detail10TensorInfoIT0_T2_EENSG_IT1_SI_EESI_T_
    .private_segment_fixed_size: 0
    .sgpr_count:     68
    .sgpr_spill_count: 0
    .symbol:         _ZN2at4cuda12_GLOBAL__N_121kernelPointwiseApply2IZNS_6native9templates4cuda28bernoulli_tensor_cuda_kernelIafEEvRKNS_10TensorBaseES9_NS_15PhiloxCudaStateEEUliRaSB_SB_SB_RKfSD_SD_SD_E_aSC_jLi1ELi2ELi4ELi512ELi2EEEvNS0_6detail10TensorInfoIT0_T2_EENSG_IT1_SI_EESI_T_.kd
    .uniform_work_group_size: 1
    .uses_dynamic_stack: false
    .vgpr_count:     54
    .vgpr_spill_count: 0
    .wavefront_size: 64
  - .agpr_count:     0
    .args:
      - .offset:         0
        .size:           216
        .value_kind:     by_value
      - .offset:         216
        .size:           216
        .value_kind:     by_value
      - .offset:         432
        .size:           4
        .value_kind:     by_value
      - .offset:         440
        .size:           32
        .value_kind:     by_value
      - .offset:         472
        .size:           4
        .value_kind:     hidden_block_count_x
      - .offset:         476
        .size:           4
        .value_kind:     hidden_block_count_y
      - .offset:         480
        .size:           4
        .value_kind:     hidden_block_count_z
      - .offset:         484
        .size:           2
        .value_kind:     hidden_group_size_x
      - .offset:         486
        .size:           2
        .value_kind:     hidden_group_size_y
      - .offset:         488
        .size:           2
        .value_kind:     hidden_group_size_z
      - .offset:         490
        .size:           2
        .value_kind:     hidden_remainder_x
      - .offset:         492
        .size:           2
        .value_kind:     hidden_remainder_y
      - .offset:         494
        .size:           2
        .value_kind:     hidden_remainder_z
      - .offset:         512
        .size:           8
        .value_kind:     hidden_global_offset_x
      - .offset:         520
        .size:           8
        .value_kind:     hidden_global_offset_y
      - .offset:         528
        .size:           8
        .value_kind:     hidden_global_offset_z
      - .offset:         536
        .size:           2
        .value_kind:     hidden_grid_dims
    .group_segment_fixed_size: 0
    .kernarg_segment_align: 8
    .kernarg_segment_size: 728
    .language:       OpenCL C
    .language_version:
      - 2
      - 0
    .max_flat_workgroup_size: 512
    .name:           _ZN2at4cuda12_GLOBAL__N_121kernelPointwiseApply2IZNS_6native9templates4cuda28bernoulli_tensor_cuda_kernelIafEEvRKNS_10TensorBaseES9_NS_15PhiloxCudaStateEEUliRaSB_SB_SB_RKfSD_SD_SD_E_aSC_jLi1ELin1ELi4ELi512ELi2EEEvNS0_6detail10TensorInfoIT0_T2_EENSG_IT1_SI_EESI_T_
    .private_segment_fixed_size: 0
    .sgpr_count:     71
    .sgpr_spill_count: 0
    .symbol:         _ZN2at4cuda12_GLOBAL__N_121kernelPointwiseApply2IZNS_6native9templates4cuda28bernoulli_tensor_cuda_kernelIafEEvRKNS_10TensorBaseES9_NS_15PhiloxCudaStateEEUliRaSB_SB_SB_RKfSD_SD_SD_E_aSC_jLi1ELin1ELi4ELi512ELi2EEEvNS0_6detail10TensorInfoIT0_T2_EENSG_IT1_SI_EESI_T_.kd
    .uniform_work_group_size: 1
    .uses_dynamic_stack: false
    .vgpr_count:     51
    .vgpr_spill_count: 0
    .wavefront_size: 64
  - .agpr_count:     0
    .args:
      - .offset:         0
        .size:           216
        .value_kind:     by_value
      - .offset:         216
        .size:           216
        .value_kind:     by_value
      - .offset:         432
        .size:           4
        .value_kind:     by_value
      - .offset:         440
        .size:           32
        .value_kind:     by_value
      - .offset:         472
        .size:           4
        .value_kind:     hidden_block_count_x
      - .offset:         476
        .size:           4
        .value_kind:     hidden_block_count_y
      - .offset:         480
        .size:           4
        .value_kind:     hidden_block_count_z
      - .offset:         484
        .size:           2
        .value_kind:     hidden_group_size_x
      - .offset:         486
        .size:           2
        .value_kind:     hidden_group_size_y
      - .offset:         488
        .size:           2
        .value_kind:     hidden_group_size_z
      - .offset:         490
        .size:           2
        .value_kind:     hidden_remainder_x
      - .offset:         492
        .size:           2
        .value_kind:     hidden_remainder_y
      - .offset:         494
        .size:           2
        .value_kind:     hidden_remainder_z
      - .offset:         512
        .size:           8
        .value_kind:     hidden_global_offset_x
      - .offset:         520
        .size:           8
        .value_kind:     hidden_global_offset_y
      - .offset:         528
        .size:           8
        .value_kind:     hidden_global_offset_z
      - .offset:         536
        .size:           2
        .value_kind:     hidden_grid_dims
    .group_segment_fixed_size: 0
    .kernarg_segment_align: 8
    .kernarg_segment_size: 728
    .language:       OpenCL C
    .language_version:
      - 2
      - 0
    .max_flat_workgroup_size: 512
    .name:           _ZN2at4cuda12_GLOBAL__N_121kernelPointwiseApply2IZNS_6native9templates4cuda28bernoulli_tensor_cuda_kernelIafEEvRKNS_10TensorBaseES9_NS_15PhiloxCudaStateEEUliRaSB_SB_SB_RKfSD_SD_SD_E_aSC_jLi2ELi1ELi4ELi512ELi2EEEvNS0_6detail10TensorInfoIT0_T2_EENSG_IT1_SI_EESI_T_
    .private_segment_fixed_size: 0
    .sgpr_count:     68
    .sgpr_spill_count: 0
    .symbol:         _ZN2at4cuda12_GLOBAL__N_121kernelPointwiseApply2IZNS_6native9templates4cuda28bernoulli_tensor_cuda_kernelIafEEvRKNS_10TensorBaseES9_NS_15PhiloxCudaStateEEUliRaSB_SB_SB_RKfSD_SD_SD_E_aSC_jLi2ELi1ELi4ELi512ELi2EEEvNS0_6detail10TensorInfoIT0_T2_EENSG_IT1_SI_EESI_T_.kd
    .uniform_work_group_size: 1
    .uses_dynamic_stack: false
    .vgpr_count:     54
    .vgpr_spill_count: 0
    .wavefront_size: 64
  - .agpr_count:     0
    .args:
      - .offset:         0
        .size:           216
        .value_kind:     by_value
      - .offset:         216
        .size:           216
        .value_kind:     by_value
      - .offset:         432
        .size:           4
        .value_kind:     by_value
      - .offset:         440
        .size:           32
        .value_kind:     by_value
      - .offset:         472
        .size:           4
        .value_kind:     hidden_block_count_x
      - .offset:         476
        .size:           4
        .value_kind:     hidden_block_count_y
      - .offset:         480
        .size:           4
        .value_kind:     hidden_block_count_z
      - .offset:         484
        .size:           2
        .value_kind:     hidden_group_size_x
      - .offset:         486
        .size:           2
        .value_kind:     hidden_group_size_y
      - .offset:         488
        .size:           2
        .value_kind:     hidden_group_size_z
      - .offset:         490
        .size:           2
        .value_kind:     hidden_remainder_x
      - .offset:         492
        .size:           2
        .value_kind:     hidden_remainder_y
      - .offset:         494
        .size:           2
        .value_kind:     hidden_remainder_z
      - .offset:         512
        .size:           8
        .value_kind:     hidden_global_offset_x
      - .offset:         520
        .size:           8
        .value_kind:     hidden_global_offset_y
      - .offset:         528
        .size:           8
        .value_kind:     hidden_global_offset_z
      - .offset:         536
        .size:           2
        .value_kind:     hidden_grid_dims
    .group_segment_fixed_size: 0
    .kernarg_segment_align: 8
    .kernarg_segment_size: 728
    .language:       OpenCL C
    .language_version:
      - 2
      - 0
    .max_flat_workgroup_size: 512
    .name:           _ZN2at4cuda12_GLOBAL__N_121kernelPointwiseApply2IZNS_6native9templates4cuda28bernoulli_tensor_cuda_kernelIafEEvRKNS_10TensorBaseES9_NS_15PhiloxCudaStateEEUliRaSB_SB_SB_RKfSD_SD_SD_E_aSC_jLi2ELi2ELi4ELi512ELi2EEEvNS0_6detail10TensorInfoIT0_T2_EENSG_IT1_SI_EESI_T_
    .private_segment_fixed_size: 0
    .sgpr_count:     66
    .sgpr_spill_count: 0
    .symbol:         _ZN2at4cuda12_GLOBAL__N_121kernelPointwiseApply2IZNS_6native9templates4cuda28bernoulli_tensor_cuda_kernelIafEEvRKNS_10TensorBaseES9_NS_15PhiloxCudaStateEEUliRaSB_SB_SB_RKfSD_SD_SD_E_aSC_jLi2ELi2ELi4ELi512ELi2EEEvNS0_6detail10TensorInfoIT0_T2_EENSG_IT1_SI_EESI_T_.kd
    .uniform_work_group_size: 1
    .uses_dynamic_stack: false
    .vgpr_count:     55
    .vgpr_spill_count: 0
    .wavefront_size: 64
  - .agpr_count:     0
    .args:
      - .offset:         0
        .size:           216
        .value_kind:     by_value
      - .offset:         216
        .size:           216
        .value_kind:     by_value
      - .offset:         432
        .size:           4
        .value_kind:     by_value
      - .offset:         440
        .size:           32
        .value_kind:     by_value
      - .offset:         472
        .size:           4
        .value_kind:     hidden_block_count_x
      - .offset:         476
        .size:           4
        .value_kind:     hidden_block_count_y
      - .offset:         480
        .size:           4
        .value_kind:     hidden_block_count_z
      - .offset:         484
        .size:           2
        .value_kind:     hidden_group_size_x
      - .offset:         486
        .size:           2
        .value_kind:     hidden_group_size_y
      - .offset:         488
        .size:           2
        .value_kind:     hidden_group_size_z
      - .offset:         490
        .size:           2
        .value_kind:     hidden_remainder_x
      - .offset:         492
        .size:           2
        .value_kind:     hidden_remainder_y
      - .offset:         494
        .size:           2
        .value_kind:     hidden_remainder_z
      - .offset:         512
        .size:           8
        .value_kind:     hidden_global_offset_x
      - .offset:         520
        .size:           8
        .value_kind:     hidden_global_offset_y
      - .offset:         528
        .size:           8
        .value_kind:     hidden_global_offset_z
      - .offset:         536
        .size:           2
        .value_kind:     hidden_grid_dims
    .group_segment_fixed_size: 0
    .kernarg_segment_align: 8
    .kernarg_segment_size: 728
    .language:       OpenCL C
    .language_version:
      - 2
      - 0
    .max_flat_workgroup_size: 512
    .name:           _ZN2at4cuda12_GLOBAL__N_121kernelPointwiseApply2IZNS_6native9templates4cuda28bernoulli_tensor_cuda_kernelIafEEvRKNS_10TensorBaseES9_NS_15PhiloxCudaStateEEUliRaSB_SB_SB_RKfSD_SD_SD_E_aSC_jLi2ELin1ELi4ELi512ELi2EEEvNS0_6detail10TensorInfoIT0_T2_EENSG_IT1_SI_EESI_T_
    .private_segment_fixed_size: 0
    .sgpr_count:     65
    .sgpr_spill_count: 0
    .symbol:         _ZN2at4cuda12_GLOBAL__N_121kernelPointwiseApply2IZNS_6native9templates4cuda28bernoulli_tensor_cuda_kernelIafEEvRKNS_10TensorBaseES9_NS_15PhiloxCudaStateEEUliRaSB_SB_SB_RKfSD_SD_SD_E_aSC_jLi2ELin1ELi4ELi512ELi2EEEvNS0_6detail10TensorInfoIT0_T2_EENSG_IT1_SI_EESI_T_.kd
    .uniform_work_group_size: 1
    .uses_dynamic_stack: false
    .vgpr_count:     53
    .vgpr_spill_count: 0
    .wavefront_size: 64
  - .agpr_count:     0
    .args:
      - .offset:         0
        .size:           216
        .value_kind:     by_value
      - .offset:         216
        .size:           216
        .value_kind:     by_value
      - .offset:         432
        .size:           4
        .value_kind:     by_value
      - .offset:         440
        .size:           32
        .value_kind:     by_value
      - .offset:         472
        .size:           4
        .value_kind:     hidden_block_count_x
      - .offset:         476
        .size:           4
        .value_kind:     hidden_block_count_y
      - .offset:         480
        .size:           4
        .value_kind:     hidden_block_count_z
      - .offset:         484
        .size:           2
        .value_kind:     hidden_group_size_x
      - .offset:         486
        .size:           2
        .value_kind:     hidden_group_size_y
      - .offset:         488
        .size:           2
        .value_kind:     hidden_group_size_z
      - .offset:         490
        .size:           2
        .value_kind:     hidden_remainder_x
      - .offset:         492
        .size:           2
        .value_kind:     hidden_remainder_y
      - .offset:         494
        .size:           2
        .value_kind:     hidden_remainder_z
      - .offset:         512
        .size:           8
        .value_kind:     hidden_global_offset_x
      - .offset:         520
        .size:           8
        .value_kind:     hidden_global_offset_y
      - .offset:         528
        .size:           8
        .value_kind:     hidden_global_offset_z
      - .offset:         536
        .size:           2
        .value_kind:     hidden_grid_dims
    .group_segment_fixed_size: 0
    .kernarg_segment_align: 8
    .kernarg_segment_size: 728
    .language:       OpenCL C
    .language_version:
      - 2
      - 0
    .max_flat_workgroup_size: 512
    .name:           _ZN2at4cuda12_GLOBAL__N_121kernelPointwiseApply2IZNS_6native9templates4cuda28bernoulli_tensor_cuda_kernelIafEEvRKNS_10TensorBaseES9_NS_15PhiloxCudaStateEEUliRaSB_SB_SB_RKfSD_SD_SD_E_aSC_jLin1ELi1ELi4ELi512ELi2EEEvNS0_6detail10TensorInfoIT0_T2_EENSG_IT1_SI_EESI_T_
    .private_segment_fixed_size: 0
    .sgpr_count:     73
    .sgpr_spill_count: 0
    .symbol:         _ZN2at4cuda12_GLOBAL__N_121kernelPointwiseApply2IZNS_6native9templates4cuda28bernoulli_tensor_cuda_kernelIafEEvRKNS_10TensorBaseES9_NS_15PhiloxCudaStateEEUliRaSB_SB_SB_RKfSD_SD_SD_E_aSC_jLin1ELi1ELi4ELi512ELi2EEEvNS0_6detail10TensorInfoIT0_T2_EENSG_IT1_SI_EESI_T_.kd
    .uniform_work_group_size: 1
    .uses_dynamic_stack: false
    .vgpr_count:     51
    .vgpr_spill_count: 0
    .wavefront_size: 64
  - .agpr_count:     0
    .args:
      - .offset:         0
        .size:           216
        .value_kind:     by_value
      - .offset:         216
        .size:           216
        .value_kind:     by_value
      - .offset:         432
        .size:           4
        .value_kind:     by_value
      - .offset:         440
        .size:           32
        .value_kind:     by_value
      - .offset:         472
        .size:           4
        .value_kind:     hidden_block_count_x
      - .offset:         476
        .size:           4
        .value_kind:     hidden_block_count_y
      - .offset:         480
        .size:           4
        .value_kind:     hidden_block_count_z
      - .offset:         484
        .size:           2
        .value_kind:     hidden_group_size_x
      - .offset:         486
        .size:           2
        .value_kind:     hidden_group_size_y
      - .offset:         488
        .size:           2
        .value_kind:     hidden_group_size_z
      - .offset:         490
        .size:           2
        .value_kind:     hidden_remainder_x
      - .offset:         492
        .size:           2
        .value_kind:     hidden_remainder_y
      - .offset:         494
        .size:           2
        .value_kind:     hidden_remainder_z
      - .offset:         512
        .size:           8
        .value_kind:     hidden_global_offset_x
      - .offset:         520
        .size:           8
        .value_kind:     hidden_global_offset_y
      - .offset:         528
        .size:           8
        .value_kind:     hidden_global_offset_z
      - .offset:         536
        .size:           2
        .value_kind:     hidden_grid_dims
    .group_segment_fixed_size: 0
    .kernarg_segment_align: 8
    .kernarg_segment_size: 728
    .language:       OpenCL C
    .language_version:
      - 2
      - 0
    .max_flat_workgroup_size: 512
    .name:           _ZN2at4cuda12_GLOBAL__N_121kernelPointwiseApply2IZNS_6native9templates4cuda28bernoulli_tensor_cuda_kernelIafEEvRKNS_10TensorBaseES9_NS_15PhiloxCudaStateEEUliRaSB_SB_SB_RKfSD_SD_SD_E_aSC_jLin1ELi2ELi4ELi512ELi2EEEvNS0_6detail10TensorInfoIT0_T2_EENSG_IT1_SI_EESI_T_
    .private_segment_fixed_size: 0
    .sgpr_count:     67
    .sgpr_spill_count: 0
    .symbol:         _ZN2at4cuda12_GLOBAL__N_121kernelPointwiseApply2IZNS_6native9templates4cuda28bernoulli_tensor_cuda_kernelIafEEvRKNS_10TensorBaseES9_NS_15PhiloxCudaStateEEUliRaSB_SB_SB_RKfSD_SD_SD_E_aSC_jLin1ELi2ELi4ELi512ELi2EEEvNS0_6detail10TensorInfoIT0_T2_EENSG_IT1_SI_EESI_T_.kd
    .uniform_work_group_size: 1
    .uses_dynamic_stack: false
    .vgpr_count:     53
    .vgpr_spill_count: 0
    .wavefront_size: 64
  - .agpr_count:     0
    .args:
      - .offset:         0
        .size:           216
        .value_kind:     by_value
      - .offset:         216
        .size:           216
        .value_kind:     by_value
      - .offset:         432
        .size:           4
        .value_kind:     by_value
      - .offset:         440
        .size:           32
        .value_kind:     by_value
      - .offset:         472
        .size:           4
        .value_kind:     hidden_block_count_x
      - .offset:         476
        .size:           4
        .value_kind:     hidden_block_count_y
      - .offset:         480
        .size:           4
        .value_kind:     hidden_block_count_z
      - .offset:         484
        .size:           2
        .value_kind:     hidden_group_size_x
      - .offset:         486
        .size:           2
        .value_kind:     hidden_group_size_y
      - .offset:         488
        .size:           2
        .value_kind:     hidden_group_size_z
      - .offset:         490
        .size:           2
        .value_kind:     hidden_remainder_x
      - .offset:         492
        .size:           2
        .value_kind:     hidden_remainder_y
      - .offset:         494
        .size:           2
        .value_kind:     hidden_remainder_z
      - .offset:         512
        .size:           8
        .value_kind:     hidden_global_offset_x
      - .offset:         520
        .size:           8
        .value_kind:     hidden_global_offset_y
      - .offset:         528
        .size:           8
        .value_kind:     hidden_global_offset_z
      - .offset:         536
        .size:           2
        .value_kind:     hidden_grid_dims
    .group_segment_fixed_size: 0
    .kernarg_segment_align: 8
    .kernarg_segment_size: 728
    .language:       OpenCL C
    .language_version:
      - 2
      - 0
    .max_flat_workgroup_size: 512
    .name:           _ZN2at4cuda12_GLOBAL__N_121kernelPointwiseApply2IZNS_6native9templates4cuda28bernoulli_tensor_cuda_kernelIafEEvRKNS_10TensorBaseES9_NS_15PhiloxCudaStateEEUliRaSB_SB_SB_RKfSD_SD_SD_E_aSC_jLin1ELin1ELi4ELi512ELi2EEEvNS0_6detail10TensorInfoIT0_T2_EENSG_IT1_SI_EESI_T_
    .private_segment_fixed_size: 0
    .sgpr_count:     68
    .sgpr_spill_count: 0
    .symbol:         _ZN2at4cuda12_GLOBAL__N_121kernelPointwiseApply2IZNS_6native9templates4cuda28bernoulli_tensor_cuda_kernelIafEEvRKNS_10TensorBaseES9_NS_15PhiloxCudaStateEEUliRaSB_SB_SB_RKfSD_SD_SD_E_aSC_jLin1ELin1ELi4ELi512ELi2EEEvNS0_6detail10TensorInfoIT0_T2_EENSG_IT1_SI_EESI_T_.kd
    .uniform_work_group_size: 1
    .uses_dynamic_stack: false
    .vgpr_count:     52
    .vgpr_spill_count: 0
    .wavefront_size: 64
  - .agpr_count:     0
    .args:
      - .offset:         0
        .size:           416
        .value_kind:     by_value
      - .offset:         416
        .size:           416
        .value_kind:     by_value
      - .offset:         832
        .size:           8
        .value_kind:     by_value
      - .offset:         840
        .size:           32
        .value_kind:     by_value
      - .offset:         872
        .size:           4
        .value_kind:     hidden_block_count_x
      - .offset:         876
        .size:           4
        .value_kind:     hidden_block_count_y
      - .offset:         880
        .size:           4
        .value_kind:     hidden_block_count_z
      - .offset:         884
        .size:           2
        .value_kind:     hidden_group_size_x
      - .offset:         886
        .size:           2
        .value_kind:     hidden_group_size_y
      - .offset:         888
        .size:           2
        .value_kind:     hidden_group_size_z
      - .offset:         890
        .size:           2
        .value_kind:     hidden_remainder_x
      - .offset:         892
        .size:           2
        .value_kind:     hidden_remainder_y
      - .offset:         894
        .size:           2
        .value_kind:     hidden_remainder_z
      - .offset:         912
        .size:           8
        .value_kind:     hidden_global_offset_x
      - .offset:         920
        .size:           8
        .value_kind:     hidden_global_offset_y
      - .offset:         928
        .size:           8
        .value_kind:     hidden_global_offset_z
      - .offset:         936
        .size:           2
        .value_kind:     hidden_grid_dims
    .group_segment_fixed_size: 0
    .kernarg_segment_align: 8
    .kernarg_segment_size: 1128
    .language:       OpenCL C
    .language_version:
      - 2
      - 0
    .max_flat_workgroup_size: 512
    .name:           _ZN2at4cuda12_GLOBAL__N_121kernelPointwiseApply2IZNS_6native9templates4cuda28bernoulli_tensor_cuda_kernelIafEEvRKNS_10TensorBaseES9_NS_15PhiloxCudaStateEEUliRaSB_SB_SB_RKfSD_SD_SD_E_aSC_mLi1ELi1ELi4ELi512ELi2EEEvNS0_6detail10TensorInfoIT0_T2_EENSG_IT1_SI_EESI_T_
    .private_segment_fixed_size: 0
    .sgpr_count:     68
    .sgpr_spill_count: 0
    .symbol:         _ZN2at4cuda12_GLOBAL__N_121kernelPointwiseApply2IZNS_6native9templates4cuda28bernoulli_tensor_cuda_kernelIafEEvRKNS_10TensorBaseES9_NS_15PhiloxCudaStateEEUliRaSB_SB_SB_RKfSD_SD_SD_E_aSC_mLi1ELi1ELi4ELi512ELi2EEEvNS0_6detail10TensorInfoIT0_T2_EENSG_IT1_SI_EESI_T_.kd
    .uniform_work_group_size: 1
    .uses_dynamic_stack: false
    .vgpr_count:     58
    .vgpr_spill_count: 0
    .wavefront_size: 64
  - .agpr_count:     0
    .args:
      - .offset:         0
        .size:           416
        .value_kind:     by_value
      - .offset:         416
        .size:           416
        .value_kind:     by_value
      - .offset:         832
        .size:           8
        .value_kind:     by_value
      - .offset:         840
        .size:           32
        .value_kind:     by_value
      - .offset:         872
        .size:           4
        .value_kind:     hidden_block_count_x
      - .offset:         876
        .size:           4
        .value_kind:     hidden_block_count_y
      - .offset:         880
        .size:           4
        .value_kind:     hidden_block_count_z
      - .offset:         884
        .size:           2
        .value_kind:     hidden_group_size_x
      - .offset:         886
        .size:           2
        .value_kind:     hidden_group_size_y
      - .offset:         888
        .size:           2
        .value_kind:     hidden_group_size_z
      - .offset:         890
        .size:           2
        .value_kind:     hidden_remainder_x
      - .offset:         892
        .size:           2
        .value_kind:     hidden_remainder_y
      - .offset:         894
        .size:           2
        .value_kind:     hidden_remainder_z
      - .offset:         912
        .size:           8
        .value_kind:     hidden_global_offset_x
      - .offset:         920
        .size:           8
        .value_kind:     hidden_global_offset_y
      - .offset:         928
        .size:           8
        .value_kind:     hidden_global_offset_z
      - .offset:         936
        .size:           2
        .value_kind:     hidden_grid_dims
    .group_segment_fixed_size: 0
    .kernarg_segment_align: 8
    .kernarg_segment_size: 1128
    .language:       OpenCL C
    .language_version:
      - 2
      - 0
    .max_flat_workgroup_size: 512
    .name:           _ZN2at4cuda12_GLOBAL__N_121kernelPointwiseApply2IZNS_6native9templates4cuda28bernoulli_tensor_cuda_kernelIafEEvRKNS_10TensorBaseES9_NS_15PhiloxCudaStateEEUliRaSB_SB_SB_RKfSD_SD_SD_E_aSC_mLin1ELin1ELi4ELi512ELi2EEEvNS0_6detail10TensorInfoIT0_T2_EENSG_IT1_SI_EESI_T_
    .private_segment_fixed_size: 0
    .sgpr_count:     72
    .sgpr_spill_count: 0
    .symbol:         _ZN2at4cuda12_GLOBAL__N_121kernelPointwiseApply2IZNS_6native9templates4cuda28bernoulli_tensor_cuda_kernelIafEEvRKNS_10TensorBaseES9_NS_15PhiloxCudaStateEEUliRaSB_SB_SB_RKfSD_SD_SD_E_aSC_mLin1ELin1ELi4ELi512ELi2EEEvNS0_6detail10TensorInfoIT0_T2_EENSG_IT1_SI_EESI_T_.kd
    .uniform_work_group_size: 1
    .uses_dynamic_stack: false
    .vgpr_count:     57
    .vgpr_spill_count: 0
    .wavefront_size: 64
  - .agpr_count:     0
    .args:
      - .offset:         0
        .size:           216
        .value_kind:     by_value
      - .offset:         216
        .size:           216
        .value_kind:     by_value
      - .offset:         432
        .size:           4
        .value_kind:     by_value
      - .offset:         440
        .size:           32
        .value_kind:     by_value
      - .offset:         472
        .size:           4
        .value_kind:     hidden_block_count_x
      - .offset:         476
        .size:           4
        .value_kind:     hidden_block_count_y
      - .offset:         480
        .size:           4
        .value_kind:     hidden_block_count_z
      - .offset:         484
        .size:           2
        .value_kind:     hidden_group_size_x
      - .offset:         486
        .size:           2
        .value_kind:     hidden_group_size_y
      - .offset:         488
        .size:           2
        .value_kind:     hidden_group_size_z
      - .offset:         490
        .size:           2
        .value_kind:     hidden_remainder_x
      - .offset:         492
        .size:           2
        .value_kind:     hidden_remainder_y
      - .offset:         494
        .size:           2
        .value_kind:     hidden_remainder_z
      - .offset:         512
        .size:           8
        .value_kind:     hidden_global_offset_x
      - .offset:         520
        .size:           8
        .value_kind:     hidden_global_offset_y
      - .offset:         528
        .size:           8
        .value_kind:     hidden_global_offset_z
      - .offset:         536
        .size:           2
        .value_kind:     hidden_grid_dims
    .group_segment_fixed_size: 0
    .kernarg_segment_align: 8
    .kernarg_segment_size: 728
    .language:       OpenCL C
    .language_version:
      - 2
      - 0
    .max_flat_workgroup_size: 512
    .name:           _ZN2at4cuda12_GLOBAL__N_121kernelPointwiseApply2IZNS_6native9templates4cuda28bernoulli_tensor_cuda_kernelIifEEvRKNS_10TensorBaseES9_NS_15PhiloxCudaStateEEUliRiSB_SB_SB_RKfSD_SD_SD_E_iSC_jLi1ELi1ELi4ELi512ELi2EEEvNS0_6detail10TensorInfoIT0_T2_EENSG_IT1_SI_EESI_T_
    .private_segment_fixed_size: 0
    .sgpr_count:     65
    .sgpr_spill_count: 0
    .symbol:         _ZN2at4cuda12_GLOBAL__N_121kernelPointwiseApply2IZNS_6native9templates4cuda28bernoulli_tensor_cuda_kernelIifEEvRKNS_10TensorBaseES9_NS_15PhiloxCudaStateEEUliRiSB_SB_SB_RKfSD_SD_SD_E_iSC_jLi1ELi1ELi4ELi512ELi2EEEvNS0_6detail10TensorInfoIT0_T2_EENSG_IT1_SI_EESI_T_.kd
    .uniform_work_group_size: 1
    .uses_dynamic_stack: false
    .vgpr_count:     53
    .vgpr_spill_count: 0
    .wavefront_size: 64
  - .agpr_count:     0
    .args:
      - .offset:         0
        .size:           216
        .value_kind:     by_value
      - .offset:         216
        .size:           216
        .value_kind:     by_value
      - .offset:         432
        .size:           4
        .value_kind:     by_value
      - .offset:         440
        .size:           32
        .value_kind:     by_value
      - .offset:         472
        .size:           4
        .value_kind:     hidden_block_count_x
      - .offset:         476
        .size:           4
        .value_kind:     hidden_block_count_y
      - .offset:         480
        .size:           4
        .value_kind:     hidden_block_count_z
      - .offset:         484
        .size:           2
        .value_kind:     hidden_group_size_x
      - .offset:         486
        .size:           2
        .value_kind:     hidden_group_size_y
      - .offset:         488
        .size:           2
        .value_kind:     hidden_group_size_z
      - .offset:         490
        .size:           2
        .value_kind:     hidden_remainder_x
      - .offset:         492
        .size:           2
        .value_kind:     hidden_remainder_y
      - .offset:         494
        .size:           2
        .value_kind:     hidden_remainder_z
      - .offset:         512
        .size:           8
        .value_kind:     hidden_global_offset_x
      - .offset:         520
        .size:           8
        .value_kind:     hidden_global_offset_y
      - .offset:         528
        .size:           8
        .value_kind:     hidden_global_offset_z
      - .offset:         536
        .size:           2
        .value_kind:     hidden_grid_dims
    .group_segment_fixed_size: 0
    .kernarg_segment_align: 8
    .kernarg_segment_size: 728
    .language:       OpenCL C
    .language_version:
      - 2
      - 0
    .max_flat_workgroup_size: 512
    .name:           _ZN2at4cuda12_GLOBAL__N_121kernelPointwiseApply2IZNS_6native9templates4cuda28bernoulli_tensor_cuda_kernelIifEEvRKNS_10TensorBaseES9_NS_15PhiloxCudaStateEEUliRiSB_SB_SB_RKfSD_SD_SD_E_iSC_jLi1ELi2ELi4ELi512ELi2EEEvNS0_6detail10TensorInfoIT0_T2_EENSG_IT1_SI_EESI_T_
    .private_segment_fixed_size: 0
    .sgpr_count:     68
    .sgpr_spill_count: 0
    .symbol:         _ZN2at4cuda12_GLOBAL__N_121kernelPointwiseApply2IZNS_6native9templates4cuda28bernoulli_tensor_cuda_kernelIifEEvRKNS_10TensorBaseES9_NS_15PhiloxCudaStateEEUliRiSB_SB_SB_RKfSD_SD_SD_E_iSC_jLi1ELi2ELi4ELi512ELi2EEEvNS0_6detail10TensorInfoIT0_T2_EENSG_IT1_SI_EESI_T_.kd
    .uniform_work_group_size: 1
    .uses_dynamic_stack: false
    .vgpr_count:     51
    .vgpr_spill_count: 0
    .wavefront_size: 64
  - .agpr_count:     0
    .args:
      - .offset:         0
        .size:           216
        .value_kind:     by_value
      - .offset:         216
        .size:           216
        .value_kind:     by_value
      - .offset:         432
        .size:           4
        .value_kind:     by_value
      - .offset:         440
        .size:           32
        .value_kind:     by_value
      - .offset:         472
        .size:           4
        .value_kind:     hidden_block_count_x
      - .offset:         476
        .size:           4
        .value_kind:     hidden_block_count_y
      - .offset:         480
        .size:           4
        .value_kind:     hidden_block_count_z
      - .offset:         484
        .size:           2
        .value_kind:     hidden_group_size_x
      - .offset:         486
        .size:           2
        .value_kind:     hidden_group_size_y
      - .offset:         488
        .size:           2
        .value_kind:     hidden_group_size_z
      - .offset:         490
        .size:           2
        .value_kind:     hidden_remainder_x
      - .offset:         492
        .size:           2
        .value_kind:     hidden_remainder_y
      - .offset:         494
        .size:           2
        .value_kind:     hidden_remainder_z
      - .offset:         512
        .size:           8
        .value_kind:     hidden_global_offset_x
      - .offset:         520
        .size:           8
        .value_kind:     hidden_global_offset_y
      - .offset:         528
        .size:           8
        .value_kind:     hidden_global_offset_z
      - .offset:         536
        .size:           2
        .value_kind:     hidden_grid_dims
    .group_segment_fixed_size: 0
    .kernarg_segment_align: 8
    .kernarg_segment_size: 728
    .language:       OpenCL C
    .language_version:
      - 2
      - 0
    .max_flat_workgroup_size: 512
    .name:           _ZN2at4cuda12_GLOBAL__N_121kernelPointwiseApply2IZNS_6native9templates4cuda28bernoulli_tensor_cuda_kernelIifEEvRKNS_10TensorBaseES9_NS_15PhiloxCudaStateEEUliRiSB_SB_SB_RKfSD_SD_SD_E_iSC_jLi1ELin1ELi4ELi512ELi2EEEvNS0_6detail10TensorInfoIT0_T2_EENSG_IT1_SI_EESI_T_
    .private_segment_fixed_size: 0
    .sgpr_count:     71
    .sgpr_spill_count: 0
    .symbol:         _ZN2at4cuda12_GLOBAL__N_121kernelPointwiseApply2IZNS_6native9templates4cuda28bernoulli_tensor_cuda_kernelIifEEvRKNS_10TensorBaseES9_NS_15PhiloxCudaStateEEUliRiSB_SB_SB_RKfSD_SD_SD_E_iSC_jLi1ELin1ELi4ELi512ELi2EEEvNS0_6detail10TensorInfoIT0_T2_EENSG_IT1_SI_EESI_T_.kd
    .uniform_work_group_size: 1
    .uses_dynamic_stack: false
    .vgpr_count:     49
    .vgpr_spill_count: 0
    .wavefront_size: 64
  - .agpr_count:     0
    .args:
      - .offset:         0
        .size:           216
        .value_kind:     by_value
      - .offset:         216
        .size:           216
        .value_kind:     by_value
      - .offset:         432
        .size:           4
        .value_kind:     by_value
      - .offset:         440
        .size:           32
        .value_kind:     by_value
      - .offset:         472
        .size:           4
        .value_kind:     hidden_block_count_x
      - .offset:         476
        .size:           4
        .value_kind:     hidden_block_count_y
      - .offset:         480
        .size:           4
        .value_kind:     hidden_block_count_z
      - .offset:         484
        .size:           2
        .value_kind:     hidden_group_size_x
      - .offset:         486
        .size:           2
        .value_kind:     hidden_group_size_y
      - .offset:         488
        .size:           2
        .value_kind:     hidden_group_size_z
      - .offset:         490
        .size:           2
        .value_kind:     hidden_remainder_x
      - .offset:         492
        .size:           2
        .value_kind:     hidden_remainder_y
      - .offset:         494
        .size:           2
        .value_kind:     hidden_remainder_z
      - .offset:         512
        .size:           8
        .value_kind:     hidden_global_offset_x
      - .offset:         520
        .size:           8
        .value_kind:     hidden_global_offset_y
      - .offset:         528
        .size:           8
        .value_kind:     hidden_global_offset_z
      - .offset:         536
        .size:           2
        .value_kind:     hidden_grid_dims
    .group_segment_fixed_size: 0
    .kernarg_segment_align: 8
    .kernarg_segment_size: 728
    .language:       OpenCL C
    .language_version:
      - 2
      - 0
    .max_flat_workgroup_size: 512
    .name:           _ZN2at4cuda12_GLOBAL__N_121kernelPointwiseApply2IZNS_6native9templates4cuda28bernoulli_tensor_cuda_kernelIifEEvRKNS_10TensorBaseES9_NS_15PhiloxCudaStateEEUliRiSB_SB_SB_RKfSD_SD_SD_E_iSC_jLi2ELi1ELi4ELi512ELi2EEEvNS0_6detail10TensorInfoIT0_T2_EENSG_IT1_SI_EESI_T_
    .private_segment_fixed_size: 0
    .sgpr_count:     64
    .sgpr_spill_count: 0
    .symbol:         _ZN2at4cuda12_GLOBAL__N_121kernelPointwiseApply2IZNS_6native9templates4cuda28bernoulli_tensor_cuda_kernelIifEEvRKNS_10TensorBaseES9_NS_15PhiloxCudaStateEEUliRiSB_SB_SB_RKfSD_SD_SD_E_iSC_jLi2ELi1ELi4ELi512ELi2EEEvNS0_6detail10TensorInfoIT0_T2_EENSG_IT1_SI_EESI_T_.kd
    .uniform_work_group_size: 1
    .uses_dynamic_stack: false
    .vgpr_count:     57
    .vgpr_spill_count: 0
    .wavefront_size: 64
  - .agpr_count:     0
    .args:
      - .offset:         0
        .size:           216
        .value_kind:     by_value
      - .offset:         216
        .size:           216
        .value_kind:     by_value
      - .offset:         432
        .size:           4
        .value_kind:     by_value
      - .offset:         440
        .size:           32
        .value_kind:     by_value
      - .offset:         472
        .size:           4
        .value_kind:     hidden_block_count_x
      - .offset:         476
        .size:           4
        .value_kind:     hidden_block_count_y
      - .offset:         480
        .size:           4
        .value_kind:     hidden_block_count_z
      - .offset:         484
        .size:           2
        .value_kind:     hidden_group_size_x
      - .offset:         486
        .size:           2
        .value_kind:     hidden_group_size_y
      - .offset:         488
        .size:           2
        .value_kind:     hidden_group_size_z
      - .offset:         490
        .size:           2
        .value_kind:     hidden_remainder_x
      - .offset:         492
        .size:           2
        .value_kind:     hidden_remainder_y
      - .offset:         494
        .size:           2
        .value_kind:     hidden_remainder_z
      - .offset:         512
        .size:           8
        .value_kind:     hidden_global_offset_x
      - .offset:         520
        .size:           8
        .value_kind:     hidden_global_offset_y
      - .offset:         528
        .size:           8
        .value_kind:     hidden_global_offset_z
      - .offset:         536
        .size:           2
        .value_kind:     hidden_grid_dims
    .group_segment_fixed_size: 0
    .kernarg_segment_align: 8
    .kernarg_segment_size: 728
    .language:       OpenCL C
    .language_version:
      - 2
      - 0
    .max_flat_workgroup_size: 512
    .name:           _ZN2at4cuda12_GLOBAL__N_121kernelPointwiseApply2IZNS_6native9templates4cuda28bernoulli_tensor_cuda_kernelIifEEvRKNS_10TensorBaseES9_NS_15PhiloxCudaStateEEUliRiSB_SB_SB_RKfSD_SD_SD_E_iSC_jLi2ELi2ELi4ELi512ELi2EEEvNS0_6detail10TensorInfoIT0_T2_EENSG_IT1_SI_EESI_T_
    .private_segment_fixed_size: 0
    .sgpr_count:     66
    .sgpr_spill_count: 0
    .symbol:         _ZN2at4cuda12_GLOBAL__N_121kernelPointwiseApply2IZNS_6native9templates4cuda28bernoulli_tensor_cuda_kernelIifEEvRKNS_10TensorBaseES9_NS_15PhiloxCudaStateEEUliRiSB_SB_SB_RKfSD_SD_SD_E_iSC_jLi2ELi2ELi4ELi512ELi2EEEvNS0_6detail10TensorInfoIT0_T2_EENSG_IT1_SI_EESI_T_.kd
    .uniform_work_group_size: 1
    .uses_dynamic_stack: false
    .vgpr_count:     53
    .vgpr_spill_count: 0
    .wavefront_size: 64
  - .agpr_count:     0
    .args:
      - .offset:         0
        .size:           216
        .value_kind:     by_value
      - .offset:         216
        .size:           216
        .value_kind:     by_value
      - .offset:         432
        .size:           4
        .value_kind:     by_value
      - .offset:         440
        .size:           32
        .value_kind:     by_value
      - .offset:         472
        .size:           4
        .value_kind:     hidden_block_count_x
      - .offset:         476
        .size:           4
        .value_kind:     hidden_block_count_y
      - .offset:         480
        .size:           4
        .value_kind:     hidden_block_count_z
      - .offset:         484
        .size:           2
        .value_kind:     hidden_group_size_x
      - .offset:         486
        .size:           2
        .value_kind:     hidden_group_size_y
      - .offset:         488
        .size:           2
        .value_kind:     hidden_group_size_z
      - .offset:         490
        .size:           2
        .value_kind:     hidden_remainder_x
      - .offset:         492
        .size:           2
        .value_kind:     hidden_remainder_y
      - .offset:         494
        .size:           2
        .value_kind:     hidden_remainder_z
      - .offset:         512
        .size:           8
        .value_kind:     hidden_global_offset_x
      - .offset:         520
        .size:           8
        .value_kind:     hidden_global_offset_y
      - .offset:         528
        .size:           8
        .value_kind:     hidden_global_offset_z
      - .offset:         536
        .size:           2
        .value_kind:     hidden_grid_dims
    .group_segment_fixed_size: 0
    .kernarg_segment_align: 8
    .kernarg_segment_size: 728
    .language:       OpenCL C
    .language_version:
      - 2
      - 0
    .max_flat_workgroup_size: 512
    .name:           _ZN2at4cuda12_GLOBAL__N_121kernelPointwiseApply2IZNS_6native9templates4cuda28bernoulli_tensor_cuda_kernelIifEEvRKNS_10TensorBaseES9_NS_15PhiloxCudaStateEEUliRiSB_SB_SB_RKfSD_SD_SD_E_iSC_jLi2ELin1ELi4ELi512ELi2EEEvNS0_6detail10TensorInfoIT0_T2_EENSG_IT1_SI_EESI_T_
    .private_segment_fixed_size: 0
    .sgpr_count:     65
    .sgpr_spill_count: 0
    .symbol:         _ZN2at4cuda12_GLOBAL__N_121kernelPointwiseApply2IZNS_6native9templates4cuda28bernoulli_tensor_cuda_kernelIifEEvRKNS_10TensorBaseES9_NS_15PhiloxCudaStateEEUliRiSB_SB_SB_RKfSD_SD_SD_E_iSC_jLi2ELin1ELi4ELi512ELi2EEEvNS0_6detail10TensorInfoIT0_T2_EENSG_IT1_SI_EESI_T_.kd
    .uniform_work_group_size: 1
    .uses_dynamic_stack: false
    .vgpr_count:     51
    .vgpr_spill_count: 0
    .wavefront_size: 64
  - .agpr_count:     0
    .args:
      - .offset:         0
        .size:           216
        .value_kind:     by_value
      - .offset:         216
        .size:           216
        .value_kind:     by_value
      - .offset:         432
        .size:           4
        .value_kind:     by_value
      - .offset:         440
        .size:           32
        .value_kind:     by_value
      - .offset:         472
        .size:           4
        .value_kind:     hidden_block_count_x
      - .offset:         476
        .size:           4
        .value_kind:     hidden_block_count_y
      - .offset:         480
        .size:           4
        .value_kind:     hidden_block_count_z
      - .offset:         484
        .size:           2
        .value_kind:     hidden_group_size_x
      - .offset:         486
        .size:           2
        .value_kind:     hidden_group_size_y
      - .offset:         488
        .size:           2
        .value_kind:     hidden_group_size_z
      - .offset:         490
        .size:           2
        .value_kind:     hidden_remainder_x
      - .offset:         492
        .size:           2
        .value_kind:     hidden_remainder_y
      - .offset:         494
        .size:           2
        .value_kind:     hidden_remainder_z
      - .offset:         512
        .size:           8
        .value_kind:     hidden_global_offset_x
      - .offset:         520
        .size:           8
        .value_kind:     hidden_global_offset_y
      - .offset:         528
        .size:           8
        .value_kind:     hidden_global_offset_z
      - .offset:         536
        .size:           2
        .value_kind:     hidden_grid_dims
    .group_segment_fixed_size: 0
    .kernarg_segment_align: 8
    .kernarg_segment_size: 728
    .language:       OpenCL C
    .language_version:
      - 2
      - 0
    .max_flat_workgroup_size: 512
    .name:           _ZN2at4cuda12_GLOBAL__N_121kernelPointwiseApply2IZNS_6native9templates4cuda28bernoulli_tensor_cuda_kernelIifEEvRKNS_10TensorBaseES9_NS_15PhiloxCudaStateEEUliRiSB_SB_SB_RKfSD_SD_SD_E_iSC_jLin1ELi1ELi4ELi512ELi2EEEvNS0_6detail10TensorInfoIT0_T2_EENSG_IT1_SI_EESI_T_
    .private_segment_fixed_size: 0
    .sgpr_count:     65
    .sgpr_spill_count: 0
    .symbol:         _ZN2at4cuda12_GLOBAL__N_121kernelPointwiseApply2IZNS_6native9templates4cuda28bernoulli_tensor_cuda_kernelIifEEvRKNS_10TensorBaseES9_NS_15PhiloxCudaStateEEUliRiSB_SB_SB_RKfSD_SD_SD_E_iSC_jLin1ELi1ELi4ELi512ELi2EEEvNS0_6detail10TensorInfoIT0_T2_EENSG_IT1_SI_EESI_T_.kd
    .uniform_work_group_size: 1
    .uses_dynamic_stack: false
    .vgpr_count:     51
    .vgpr_spill_count: 0
    .wavefront_size: 64
  - .agpr_count:     0
    .args:
      - .offset:         0
        .size:           216
        .value_kind:     by_value
      - .offset:         216
        .size:           216
        .value_kind:     by_value
      - .offset:         432
        .size:           4
        .value_kind:     by_value
      - .offset:         440
        .size:           32
        .value_kind:     by_value
      - .offset:         472
        .size:           4
        .value_kind:     hidden_block_count_x
      - .offset:         476
        .size:           4
        .value_kind:     hidden_block_count_y
      - .offset:         480
        .size:           4
        .value_kind:     hidden_block_count_z
      - .offset:         484
        .size:           2
        .value_kind:     hidden_group_size_x
      - .offset:         486
        .size:           2
        .value_kind:     hidden_group_size_y
      - .offset:         488
        .size:           2
        .value_kind:     hidden_group_size_z
      - .offset:         490
        .size:           2
        .value_kind:     hidden_remainder_x
      - .offset:         492
        .size:           2
        .value_kind:     hidden_remainder_y
      - .offset:         494
        .size:           2
        .value_kind:     hidden_remainder_z
      - .offset:         512
        .size:           8
        .value_kind:     hidden_global_offset_x
      - .offset:         520
        .size:           8
        .value_kind:     hidden_global_offset_y
      - .offset:         528
        .size:           8
        .value_kind:     hidden_global_offset_z
      - .offset:         536
        .size:           2
        .value_kind:     hidden_grid_dims
    .group_segment_fixed_size: 0
    .kernarg_segment_align: 8
    .kernarg_segment_size: 728
    .language:       OpenCL C
    .language_version:
      - 2
      - 0
    .max_flat_workgroup_size: 512
    .name:           _ZN2at4cuda12_GLOBAL__N_121kernelPointwiseApply2IZNS_6native9templates4cuda28bernoulli_tensor_cuda_kernelIifEEvRKNS_10TensorBaseES9_NS_15PhiloxCudaStateEEUliRiSB_SB_SB_RKfSD_SD_SD_E_iSC_jLin1ELi2ELi4ELi512ELi2EEEvNS0_6detail10TensorInfoIT0_T2_EENSG_IT1_SI_EESI_T_
    .private_segment_fixed_size: 0
    .sgpr_count:     67
    .sgpr_spill_count: 0
    .symbol:         _ZN2at4cuda12_GLOBAL__N_121kernelPointwiseApply2IZNS_6native9templates4cuda28bernoulli_tensor_cuda_kernelIifEEvRKNS_10TensorBaseES9_NS_15PhiloxCudaStateEEUliRiSB_SB_SB_RKfSD_SD_SD_E_iSC_jLin1ELi2ELi4ELi512ELi2EEEvNS0_6detail10TensorInfoIT0_T2_EENSG_IT1_SI_EESI_T_.kd
    .uniform_work_group_size: 1
    .uses_dynamic_stack: false
    .vgpr_count:     51
    .vgpr_spill_count: 0
    .wavefront_size: 64
  - .agpr_count:     0
    .args:
      - .offset:         0
        .size:           216
        .value_kind:     by_value
      - .offset:         216
        .size:           216
        .value_kind:     by_value
      - .offset:         432
        .size:           4
        .value_kind:     by_value
      - .offset:         440
        .size:           32
        .value_kind:     by_value
      - .offset:         472
        .size:           4
        .value_kind:     hidden_block_count_x
      - .offset:         476
        .size:           4
        .value_kind:     hidden_block_count_y
      - .offset:         480
        .size:           4
        .value_kind:     hidden_block_count_z
      - .offset:         484
        .size:           2
        .value_kind:     hidden_group_size_x
      - .offset:         486
        .size:           2
        .value_kind:     hidden_group_size_y
      - .offset:         488
        .size:           2
        .value_kind:     hidden_group_size_z
      - .offset:         490
        .size:           2
        .value_kind:     hidden_remainder_x
      - .offset:         492
        .size:           2
        .value_kind:     hidden_remainder_y
      - .offset:         494
        .size:           2
        .value_kind:     hidden_remainder_z
      - .offset:         512
        .size:           8
        .value_kind:     hidden_global_offset_x
      - .offset:         520
        .size:           8
        .value_kind:     hidden_global_offset_y
      - .offset:         528
        .size:           8
        .value_kind:     hidden_global_offset_z
      - .offset:         536
        .size:           2
        .value_kind:     hidden_grid_dims
    .group_segment_fixed_size: 0
    .kernarg_segment_align: 8
    .kernarg_segment_size: 728
    .language:       OpenCL C
    .language_version:
      - 2
      - 0
    .max_flat_workgroup_size: 512
    .name:           _ZN2at4cuda12_GLOBAL__N_121kernelPointwiseApply2IZNS_6native9templates4cuda28bernoulli_tensor_cuda_kernelIifEEvRKNS_10TensorBaseES9_NS_15PhiloxCudaStateEEUliRiSB_SB_SB_RKfSD_SD_SD_E_iSC_jLin1ELin1ELi4ELi512ELi2EEEvNS0_6detail10TensorInfoIT0_T2_EENSG_IT1_SI_EESI_T_
    .private_segment_fixed_size: 0
    .sgpr_count:     68
    .sgpr_spill_count: 0
    .symbol:         _ZN2at4cuda12_GLOBAL__N_121kernelPointwiseApply2IZNS_6native9templates4cuda28bernoulli_tensor_cuda_kernelIifEEvRKNS_10TensorBaseES9_NS_15PhiloxCudaStateEEUliRiSB_SB_SB_RKfSD_SD_SD_E_iSC_jLin1ELin1ELi4ELi512ELi2EEEvNS0_6detail10TensorInfoIT0_T2_EENSG_IT1_SI_EESI_T_.kd
    .uniform_work_group_size: 1
    .uses_dynamic_stack: false
    .vgpr_count:     50
    .vgpr_spill_count: 0
    .wavefront_size: 64
  - .agpr_count:     0
    .args:
      - .offset:         0
        .size:           416
        .value_kind:     by_value
      - .offset:         416
        .size:           416
        .value_kind:     by_value
      - .offset:         832
        .size:           8
        .value_kind:     by_value
      - .offset:         840
        .size:           32
        .value_kind:     by_value
      - .offset:         872
        .size:           4
        .value_kind:     hidden_block_count_x
      - .offset:         876
        .size:           4
        .value_kind:     hidden_block_count_y
      - .offset:         880
        .size:           4
        .value_kind:     hidden_block_count_z
      - .offset:         884
        .size:           2
        .value_kind:     hidden_group_size_x
      - .offset:         886
        .size:           2
        .value_kind:     hidden_group_size_y
      - .offset:         888
        .size:           2
        .value_kind:     hidden_group_size_z
      - .offset:         890
        .size:           2
        .value_kind:     hidden_remainder_x
      - .offset:         892
        .size:           2
        .value_kind:     hidden_remainder_y
      - .offset:         894
        .size:           2
        .value_kind:     hidden_remainder_z
      - .offset:         912
        .size:           8
        .value_kind:     hidden_global_offset_x
      - .offset:         920
        .size:           8
        .value_kind:     hidden_global_offset_y
      - .offset:         928
        .size:           8
        .value_kind:     hidden_global_offset_z
      - .offset:         936
        .size:           2
        .value_kind:     hidden_grid_dims
    .group_segment_fixed_size: 0
    .kernarg_segment_align: 8
    .kernarg_segment_size: 1128
    .language:       OpenCL C
    .language_version:
      - 2
      - 0
    .max_flat_workgroup_size: 512
    .name:           _ZN2at4cuda12_GLOBAL__N_121kernelPointwiseApply2IZNS_6native9templates4cuda28bernoulli_tensor_cuda_kernelIifEEvRKNS_10TensorBaseES9_NS_15PhiloxCudaStateEEUliRiSB_SB_SB_RKfSD_SD_SD_E_iSC_mLi1ELi1ELi4ELi512ELi2EEEvNS0_6detail10TensorInfoIT0_T2_EENSG_IT1_SI_EESI_T_
    .private_segment_fixed_size: 0
    .sgpr_count:     71
    .sgpr_spill_count: 0
    .symbol:         _ZN2at4cuda12_GLOBAL__N_121kernelPointwiseApply2IZNS_6native9templates4cuda28bernoulli_tensor_cuda_kernelIifEEvRKNS_10TensorBaseES9_NS_15PhiloxCudaStateEEUliRiSB_SB_SB_RKfSD_SD_SD_E_iSC_mLi1ELi1ELi4ELi512ELi2EEEvNS0_6detail10TensorInfoIT0_T2_EENSG_IT1_SI_EESI_T_.kd
    .uniform_work_group_size: 1
    .uses_dynamic_stack: false
    .vgpr_count:     61
    .vgpr_spill_count: 0
    .wavefront_size: 64
  - .agpr_count:     0
    .args:
      - .offset:         0
        .size:           416
        .value_kind:     by_value
      - .offset:         416
        .size:           416
        .value_kind:     by_value
      - .offset:         832
        .size:           8
        .value_kind:     by_value
      - .offset:         840
        .size:           32
        .value_kind:     by_value
      - .offset:         872
        .size:           4
        .value_kind:     hidden_block_count_x
      - .offset:         876
        .size:           4
        .value_kind:     hidden_block_count_y
      - .offset:         880
        .size:           4
        .value_kind:     hidden_block_count_z
      - .offset:         884
        .size:           2
        .value_kind:     hidden_group_size_x
      - .offset:         886
        .size:           2
        .value_kind:     hidden_group_size_y
      - .offset:         888
        .size:           2
        .value_kind:     hidden_group_size_z
      - .offset:         890
        .size:           2
        .value_kind:     hidden_remainder_x
      - .offset:         892
        .size:           2
        .value_kind:     hidden_remainder_y
      - .offset:         894
        .size:           2
        .value_kind:     hidden_remainder_z
      - .offset:         912
        .size:           8
        .value_kind:     hidden_global_offset_x
      - .offset:         920
        .size:           8
        .value_kind:     hidden_global_offset_y
      - .offset:         928
        .size:           8
        .value_kind:     hidden_global_offset_z
      - .offset:         936
        .size:           2
        .value_kind:     hidden_grid_dims
    .group_segment_fixed_size: 0
    .kernarg_segment_align: 8
    .kernarg_segment_size: 1128
    .language:       OpenCL C
    .language_version:
      - 2
      - 0
    .max_flat_workgroup_size: 512
    .name:           _ZN2at4cuda12_GLOBAL__N_121kernelPointwiseApply2IZNS_6native9templates4cuda28bernoulli_tensor_cuda_kernelIifEEvRKNS_10TensorBaseES9_NS_15PhiloxCudaStateEEUliRiSB_SB_SB_RKfSD_SD_SD_E_iSC_mLin1ELin1ELi4ELi512ELi2EEEvNS0_6detail10TensorInfoIT0_T2_EENSG_IT1_SI_EESI_T_
    .private_segment_fixed_size: 0
    .sgpr_count:     72
    .sgpr_spill_count: 0
    .symbol:         _ZN2at4cuda12_GLOBAL__N_121kernelPointwiseApply2IZNS_6native9templates4cuda28bernoulli_tensor_cuda_kernelIifEEvRKNS_10TensorBaseES9_NS_15PhiloxCudaStateEEUliRiSB_SB_SB_RKfSD_SD_SD_E_iSC_mLin1ELin1ELi4ELi512ELi2EEEvNS0_6detail10TensorInfoIT0_T2_EENSG_IT1_SI_EESI_T_.kd
    .uniform_work_group_size: 1
    .uses_dynamic_stack: false
    .vgpr_count:     54
    .vgpr_spill_count: 0
    .wavefront_size: 64
  - .agpr_count:     0
    .args:
      - .offset:         0
        .size:           216
        .value_kind:     by_value
      - .offset:         216
        .size:           216
        .value_kind:     by_value
      - .offset:         432
        .size:           4
        .value_kind:     by_value
      - .offset:         440
        .size:           32
        .value_kind:     by_value
      - .offset:         472
        .size:           4
        .value_kind:     hidden_block_count_x
      - .offset:         476
        .size:           4
        .value_kind:     hidden_block_count_y
      - .offset:         480
        .size:           4
        .value_kind:     hidden_block_count_z
      - .offset:         484
        .size:           2
        .value_kind:     hidden_group_size_x
      - .offset:         486
        .size:           2
        .value_kind:     hidden_group_size_y
      - .offset:         488
        .size:           2
        .value_kind:     hidden_group_size_z
      - .offset:         490
        .size:           2
        .value_kind:     hidden_remainder_x
      - .offset:         492
        .size:           2
        .value_kind:     hidden_remainder_y
      - .offset:         494
        .size:           2
        .value_kind:     hidden_remainder_z
      - .offset:         512
        .size:           8
        .value_kind:     hidden_global_offset_x
      - .offset:         520
        .size:           8
        .value_kind:     hidden_global_offset_y
      - .offset:         528
        .size:           8
        .value_kind:     hidden_global_offset_z
      - .offset:         536
        .size:           2
        .value_kind:     hidden_grid_dims
    .group_segment_fixed_size: 0
    .kernarg_segment_align: 8
    .kernarg_segment_size: 728
    .language:       OpenCL C
    .language_version:
      - 2
      - 0
    .max_flat_workgroup_size: 512
    .name:           _ZN2at4cuda12_GLOBAL__N_121kernelPointwiseApply2IZNS_6native9templates4cuda28bernoulli_tensor_cuda_kernelIlfEEvRKNS_10TensorBaseES9_NS_15PhiloxCudaStateEEUliRlSB_SB_SB_RKfSD_SD_SD_E_lSC_jLi1ELi1ELi4ELi512ELi2EEEvNS0_6detail10TensorInfoIT0_T2_EENSG_IT1_SI_EESI_T_
    .private_segment_fixed_size: 0
    .sgpr_count:     66
    .sgpr_spill_count: 0
    .symbol:         _ZN2at4cuda12_GLOBAL__N_121kernelPointwiseApply2IZNS_6native9templates4cuda28bernoulli_tensor_cuda_kernelIlfEEvRKNS_10TensorBaseES9_NS_15PhiloxCudaStateEEUliRlSB_SB_SB_RKfSD_SD_SD_E_lSC_jLi1ELi1ELi4ELi512ELi2EEEvNS0_6detail10TensorInfoIT0_T2_EENSG_IT1_SI_EESI_T_.kd
    .uniform_work_group_size: 1
    .uses_dynamic_stack: false
    .vgpr_count:     53
    .vgpr_spill_count: 0
    .wavefront_size: 64
  - .agpr_count:     0
    .args:
      - .offset:         0
        .size:           216
        .value_kind:     by_value
      - .offset:         216
        .size:           216
        .value_kind:     by_value
      - .offset:         432
        .size:           4
        .value_kind:     by_value
      - .offset:         440
        .size:           32
        .value_kind:     by_value
      - .offset:         472
        .size:           4
        .value_kind:     hidden_block_count_x
      - .offset:         476
        .size:           4
        .value_kind:     hidden_block_count_y
      - .offset:         480
        .size:           4
        .value_kind:     hidden_block_count_z
      - .offset:         484
        .size:           2
        .value_kind:     hidden_group_size_x
      - .offset:         486
        .size:           2
        .value_kind:     hidden_group_size_y
      - .offset:         488
        .size:           2
        .value_kind:     hidden_group_size_z
      - .offset:         490
        .size:           2
        .value_kind:     hidden_remainder_x
      - .offset:         492
        .size:           2
        .value_kind:     hidden_remainder_y
      - .offset:         494
        .size:           2
        .value_kind:     hidden_remainder_z
      - .offset:         512
        .size:           8
        .value_kind:     hidden_global_offset_x
      - .offset:         520
        .size:           8
        .value_kind:     hidden_global_offset_y
      - .offset:         528
        .size:           8
        .value_kind:     hidden_global_offset_z
      - .offset:         536
        .size:           2
        .value_kind:     hidden_grid_dims
    .group_segment_fixed_size: 0
    .kernarg_segment_align: 8
    .kernarg_segment_size: 728
    .language:       OpenCL C
    .language_version:
      - 2
      - 0
    .max_flat_workgroup_size: 512
    .name:           _ZN2at4cuda12_GLOBAL__N_121kernelPointwiseApply2IZNS_6native9templates4cuda28bernoulli_tensor_cuda_kernelIlfEEvRKNS_10TensorBaseES9_NS_15PhiloxCudaStateEEUliRlSB_SB_SB_RKfSD_SD_SD_E_lSC_jLi1ELi2ELi4ELi512ELi2EEEvNS0_6detail10TensorInfoIT0_T2_EENSG_IT1_SI_EESI_T_
    .private_segment_fixed_size: 0
    .sgpr_count:     69
    .sgpr_spill_count: 0
    .symbol:         _ZN2at4cuda12_GLOBAL__N_121kernelPointwiseApply2IZNS_6native9templates4cuda28bernoulli_tensor_cuda_kernelIlfEEvRKNS_10TensorBaseES9_NS_15PhiloxCudaStateEEUliRlSB_SB_SB_RKfSD_SD_SD_E_lSC_jLi1ELi2ELi4ELi512ELi2EEEvNS0_6detail10TensorInfoIT0_T2_EENSG_IT1_SI_EESI_T_.kd
    .uniform_work_group_size: 1
    .uses_dynamic_stack: false
    .vgpr_count:     51
    .vgpr_spill_count: 0
    .wavefront_size: 64
  - .agpr_count:     0
    .args:
      - .offset:         0
        .size:           216
        .value_kind:     by_value
      - .offset:         216
        .size:           216
        .value_kind:     by_value
      - .offset:         432
        .size:           4
        .value_kind:     by_value
      - .offset:         440
        .size:           32
        .value_kind:     by_value
      - .offset:         472
        .size:           4
        .value_kind:     hidden_block_count_x
      - .offset:         476
        .size:           4
        .value_kind:     hidden_block_count_y
      - .offset:         480
        .size:           4
        .value_kind:     hidden_block_count_z
      - .offset:         484
        .size:           2
        .value_kind:     hidden_group_size_x
      - .offset:         486
        .size:           2
        .value_kind:     hidden_group_size_y
      - .offset:         488
        .size:           2
        .value_kind:     hidden_group_size_z
      - .offset:         490
        .size:           2
        .value_kind:     hidden_remainder_x
      - .offset:         492
        .size:           2
        .value_kind:     hidden_remainder_y
      - .offset:         494
        .size:           2
        .value_kind:     hidden_remainder_z
      - .offset:         512
        .size:           8
        .value_kind:     hidden_global_offset_x
      - .offset:         520
        .size:           8
        .value_kind:     hidden_global_offset_y
      - .offset:         528
        .size:           8
        .value_kind:     hidden_global_offset_z
      - .offset:         536
        .size:           2
        .value_kind:     hidden_grid_dims
    .group_segment_fixed_size: 0
    .kernarg_segment_align: 8
    .kernarg_segment_size: 728
    .language:       OpenCL C
    .language_version:
      - 2
      - 0
    .max_flat_workgroup_size: 512
    .name:           _ZN2at4cuda12_GLOBAL__N_121kernelPointwiseApply2IZNS_6native9templates4cuda28bernoulli_tensor_cuda_kernelIlfEEvRKNS_10TensorBaseES9_NS_15PhiloxCudaStateEEUliRlSB_SB_SB_RKfSD_SD_SD_E_lSC_jLi1ELin1ELi4ELi512ELi2EEEvNS0_6detail10TensorInfoIT0_T2_EENSG_IT1_SI_EESI_T_
    .private_segment_fixed_size: 0
    .sgpr_count:     72
    .sgpr_spill_count: 0
    .symbol:         _ZN2at4cuda12_GLOBAL__N_121kernelPointwiseApply2IZNS_6native9templates4cuda28bernoulli_tensor_cuda_kernelIlfEEvRKNS_10TensorBaseES9_NS_15PhiloxCudaStateEEUliRlSB_SB_SB_RKfSD_SD_SD_E_lSC_jLi1ELin1ELi4ELi512ELi2EEEvNS0_6detail10TensorInfoIT0_T2_EENSG_IT1_SI_EESI_T_.kd
    .uniform_work_group_size: 1
    .uses_dynamic_stack: false
    .vgpr_count:     49
    .vgpr_spill_count: 0
    .wavefront_size: 64
  - .agpr_count:     0
    .args:
      - .offset:         0
        .size:           216
        .value_kind:     by_value
      - .offset:         216
        .size:           216
        .value_kind:     by_value
      - .offset:         432
        .size:           4
        .value_kind:     by_value
      - .offset:         440
        .size:           32
        .value_kind:     by_value
      - .offset:         472
        .size:           4
        .value_kind:     hidden_block_count_x
      - .offset:         476
        .size:           4
        .value_kind:     hidden_block_count_y
      - .offset:         480
        .size:           4
        .value_kind:     hidden_block_count_z
      - .offset:         484
        .size:           2
        .value_kind:     hidden_group_size_x
      - .offset:         486
        .size:           2
        .value_kind:     hidden_group_size_y
      - .offset:         488
        .size:           2
        .value_kind:     hidden_group_size_z
      - .offset:         490
        .size:           2
        .value_kind:     hidden_remainder_x
      - .offset:         492
        .size:           2
        .value_kind:     hidden_remainder_y
      - .offset:         494
        .size:           2
        .value_kind:     hidden_remainder_z
      - .offset:         512
        .size:           8
        .value_kind:     hidden_global_offset_x
      - .offset:         520
        .size:           8
        .value_kind:     hidden_global_offset_y
      - .offset:         528
        .size:           8
        .value_kind:     hidden_global_offset_z
      - .offset:         536
        .size:           2
        .value_kind:     hidden_grid_dims
    .group_segment_fixed_size: 0
    .kernarg_segment_align: 8
    .kernarg_segment_size: 728
    .language:       OpenCL C
    .language_version:
      - 2
      - 0
    .max_flat_workgroup_size: 512
    .name:           _ZN2at4cuda12_GLOBAL__N_121kernelPointwiseApply2IZNS_6native9templates4cuda28bernoulli_tensor_cuda_kernelIlfEEvRKNS_10TensorBaseES9_NS_15PhiloxCudaStateEEUliRlSB_SB_SB_RKfSD_SD_SD_E_lSC_jLi2ELi1ELi4ELi512ELi2EEEvNS0_6detail10TensorInfoIT0_T2_EENSG_IT1_SI_EESI_T_
    .private_segment_fixed_size: 0
    .sgpr_count:     65
    .sgpr_spill_count: 0
    .symbol:         _ZN2at4cuda12_GLOBAL__N_121kernelPointwiseApply2IZNS_6native9templates4cuda28bernoulli_tensor_cuda_kernelIlfEEvRKNS_10TensorBaseES9_NS_15PhiloxCudaStateEEUliRlSB_SB_SB_RKfSD_SD_SD_E_lSC_jLi2ELi1ELi4ELi512ELi2EEEvNS0_6detail10TensorInfoIT0_T2_EENSG_IT1_SI_EESI_T_.kd
    .uniform_work_group_size: 1
    .uses_dynamic_stack: false
    .vgpr_count:     57
    .vgpr_spill_count: 0
    .wavefront_size: 64
  - .agpr_count:     0
    .args:
      - .offset:         0
        .size:           216
        .value_kind:     by_value
      - .offset:         216
        .size:           216
        .value_kind:     by_value
      - .offset:         432
        .size:           4
        .value_kind:     by_value
      - .offset:         440
        .size:           32
        .value_kind:     by_value
      - .offset:         472
        .size:           4
        .value_kind:     hidden_block_count_x
      - .offset:         476
        .size:           4
        .value_kind:     hidden_block_count_y
      - .offset:         480
        .size:           4
        .value_kind:     hidden_block_count_z
      - .offset:         484
        .size:           2
        .value_kind:     hidden_group_size_x
      - .offset:         486
        .size:           2
        .value_kind:     hidden_group_size_y
      - .offset:         488
        .size:           2
        .value_kind:     hidden_group_size_z
      - .offset:         490
        .size:           2
        .value_kind:     hidden_remainder_x
      - .offset:         492
        .size:           2
        .value_kind:     hidden_remainder_y
      - .offset:         494
        .size:           2
        .value_kind:     hidden_remainder_z
      - .offset:         512
        .size:           8
        .value_kind:     hidden_global_offset_x
      - .offset:         520
        .size:           8
        .value_kind:     hidden_global_offset_y
      - .offset:         528
        .size:           8
        .value_kind:     hidden_global_offset_z
      - .offset:         536
        .size:           2
        .value_kind:     hidden_grid_dims
    .group_segment_fixed_size: 0
    .kernarg_segment_align: 8
    .kernarg_segment_size: 728
    .language:       OpenCL C
    .language_version:
      - 2
      - 0
    .max_flat_workgroup_size: 512
    .name:           _ZN2at4cuda12_GLOBAL__N_121kernelPointwiseApply2IZNS_6native9templates4cuda28bernoulli_tensor_cuda_kernelIlfEEvRKNS_10TensorBaseES9_NS_15PhiloxCudaStateEEUliRlSB_SB_SB_RKfSD_SD_SD_E_lSC_jLi2ELi2ELi4ELi512ELi2EEEvNS0_6detail10TensorInfoIT0_T2_EENSG_IT1_SI_EESI_T_
    .private_segment_fixed_size: 0
    .sgpr_count:     67
    .sgpr_spill_count: 0
    .symbol:         _ZN2at4cuda12_GLOBAL__N_121kernelPointwiseApply2IZNS_6native9templates4cuda28bernoulli_tensor_cuda_kernelIlfEEvRKNS_10TensorBaseES9_NS_15PhiloxCudaStateEEUliRlSB_SB_SB_RKfSD_SD_SD_E_lSC_jLi2ELi2ELi4ELi512ELi2EEEvNS0_6detail10TensorInfoIT0_T2_EENSG_IT1_SI_EESI_T_.kd
    .uniform_work_group_size: 1
    .uses_dynamic_stack: false
    .vgpr_count:     53
    .vgpr_spill_count: 0
    .wavefront_size: 64
  - .agpr_count:     0
    .args:
      - .offset:         0
        .size:           216
        .value_kind:     by_value
      - .offset:         216
        .size:           216
        .value_kind:     by_value
      - .offset:         432
        .size:           4
        .value_kind:     by_value
      - .offset:         440
        .size:           32
        .value_kind:     by_value
      - .offset:         472
        .size:           4
        .value_kind:     hidden_block_count_x
      - .offset:         476
        .size:           4
        .value_kind:     hidden_block_count_y
      - .offset:         480
        .size:           4
        .value_kind:     hidden_block_count_z
      - .offset:         484
        .size:           2
        .value_kind:     hidden_group_size_x
      - .offset:         486
        .size:           2
        .value_kind:     hidden_group_size_y
      - .offset:         488
        .size:           2
        .value_kind:     hidden_group_size_z
      - .offset:         490
        .size:           2
        .value_kind:     hidden_remainder_x
      - .offset:         492
        .size:           2
        .value_kind:     hidden_remainder_y
      - .offset:         494
        .size:           2
        .value_kind:     hidden_remainder_z
      - .offset:         512
        .size:           8
        .value_kind:     hidden_global_offset_x
      - .offset:         520
        .size:           8
        .value_kind:     hidden_global_offset_y
      - .offset:         528
        .size:           8
        .value_kind:     hidden_global_offset_z
      - .offset:         536
        .size:           2
        .value_kind:     hidden_grid_dims
    .group_segment_fixed_size: 0
    .kernarg_segment_align: 8
    .kernarg_segment_size: 728
    .language:       OpenCL C
    .language_version:
      - 2
      - 0
    .max_flat_workgroup_size: 512
    .name:           _ZN2at4cuda12_GLOBAL__N_121kernelPointwiseApply2IZNS_6native9templates4cuda28bernoulli_tensor_cuda_kernelIlfEEvRKNS_10TensorBaseES9_NS_15PhiloxCudaStateEEUliRlSB_SB_SB_RKfSD_SD_SD_E_lSC_jLi2ELin1ELi4ELi512ELi2EEEvNS0_6detail10TensorInfoIT0_T2_EENSG_IT1_SI_EESI_T_
    .private_segment_fixed_size: 0
    .sgpr_count:     66
    .sgpr_spill_count: 0
    .symbol:         _ZN2at4cuda12_GLOBAL__N_121kernelPointwiseApply2IZNS_6native9templates4cuda28bernoulli_tensor_cuda_kernelIlfEEvRKNS_10TensorBaseES9_NS_15PhiloxCudaStateEEUliRlSB_SB_SB_RKfSD_SD_SD_E_lSC_jLi2ELin1ELi4ELi512ELi2EEEvNS0_6detail10TensorInfoIT0_T2_EENSG_IT1_SI_EESI_T_.kd
    .uniform_work_group_size: 1
    .uses_dynamic_stack: false
    .vgpr_count:     51
    .vgpr_spill_count: 0
    .wavefront_size: 64
  - .agpr_count:     0
    .args:
      - .offset:         0
        .size:           216
        .value_kind:     by_value
      - .offset:         216
        .size:           216
        .value_kind:     by_value
      - .offset:         432
        .size:           4
        .value_kind:     by_value
      - .offset:         440
        .size:           32
        .value_kind:     by_value
      - .offset:         472
        .size:           4
        .value_kind:     hidden_block_count_x
      - .offset:         476
        .size:           4
        .value_kind:     hidden_block_count_y
      - .offset:         480
        .size:           4
        .value_kind:     hidden_block_count_z
      - .offset:         484
        .size:           2
        .value_kind:     hidden_group_size_x
      - .offset:         486
        .size:           2
        .value_kind:     hidden_group_size_y
      - .offset:         488
        .size:           2
        .value_kind:     hidden_group_size_z
      - .offset:         490
        .size:           2
        .value_kind:     hidden_remainder_x
      - .offset:         492
        .size:           2
        .value_kind:     hidden_remainder_y
      - .offset:         494
        .size:           2
        .value_kind:     hidden_remainder_z
      - .offset:         512
        .size:           8
        .value_kind:     hidden_global_offset_x
      - .offset:         520
        .size:           8
        .value_kind:     hidden_global_offset_y
      - .offset:         528
        .size:           8
        .value_kind:     hidden_global_offset_z
      - .offset:         536
        .size:           2
        .value_kind:     hidden_grid_dims
    .group_segment_fixed_size: 0
    .kernarg_segment_align: 8
    .kernarg_segment_size: 728
    .language:       OpenCL C
    .language_version:
      - 2
      - 0
    .max_flat_workgroup_size: 512
    .name:           _ZN2at4cuda12_GLOBAL__N_121kernelPointwiseApply2IZNS_6native9templates4cuda28bernoulli_tensor_cuda_kernelIlfEEvRKNS_10TensorBaseES9_NS_15PhiloxCudaStateEEUliRlSB_SB_SB_RKfSD_SD_SD_E_lSC_jLin1ELi1ELi4ELi512ELi2EEEvNS0_6detail10TensorInfoIT0_T2_EENSG_IT1_SI_EESI_T_
    .private_segment_fixed_size: 0
    .sgpr_count:     66
    .sgpr_spill_count: 0
    .symbol:         _ZN2at4cuda12_GLOBAL__N_121kernelPointwiseApply2IZNS_6native9templates4cuda28bernoulli_tensor_cuda_kernelIlfEEvRKNS_10TensorBaseES9_NS_15PhiloxCudaStateEEUliRlSB_SB_SB_RKfSD_SD_SD_E_lSC_jLin1ELi1ELi4ELi512ELi2EEEvNS0_6detail10TensorInfoIT0_T2_EENSG_IT1_SI_EESI_T_.kd
    .uniform_work_group_size: 1
    .uses_dynamic_stack: false
    .vgpr_count:     51
    .vgpr_spill_count: 0
    .wavefront_size: 64
  - .agpr_count:     0
    .args:
      - .offset:         0
        .size:           216
        .value_kind:     by_value
      - .offset:         216
        .size:           216
        .value_kind:     by_value
      - .offset:         432
        .size:           4
        .value_kind:     by_value
      - .offset:         440
        .size:           32
        .value_kind:     by_value
      - .offset:         472
        .size:           4
        .value_kind:     hidden_block_count_x
      - .offset:         476
        .size:           4
        .value_kind:     hidden_block_count_y
      - .offset:         480
        .size:           4
        .value_kind:     hidden_block_count_z
      - .offset:         484
        .size:           2
        .value_kind:     hidden_group_size_x
      - .offset:         486
        .size:           2
        .value_kind:     hidden_group_size_y
      - .offset:         488
        .size:           2
        .value_kind:     hidden_group_size_z
      - .offset:         490
        .size:           2
        .value_kind:     hidden_remainder_x
      - .offset:         492
        .size:           2
        .value_kind:     hidden_remainder_y
      - .offset:         494
        .size:           2
        .value_kind:     hidden_remainder_z
      - .offset:         512
        .size:           8
        .value_kind:     hidden_global_offset_x
      - .offset:         520
        .size:           8
        .value_kind:     hidden_global_offset_y
      - .offset:         528
        .size:           8
        .value_kind:     hidden_global_offset_z
      - .offset:         536
        .size:           2
        .value_kind:     hidden_grid_dims
    .group_segment_fixed_size: 0
    .kernarg_segment_align: 8
    .kernarg_segment_size: 728
    .language:       OpenCL C
    .language_version:
      - 2
      - 0
    .max_flat_workgroup_size: 512
    .name:           _ZN2at4cuda12_GLOBAL__N_121kernelPointwiseApply2IZNS_6native9templates4cuda28bernoulli_tensor_cuda_kernelIlfEEvRKNS_10TensorBaseES9_NS_15PhiloxCudaStateEEUliRlSB_SB_SB_RKfSD_SD_SD_E_lSC_jLin1ELi2ELi4ELi512ELi2EEEvNS0_6detail10TensorInfoIT0_T2_EENSG_IT1_SI_EESI_T_
    .private_segment_fixed_size: 0
    .sgpr_count:     68
    .sgpr_spill_count: 0
    .symbol:         _ZN2at4cuda12_GLOBAL__N_121kernelPointwiseApply2IZNS_6native9templates4cuda28bernoulli_tensor_cuda_kernelIlfEEvRKNS_10TensorBaseES9_NS_15PhiloxCudaStateEEUliRlSB_SB_SB_RKfSD_SD_SD_E_lSC_jLin1ELi2ELi4ELi512ELi2EEEvNS0_6detail10TensorInfoIT0_T2_EENSG_IT1_SI_EESI_T_.kd
    .uniform_work_group_size: 1
    .uses_dynamic_stack: false
    .vgpr_count:     51
    .vgpr_spill_count: 0
    .wavefront_size: 64
  - .agpr_count:     0
    .args:
      - .offset:         0
        .size:           216
        .value_kind:     by_value
      - .offset:         216
        .size:           216
        .value_kind:     by_value
      - .offset:         432
        .size:           4
        .value_kind:     by_value
      - .offset:         440
        .size:           32
        .value_kind:     by_value
      - .offset:         472
        .size:           4
        .value_kind:     hidden_block_count_x
      - .offset:         476
        .size:           4
        .value_kind:     hidden_block_count_y
      - .offset:         480
        .size:           4
        .value_kind:     hidden_block_count_z
      - .offset:         484
        .size:           2
        .value_kind:     hidden_group_size_x
      - .offset:         486
        .size:           2
        .value_kind:     hidden_group_size_y
      - .offset:         488
        .size:           2
        .value_kind:     hidden_group_size_z
      - .offset:         490
        .size:           2
        .value_kind:     hidden_remainder_x
      - .offset:         492
        .size:           2
        .value_kind:     hidden_remainder_y
      - .offset:         494
        .size:           2
        .value_kind:     hidden_remainder_z
      - .offset:         512
        .size:           8
        .value_kind:     hidden_global_offset_x
      - .offset:         520
        .size:           8
        .value_kind:     hidden_global_offset_y
      - .offset:         528
        .size:           8
        .value_kind:     hidden_global_offset_z
      - .offset:         536
        .size:           2
        .value_kind:     hidden_grid_dims
    .group_segment_fixed_size: 0
    .kernarg_segment_align: 8
    .kernarg_segment_size: 728
    .language:       OpenCL C
    .language_version:
      - 2
      - 0
    .max_flat_workgroup_size: 512
    .name:           _ZN2at4cuda12_GLOBAL__N_121kernelPointwiseApply2IZNS_6native9templates4cuda28bernoulli_tensor_cuda_kernelIlfEEvRKNS_10TensorBaseES9_NS_15PhiloxCudaStateEEUliRlSB_SB_SB_RKfSD_SD_SD_E_lSC_jLin1ELin1ELi4ELi512ELi2EEEvNS0_6detail10TensorInfoIT0_T2_EENSG_IT1_SI_EESI_T_
    .private_segment_fixed_size: 0
    .sgpr_count:     69
    .sgpr_spill_count: 0
    .symbol:         _ZN2at4cuda12_GLOBAL__N_121kernelPointwiseApply2IZNS_6native9templates4cuda28bernoulli_tensor_cuda_kernelIlfEEvRKNS_10TensorBaseES9_NS_15PhiloxCudaStateEEUliRlSB_SB_SB_RKfSD_SD_SD_E_lSC_jLin1ELin1ELi4ELi512ELi2EEEvNS0_6detail10TensorInfoIT0_T2_EENSG_IT1_SI_EESI_T_.kd
    .uniform_work_group_size: 1
    .uses_dynamic_stack: false
    .vgpr_count:     50
    .vgpr_spill_count: 0
    .wavefront_size: 64
  - .agpr_count:     0
    .args:
      - .offset:         0
        .size:           416
        .value_kind:     by_value
      - .offset:         416
        .size:           416
        .value_kind:     by_value
      - .offset:         832
        .size:           8
        .value_kind:     by_value
      - .offset:         840
        .size:           32
        .value_kind:     by_value
      - .offset:         872
        .size:           4
        .value_kind:     hidden_block_count_x
      - .offset:         876
        .size:           4
        .value_kind:     hidden_block_count_y
      - .offset:         880
        .size:           4
        .value_kind:     hidden_block_count_z
      - .offset:         884
        .size:           2
        .value_kind:     hidden_group_size_x
      - .offset:         886
        .size:           2
        .value_kind:     hidden_group_size_y
      - .offset:         888
        .size:           2
        .value_kind:     hidden_group_size_z
      - .offset:         890
        .size:           2
        .value_kind:     hidden_remainder_x
      - .offset:         892
        .size:           2
        .value_kind:     hidden_remainder_y
      - .offset:         894
        .size:           2
        .value_kind:     hidden_remainder_z
      - .offset:         912
        .size:           8
        .value_kind:     hidden_global_offset_x
      - .offset:         920
        .size:           8
        .value_kind:     hidden_global_offset_y
      - .offset:         928
        .size:           8
        .value_kind:     hidden_global_offset_z
      - .offset:         936
        .size:           2
        .value_kind:     hidden_grid_dims
    .group_segment_fixed_size: 0
    .kernarg_segment_align: 8
    .kernarg_segment_size: 1128
    .language:       OpenCL C
    .language_version:
      - 2
      - 0
    .max_flat_workgroup_size: 512
    .name:           _ZN2at4cuda12_GLOBAL__N_121kernelPointwiseApply2IZNS_6native9templates4cuda28bernoulli_tensor_cuda_kernelIlfEEvRKNS_10TensorBaseES9_NS_15PhiloxCudaStateEEUliRlSB_SB_SB_RKfSD_SD_SD_E_lSC_mLi1ELi1ELi4ELi512ELi2EEEvNS0_6detail10TensorInfoIT0_T2_EENSG_IT1_SI_EESI_T_
    .private_segment_fixed_size: 0
    .sgpr_count:     71
    .sgpr_spill_count: 0
    .symbol:         _ZN2at4cuda12_GLOBAL__N_121kernelPointwiseApply2IZNS_6native9templates4cuda28bernoulli_tensor_cuda_kernelIlfEEvRKNS_10TensorBaseES9_NS_15PhiloxCudaStateEEUliRlSB_SB_SB_RKfSD_SD_SD_E_lSC_mLi1ELi1ELi4ELi512ELi2EEEvNS0_6detail10TensorInfoIT0_T2_EENSG_IT1_SI_EESI_T_.kd
    .uniform_work_group_size: 1
    .uses_dynamic_stack: false
    .vgpr_count:     61
    .vgpr_spill_count: 0
    .wavefront_size: 64
  - .agpr_count:     0
    .args:
      - .offset:         0
        .size:           416
        .value_kind:     by_value
      - .offset:         416
        .size:           416
        .value_kind:     by_value
      - .offset:         832
        .size:           8
        .value_kind:     by_value
      - .offset:         840
        .size:           32
        .value_kind:     by_value
      - .offset:         872
        .size:           4
        .value_kind:     hidden_block_count_x
      - .offset:         876
        .size:           4
        .value_kind:     hidden_block_count_y
      - .offset:         880
        .size:           4
        .value_kind:     hidden_block_count_z
      - .offset:         884
        .size:           2
        .value_kind:     hidden_group_size_x
      - .offset:         886
        .size:           2
        .value_kind:     hidden_group_size_y
      - .offset:         888
        .size:           2
        .value_kind:     hidden_group_size_z
      - .offset:         890
        .size:           2
        .value_kind:     hidden_remainder_x
      - .offset:         892
        .size:           2
        .value_kind:     hidden_remainder_y
      - .offset:         894
        .size:           2
        .value_kind:     hidden_remainder_z
      - .offset:         912
        .size:           8
        .value_kind:     hidden_global_offset_x
      - .offset:         920
        .size:           8
        .value_kind:     hidden_global_offset_y
      - .offset:         928
        .size:           8
        .value_kind:     hidden_global_offset_z
      - .offset:         936
        .size:           2
        .value_kind:     hidden_grid_dims
    .group_segment_fixed_size: 0
    .kernarg_segment_align: 8
    .kernarg_segment_size: 1128
    .language:       OpenCL C
    .language_version:
      - 2
      - 0
    .max_flat_workgroup_size: 512
    .name:           _ZN2at4cuda12_GLOBAL__N_121kernelPointwiseApply2IZNS_6native9templates4cuda28bernoulli_tensor_cuda_kernelIlfEEvRKNS_10TensorBaseES9_NS_15PhiloxCudaStateEEUliRlSB_SB_SB_RKfSD_SD_SD_E_lSC_mLin1ELin1ELi4ELi512ELi2EEEvNS0_6detail10TensorInfoIT0_T2_EENSG_IT1_SI_EESI_T_
    .private_segment_fixed_size: 0
    .sgpr_count:     72
    .sgpr_spill_count: 0
    .symbol:         _ZN2at4cuda12_GLOBAL__N_121kernelPointwiseApply2IZNS_6native9templates4cuda28bernoulli_tensor_cuda_kernelIlfEEvRKNS_10TensorBaseES9_NS_15PhiloxCudaStateEEUliRlSB_SB_SB_RKfSD_SD_SD_E_lSC_mLin1ELin1ELi4ELi512ELi2EEEvNS0_6detail10TensorInfoIT0_T2_EENSG_IT1_SI_EESI_T_.kd
    .uniform_work_group_size: 1
    .uses_dynamic_stack: false
    .vgpr_count:     54
    .vgpr_spill_count: 0
    .wavefront_size: 64
  - .agpr_count:     0
    .args:
      - .offset:         0
        .size:           216
        .value_kind:     by_value
      - .offset:         216
        .size:           216
        .value_kind:     by_value
      - .offset:         432
        .size:           4
        .value_kind:     by_value
      - .offset:         440
        .size:           32
        .value_kind:     by_value
      - .offset:         472
        .size:           4
        .value_kind:     hidden_block_count_x
      - .offset:         476
        .size:           4
        .value_kind:     hidden_block_count_y
      - .offset:         480
        .size:           4
        .value_kind:     hidden_block_count_z
      - .offset:         484
        .size:           2
        .value_kind:     hidden_group_size_x
      - .offset:         486
        .size:           2
        .value_kind:     hidden_group_size_y
      - .offset:         488
        .size:           2
        .value_kind:     hidden_group_size_z
      - .offset:         490
        .size:           2
        .value_kind:     hidden_remainder_x
      - .offset:         492
        .size:           2
        .value_kind:     hidden_remainder_y
      - .offset:         494
        .size:           2
        .value_kind:     hidden_remainder_z
      - .offset:         512
        .size:           8
        .value_kind:     hidden_global_offset_x
      - .offset:         520
        .size:           8
        .value_kind:     hidden_global_offset_y
      - .offset:         528
        .size:           8
        .value_kind:     hidden_global_offset_z
      - .offset:         536
        .size:           2
        .value_kind:     hidden_grid_dims
    .group_segment_fixed_size: 0
    .kernarg_segment_align: 8
    .kernarg_segment_size: 728
    .language:       OpenCL C
    .language_version:
      - 2
      - 0
    .max_flat_workgroup_size: 512
    .name:           _ZN2at4cuda12_GLOBAL__N_121kernelPointwiseApply2IZNS_6native9templates4cuda28bernoulli_tensor_cuda_kernelIsfEEvRKNS_10TensorBaseES9_NS_15PhiloxCudaStateEEUliRsSB_SB_SB_RKfSD_SD_SD_E_sSC_jLi1ELi1ELi4ELi512ELi2EEEvNS0_6detail10TensorInfoIT0_T2_EENSG_IT1_SI_EESI_T_
    .private_segment_fixed_size: 0
    .sgpr_count:     65
    .sgpr_spill_count: 0
    .symbol:         _ZN2at4cuda12_GLOBAL__N_121kernelPointwiseApply2IZNS_6native9templates4cuda28bernoulli_tensor_cuda_kernelIsfEEvRKNS_10TensorBaseES9_NS_15PhiloxCudaStateEEUliRsSB_SB_SB_RKfSD_SD_SD_E_sSC_jLi1ELi1ELi4ELi512ELi2EEEvNS0_6detail10TensorInfoIT0_T2_EENSG_IT1_SI_EESI_T_.kd
    .uniform_work_group_size: 1
    .uses_dynamic_stack: false
    .vgpr_count:     53
    .vgpr_spill_count: 0
    .wavefront_size: 64
  - .agpr_count:     0
    .args:
      - .offset:         0
        .size:           216
        .value_kind:     by_value
      - .offset:         216
        .size:           216
        .value_kind:     by_value
      - .offset:         432
        .size:           4
        .value_kind:     by_value
      - .offset:         440
        .size:           32
        .value_kind:     by_value
      - .offset:         472
        .size:           4
        .value_kind:     hidden_block_count_x
      - .offset:         476
        .size:           4
        .value_kind:     hidden_block_count_y
      - .offset:         480
        .size:           4
        .value_kind:     hidden_block_count_z
      - .offset:         484
        .size:           2
        .value_kind:     hidden_group_size_x
      - .offset:         486
        .size:           2
        .value_kind:     hidden_group_size_y
      - .offset:         488
        .size:           2
        .value_kind:     hidden_group_size_z
      - .offset:         490
        .size:           2
        .value_kind:     hidden_remainder_x
      - .offset:         492
        .size:           2
        .value_kind:     hidden_remainder_y
      - .offset:         494
        .size:           2
        .value_kind:     hidden_remainder_z
      - .offset:         512
        .size:           8
        .value_kind:     hidden_global_offset_x
      - .offset:         520
        .size:           8
        .value_kind:     hidden_global_offset_y
      - .offset:         528
        .size:           8
        .value_kind:     hidden_global_offset_z
      - .offset:         536
        .size:           2
        .value_kind:     hidden_grid_dims
    .group_segment_fixed_size: 0
    .kernarg_segment_align: 8
    .kernarg_segment_size: 728
    .language:       OpenCL C
    .language_version:
      - 2
      - 0
    .max_flat_workgroup_size: 512
    .name:           _ZN2at4cuda12_GLOBAL__N_121kernelPointwiseApply2IZNS_6native9templates4cuda28bernoulli_tensor_cuda_kernelIsfEEvRKNS_10TensorBaseES9_NS_15PhiloxCudaStateEEUliRsSB_SB_SB_RKfSD_SD_SD_E_sSC_jLi1ELi2ELi4ELi512ELi2EEEvNS0_6detail10TensorInfoIT0_T2_EENSG_IT1_SI_EESI_T_
    .private_segment_fixed_size: 0
    .sgpr_count:     68
    .sgpr_spill_count: 0
    .symbol:         _ZN2at4cuda12_GLOBAL__N_121kernelPointwiseApply2IZNS_6native9templates4cuda28bernoulli_tensor_cuda_kernelIsfEEvRKNS_10TensorBaseES9_NS_15PhiloxCudaStateEEUliRsSB_SB_SB_RKfSD_SD_SD_E_sSC_jLi1ELi2ELi4ELi512ELi2EEEvNS0_6detail10TensorInfoIT0_T2_EENSG_IT1_SI_EESI_T_.kd
    .uniform_work_group_size: 1
    .uses_dynamic_stack: false
    .vgpr_count:     51
    .vgpr_spill_count: 0
    .wavefront_size: 64
  - .agpr_count:     0
    .args:
      - .offset:         0
        .size:           216
        .value_kind:     by_value
      - .offset:         216
        .size:           216
        .value_kind:     by_value
      - .offset:         432
        .size:           4
        .value_kind:     by_value
      - .offset:         440
        .size:           32
        .value_kind:     by_value
      - .offset:         472
        .size:           4
        .value_kind:     hidden_block_count_x
      - .offset:         476
        .size:           4
        .value_kind:     hidden_block_count_y
      - .offset:         480
        .size:           4
        .value_kind:     hidden_block_count_z
      - .offset:         484
        .size:           2
        .value_kind:     hidden_group_size_x
      - .offset:         486
        .size:           2
        .value_kind:     hidden_group_size_y
      - .offset:         488
        .size:           2
        .value_kind:     hidden_group_size_z
      - .offset:         490
        .size:           2
        .value_kind:     hidden_remainder_x
      - .offset:         492
        .size:           2
        .value_kind:     hidden_remainder_y
      - .offset:         494
        .size:           2
        .value_kind:     hidden_remainder_z
      - .offset:         512
        .size:           8
        .value_kind:     hidden_global_offset_x
      - .offset:         520
        .size:           8
        .value_kind:     hidden_global_offset_y
      - .offset:         528
        .size:           8
        .value_kind:     hidden_global_offset_z
      - .offset:         536
        .size:           2
        .value_kind:     hidden_grid_dims
    .group_segment_fixed_size: 0
    .kernarg_segment_align: 8
    .kernarg_segment_size: 728
    .language:       OpenCL C
    .language_version:
      - 2
      - 0
    .max_flat_workgroup_size: 512
    .name:           _ZN2at4cuda12_GLOBAL__N_121kernelPointwiseApply2IZNS_6native9templates4cuda28bernoulli_tensor_cuda_kernelIsfEEvRKNS_10TensorBaseES9_NS_15PhiloxCudaStateEEUliRsSB_SB_SB_RKfSD_SD_SD_E_sSC_jLi1ELin1ELi4ELi512ELi2EEEvNS0_6detail10TensorInfoIT0_T2_EENSG_IT1_SI_EESI_T_
    .private_segment_fixed_size: 0
    .sgpr_count:     71
    .sgpr_spill_count: 0
    .symbol:         _ZN2at4cuda12_GLOBAL__N_121kernelPointwiseApply2IZNS_6native9templates4cuda28bernoulli_tensor_cuda_kernelIsfEEvRKNS_10TensorBaseES9_NS_15PhiloxCudaStateEEUliRsSB_SB_SB_RKfSD_SD_SD_E_sSC_jLi1ELin1ELi4ELi512ELi2EEEvNS0_6detail10TensorInfoIT0_T2_EENSG_IT1_SI_EESI_T_.kd
    .uniform_work_group_size: 1
    .uses_dynamic_stack: false
    .vgpr_count:     49
    .vgpr_spill_count: 0
    .wavefront_size: 64
  - .agpr_count:     0
    .args:
      - .offset:         0
        .size:           216
        .value_kind:     by_value
      - .offset:         216
        .size:           216
        .value_kind:     by_value
      - .offset:         432
        .size:           4
        .value_kind:     by_value
      - .offset:         440
        .size:           32
        .value_kind:     by_value
      - .offset:         472
        .size:           4
        .value_kind:     hidden_block_count_x
      - .offset:         476
        .size:           4
        .value_kind:     hidden_block_count_y
      - .offset:         480
        .size:           4
        .value_kind:     hidden_block_count_z
      - .offset:         484
        .size:           2
        .value_kind:     hidden_group_size_x
      - .offset:         486
        .size:           2
        .value_kind:     hidden_group_size_y
      - .offset:         488
        .size:           2
        .value_kind:     hidden_group_size_z
      - .offset:         490
        .size:           2
        .value_kind:     hidden_remainder_x
      - .offset:         492
        .size:           2
        .value_kind:     hidden_remainder_y
      - .offset:         494
        .size:           2
        .value_kind:     hidden_remainder_z
      - .offset:         512
        .size:           8
        .value_kind:     hidden_global_offset_x
      - .offset:         520
        .size:           8
        .value_kind:     hidden_global_offset_y
      - .offset:         528
        .size:           8
        .value_kind:     hidden_global_offset_z
      - .offset:         536
        .size:           2
        .value_kind:     hidden_grid_dims
    .group_segment_fixed_size: 0
    .kernarg_segment_align: 8
    .kernarg_segment_size: 728
    .language:       OpenCL C
    .language_version:
      - 2
      - 0
    .max_flat_workgroup_size: 512
    .name:           _ZN2at4cuda12_GLOBAL__N_121kernelPointwiseApply2IZNS_6native9templates4cuda28bernoulli_tensor_cuda_kernelIsfEEvRKNS_10TensorBaseES9_NS_15PhiloxCudaStateEEUliRsSB_SB_SB_RKfSD_SD_SD_E_sSC_jLi2ELi1ELi4ELi512ELi2EEEvNS0_6detail10TensorInfoIT0_T2_EENSG_IT1_SI_EESI_T_
    .private_segment_fixed_size: 0
    .sgpr_count:     64
    .sgpr_spill_count: 0
    .symbol:         _ZN2at4cuda12_GLOBAL__N_121kernelPointwiseApply2IZNS_6native9templates4cuda28bernoulli_tensor_cuda_kernelIsfEEvRKNS_10TensorBaseES9_NS_15PhiloxCudaStateEEUliRsSB_SB_SB_RKfSD_SD_SD_E_sSC_jLi2ELi1ELi4ELi512ELi2EEEvNS0_6detail10TensorInfoIT0_T2_EENSG_IT1_SI_EESI_T_.kd
    .uniform_work_group_size: 1
    .uses_dynamic_stack: false
    .vgpr_count:     57
    .vgpr_spill_count: 0
    .wavefront_size: 64
  - .agpr_count:     0
    .args:
      - .offset:         0
        .size:           216
        .value_kind:     by_value
      - .offset:         216
        .size:           216
        .value_kind:     by_value
      - .offset:         432
        .size:           4
        .value_kind:     by_value
      - .offset:         440
        .size:           32
        .value_kind:     by_value
      - .offset:         472
        .size:           4
        .value_kind:     hidden_block_count_x
      - .offset:         476
        .size:           4
        .value_kind:     hidden_block_count_y
      - .offset:         480
        .size:           4
        .value_kind:     hidden_block_count_z
      - .offset:         484
        .size:           2
        .value_kind:     hidden_group_size_x
      - .offset:         486
        .size:           2
        .value_kind:     hidden_group_size_y
      - .offset:         488
        .size:           2
        .value_kind:     hidden_group_size_z
      - .offset:         490
        .size:           2
        .value_kind:     hidden_remainder_x
      - .offset:         492
        .size:           2
        .value_kind:     hidden_remainder_y
      - .offset:         494
        .size:           2
        .value_kind:     hidden_remainder_z
      - .offset:         512
        .size:           8
        .value_kind:     hidden_global_offset_x
      - .offset:         520
        .size:           8
        .value_kind:     hidden_global_offset_y
      - .offset:         528
        .size:           8
        .value_kind:     hidden_global_offset_z
      - .offset:         536
        .size:           2
        .value_kind:     hidden_grid_dims
    .group_segment_fixed_size: 0
    .kernarg_segment_align: 8
    .kernarg_segment_size: 728
    .language:       OpenCL C
    .language_version:
      - 2
      - 0
    .max_flat_workgroup_size: 512
    .name:           _ZN2at4cuda12_GLOBAL__N_121kernelPointwiseApply2IZNS_6native9templates4cuda28bernoulli_tensor_cuda_kernelIsfEEvRKNS_10TensorBaseES9_NS_15PhiloxCudaStateEEUliRsSB_SB_SB_RKfSD_SD_SD_E_sSC_jLi2ELi2ELi4ELi512ELi2EEEvNS0_6detail10TensorInfoIT0_T2_EENSG_IT1_SI_EESI_T_
    .private_segment_fixed_size: 0
    .sgpr_count:     66
    .sgpr_spill_count: 0
    .symbol:         _ZN2at4cuda12_GLOBAL__N_121kernelPointwiseApply2IZNS_6native9templates4cuda28bernoulli_tensor_cuda_kernelIsfEEvRKNS_10TensorBaseES9_NS_15PhiloxCudaStateEEUliRsSB_SB_SB_RKfSD_SD_SD_E_sSC_jLi2ELi2ELi4ELi512ELi2EEEvNS0_6detail10TensorInfoIT0_T2_EENSG_IT1_SI_EESI_T_.kd
    .uniform_work_group_size: 1
    .uses_dynamic_stack: false
    .vgpr_count:     53
    .vgpr_spill_count: 0
    .wavefront_size: 64
  - .agpr_count:     0
    .args:
      - .offset:         0
        .size:           216
        .value_kind:     by_value
      - .offset:         216
        .size:           216
        .value_kind:     by_value
      - .offset:         432
        .size:           4
        .value_kind:     by_value
      - .offset:         440
        .size:           32
        .value_kind:     by_value
      - .offset:         472
        .size:           4
        .value_kind:     hidden_block_count_x
      - .offset:         476
        .size:           4
        .value_kind:     hidden_block_count_y
      - .offset:         480
        .size:           4
        .value_kind:     hidden_block_count_z
      - .offset:         484
        .size:           2
        .value_kind:     hidden_group_size_x
      - .offset:         486
        .size:           2
        .value_kind:     hidden_group_size_y
      - .offset:         488
        .size:           2
        .value_kind:     hidden_group_size_z
      - .offset:         490
        .size:           2
        .value_kind:     hidden_remainder_x
      - .offset:         492
        .size:           2
        .value_kind:     hidden_remainder_y
      - .offset:         494
        .size:           2
        .value_kind:     hidden_remainder_z
      - .offset:         512
        .size:           8
        .value_kind:     hidden_global_offset_x
      - .offset:         520
        .size:           8
        .value_kind:     hidden_global_offset_y
      - .offset:         528
        .size:           8
        .value_kind:     hidden_global_offset_z
      - .offset:         536
        .size:           2
        .value_kind:     hidden_grid_dims
    .group_segment_fixed_size: 0
    .kernarg_segment_align: 8
    .kernarg_segment_size: 728
    .language:       OpenCL C
    .language_version:
      - 2
      - 0
    .max_flat_workgroup_size: 512
    .name:           _ZN2at4cuda12_GLOBAL__N_121kernelPointwiseApply2IZNS_6native9templates4cuda28bernoulli_tensor_cuda_kernelIsfEEvRKNS_10TensorBaseES9_NS_15PhiloxCudaStateEEUliRsSB_SB_SB_RKfSD_SD_SD_E_sSC_jLi2ELin1ELi4ELi512ELi2EEEvNS0_6detail10TensorInfoIT0_T2_EENSG_IT1_SI_EESI_T_
    .private_segment_fixed_size: 0
    .sgpr_count:     65
    .sgpr_spill_count: 0
    .symbol:         _ZN2at4cuda12_GLOBAL__N_121kernelPointwiseApply2IZNS_6native9templates4cuda28bernoulli_tensor_cuda_kernelIsfEEvRKNS_10TensorBaseES9_NS_15PhiloxCudaStateEEUliRsSB_SB_SB_RKfSD_SD_SD_E_sSC_jLi2ELin1ELi4ELi512ELi2EEEvNS0_6detail10TensorInfoIT0_T2_EENSG_IT1_SI_EESI_T_.kd
    .uniform_work_group_size: 1
    .uses_dynamic_stack: false
    .vgpr_count:     51
    .vgpr_spill_count: 0
    .wavefront_size: 64
  - .agpr_count:     0
    .args:
      - .offset:         0
        .size:           216
        .value_kind:     by_value
      - .offset:         216
        .size:           216
        .value_kind:     by_value
      - .offset:         432
        .size:           4
        .value_kind:     by_value
      - .offset:         440
        .size:           32
        .value_kind:     by_value
      - .offset:         472
        .size:           4
        .value_kind:     hidden_block_count_x
      - .offset:         476
        .size:           4
        .value_kind:     hidden_block_count_y
      - .offset:         480
        .size:           4
        .value_kind:     hidden_block_count_z
      - .offset:         484
        .size:           2
        .value_kind:     hidden_group_size_x
      - .offset:         486
        .size:           2
        .value_kind:     hidden_group_size_y
      - .offset:         488
        .size:           2
        .value_kind:     hidden_group_size_z
      - .offset:         490
        .size:           2
        .value_kind:     hidden_remainder_x
      - .offset:         492
        .size:           2
        .value_kind:     hidden_remainder_y
      - .offset:         494
        .size:           2
        .value_kind:     hidden_remainder_z
      - .offset:         512
        .size:           8
        .value_kind:     hidden_global_offset_x
      - .offset:         520
        .size:           8
        .value_kind:     hidden_global_offset_y
      - .offset:         528
        .size:           8
        .value_kind:     hidden_global_offset_z
      - .offset:         536
        .size:           2
        .value_kind:     hidden_grid_dims
    .group_segment_fixed_size: 0
    .kernarg_segment_align: 8
    .kernarg_segment_size: 728
    .language:       OpenCL C
    .language_version:
      - 2
      - 0
    .max_flat_workgroup_size: 512
    .name:           _ZN2at4cuda12_GLOBAL__N_121kernelPointwiseApply2IZNS_6native9templates4cuda28bernoulli_tensor_cuda_kernelIsfEEvRKNS_10TensorBaseES9_NS_15PhiloxCudaStateEEUliRsSB_SB_SB_RKfSD_SD_SD_E_sSC_jLin1ELi1ELi4ELi512ELi2EEEvNS0_6detail10TensorInfoIT0_T2_EENSG_IT1_SI_EESI_T_
    .private_segment_fixed_size: 0
    .sgpr_count:     65
    .sgpr_spill_count: 0
    .symbol:         _ZN2at4cuda12_GLOBAL__N_121kernelPointwiseApply2IZNS_6native9templates4cuda28bernoulli_tensor_cuda_kernelIsfEEvRKNS_10TensorBaseES9_NS_15PhiloxCudaStateEEUliRsSB_SB_SB_RKfSD_SD_SD_E_sSC_jLin1ELi1ELi4ELi512ELi2EEEvNS0_6detail10TensorInfoIT0_T2_EENSG_IT1_SI_EESI_T_.kd
    .uniform_work_group_size: 1
    .uses_dynamic_stack: false
    .vgpr_count:     51
    .vgpr_spill_count: 0
    .wavefront_size: 64
  - .agpr_count:     0
    .args:
      - .offset:         0
        .size:           216
        .value_kind:     by_value
      - .offset:         216
        .size:           216
        .value_kind:     by_value
      - .offset:         432
        .size:           4
        .value_kind:     by_value
      - .offset:         440
        .size:           32
        .value_kind:     by_value
      - .offset:         472
        .size:           4
        .value_kind:     hidden_block_count_x
      - .offset:         476
        .size:           4
        .value_kind:     hidden_block_count_y
      - .offset:         480
        .size:           4
        .value_kind:     hidden_block_count_z
      - .offset:         484
        .size:           2
        .value_kind:     hidden_group_size_x
      - .offset:         486
        .size:           2
        .value_kind:     hidden_group_size_y
      - .offset:         488
        .size:           2
        .value_kind:     hidden_group_size_z
      - .offset:         490
        .size:           2
        .value_kind:     hidden_remainder_x
      - .offset:         492
        .size:           2
        .value_kind:     hidden_remainder_y
      - .offset:         494
        .size:           2
        .value_kind:     hidden_remainder_z
      - .offset:         512
        .size:           8
        .value_kind:     hidden_global_offset_x
      - .offset:         520
        .size:           8
        .value_kind:     hidden_global_offset_y
      - .offset:         528
        .size:           8
        .value_kind:     hidden_global_offset_z
      - .offset:         536
        .size:           2
        .value_kind:     hidden_grid_dims
    .group_segment_fixed_size: 0
    .kernarg_segment_align: 8
    .kernarg_segment_size: 728
    .language:       OpenCL C
    .language_version:
      - 2
      - 0
    .max_flat_workgroup_size: 512
    .name:           _ZN2at4cuda12_GLOBAL__N_121kernelPointwiseApply2IZNS_6native9templates4cuda28bernoulli_tensor_cuda_kernelIsfEEvRKNS_10TensorBaseES9_NS_15PhiloxCudaStateEEUliRsSB_SB_SB_RKfSD_SD_SD_E_sSC_jLin1ELi2ELi4ELi512ELi2EEEvNS0_6detail10TensorInfoIT0_T2_EENSG_IT1_SI_EESI_T_
    .private_segment_fixed_size: 0
    .sgpr_count:     67
    .sgpr_spill_count: 0
    .symbol:         _ZN2at4cuda12_GLOBAL__N_121kernelPointwiseApply2IZNS_6native9templates4cuda28bernoulli_tensor_cuda_kernelIsfEEvRKNS_10TensorBaseES9_NS_15PhiloxCudaStateEEUliRsSB_SB_SB_RKfSD_SD_SD_E_sSC_jLin1ELi2ELi4ELi512ELi2EEEvNS0_6detail10TensorInfoIT0_T2_EENSG_IT1_SI_EESI_T_.kd
    .uniform_work_group_size: 1
    .uses_dynamic_stack: false
    .vgpr_count:     51
    .vgpr_spill_count: 0
    .wavefront_size: 64
  - .agpr_count:     0
    .args:
      - .offset:         0
        .size:           216
        .value_kind:     by_value
      - .offset:         216
        .size:           216
        .value_kind:     by_value
      - .offset:         432
        .size:           4
        .value_kind:     by_value
      - .offset:         440
        .size:           32
        .value_kind:     by_value
      - .offset:         472
        .size:           4
        .value_kind:     hidden_block_count_x
      - .offset:         476
        .size:           4
        .value_kind:     hidden_block_count_y
      - .offset:         480
        .size:           4
        .value_kind:     hidden_block_count_z
      - .offset:         484
        .size:           2
        .value_kind:     hidden_group_size_x
      - .offset:         486
        .size:           2
        .value_kind:     hidden_group_size_y
      - .offset:         488
        .size:           2
        .value_kind:     hidden_group_size_z
      - .offset:         490
        .size:           2
        .value_kind:     hidden_remainder_x
      - .offset:         492
        .size:           2
        .value_kind:     hidden_remainder_y
      - .offset:         494
        .size:           2
        .value_kind:     hidden_remainder_z
      - .offset:         512
        .size:           8
        .value_kind:     hidden_global_offset_x
      - .offset:         520
        .size:           8
        .value_kind:     hidden_global_offset_y
      - .offset:         528
        .size:           8
        .value_kind:     hidden_global_offset_z
      - .offset:         536
        .size:           2
        .value_kind:     hidden_grid_dims
    .group_segment_fixed_size: 0
    .kernarg_segment_align: 8
    .kernarg_segment_size: 728
    .language:       OpenCL C
    .language_version:
      - 2
      - 0
    .max_flat_workgroup_size: 512
    .name:           _ZN2at4cuda12_GLOBAL__N_121kernelPointwiseApply2IZNS_6native9templates4cuda28bernoulli_tensor_cuda_kernelIsfEEvRKNS_10TensorBaseES9_NS_15PhiloxCudaStateEEUliRsSB_SB_SB_RKfSD_SD_SD_E_sSC_jLin1ELin1ELi4ELi512ELi2EEEvNS0_6detail10TensorInfoIT0_T2_EENSG_IT1_SI_EESI_T_
    .private_segment_fixed_size: 0
    .sgpr_count:     68
    .sgpr_spill_count: 0
    .symbol:         _ZN2at4cuda12_GLOBAL__N_121kernelPointwiseApply2IZNS_6native9templates4cuda28bernoulli_tensor_cuda_kernelIsfEEvRKNS_10TensorBaseES9_NS_15PhiloxCudaStateEEUliRsSB_SB_SB_RKfSD_SD_SD_E_sSC_jLin1ELin1ELi4ELi512ELi2EEEvNS0_6detail10TensorInfoIT0_T2_EENSG_IT1_SI_EESI_T_.kd
    .uniform_work_group_size: 1
    .uses_dynamic_stack: false
    .vgpr_count:     50
    .vgpr_spill_count: 0
    .wavefront_size: 64
  - .agpr_count:     0
    .args:
      - .offset:         0
        .size:           416
        .value_kind:     by_value
      - .offset:         416
        .size:           416
        .value_kind:     by_value
      - .offset:         832
        .size:           8
        .value_kind:     by_value
      - .offset:         840
        .size:           32
        .value_kind:     by_value
      - .offset:         872
        .size:           4
        .value_kind:     hidden_block_count_x
      - .offset:         876
        .size:           4
        .value_kind:     hidden_block_count_y
      - .offset:         880
        .size:           4
        .value_kind:     hidden_block_count_z
      - .offset:         884
        .size:           2
        .value_kind:     hidden_group_size_x
      - .offset:         886
        .size:           2
        .value_kind:     hidden_group_size_y
      - .offset:         888
        .size:           2
        .value_kind:     hidden_group_size_z
      - .offset:         890
        .size:           2
        .value_kind:     hidden_remainder_x
      - .offset:         892
        .size:           2
        .value_kind:     hidden_remainder_y
      - .offset:         894
        .size:           2
        .value_kind:     hidden_remainder_z
      - .offset:         912
        .size:           8
        .value_kind:     hidden_global_offset_x
      - .offset:         920
        .size:           8
        .value_kind:     hidden_global_offset_y
      - .offset:         928
        .size:           8
        .value_kind:     hidden_global_offset_z
      - .offset:         936
        .size:           2
        .value_kind:     hidden_grid_dims
    .group_segment_fixed_size: 0
    .kernarg_segment_align: 8
    .kernarg_segment_size: 1128
    .language:       OpenCL C
    .language_version:
      - 2
      - 0
    .max_flat_workgroup_size: 512
    .name:           _ZN2at4cuda12_GLOBAL__N_121kernelPointwiseApply2IZNS_6native9templates4cuda28bernoulli_tensor_cuda_kernelIsfEEvRKNS_10TensorBaseES9_NS_15PhiloxCudaStateEEUliRsSB_SB_SB_RKfSD_SD_SD_E_sSC_mLi1ELi1ELi4ELi512ELi2EEEvNS0_6detail10TensorInfoIT0_T2_EENSG_IT1_SI_EESI_T_
    .private_segment_fixed_size: 0
    .sgpr_count:     71
    .sgpr_spill_count: 0
    .symbol:         _ZN2at4cuda12_GLOBAL__N_121kernelPointwiseApply2IZNS_6native9templates4cuda28bernoulli_tensor_cuda_kernelIsfEEvRKNS_10TensorBaseES9_NS_15PhiloxCudaStateEEUliRsSB_SB_SB_RKfSD_SD_SD_E_sSC_mLi1ELi1ELi4ELi512ELi2EEEvNS0_6detail10TensorInfoIT0_T2_EENSG_IT1_SI_EESI_T_.kd
    .uniform_work_group_size: 1
    .uses_dynamic_stack: false
    .vgpr_count:     61
    .vgpr_spill_count: 0
    .wavefront_size: 64
  - .agpr_count:     0
    .args:
      - .offset:         0
        .size:           416
        .value_kind:     by_value
      - .offset:         416
        .size:           416
        .value_kind:     by_value
      - .offset:         832
        .size:           8
        .value_kind:     by_value
      - .offset:         840
        .size:           32
        .value_kind:     by_value
      - .offset:         872
        .size:           4
        .value_kind:     hidden_block_count_x
      - .offset:         876
        .size:           4
        .value_kind:     hidden_block_count_y
      - .offset:         880
        .size:           4
        .value_kind:     hidden_block_count_z
      - .offset:         884
        .size:           2
        .value_kind:     hidden_group_size_x
      - .offset:         886
        .size:           2
        .value_kind:     hidden_group_size_y
      - .offset:         888
        .size:           2
        .value_kind:     hidden_group_size_z
      - .offset:         890
        .size:           2
        .value_kind:     hidden_remainder_x
      - .offset:         892
        .size:           2
        .value_kind:     hidden_remainder_y
      - .offset:         894
        .size:           2
        .value_kind:     hidden_remainder_z
      - .offset:         912
        .size:           8
        .value_kind:     hidden_global_offset_x
      - .offset:         920
        .size:           8
        .value_kind:     hidden_global_offset_y
      - .offset:         928
        .size:           8
        .value_kind:     hidden_global_offset_z
      - .offset:         936
        .size:           2
        .value_kind:     hidden_grid_dims
    .group_segment_fixed_size: 0
    .kernarg_segment_align: 8
    .kernarg_segment_size: 1128
    .language:       OpenCL C
    .language_version:
      - 2
      - 0
    .max_flat_workgroup_size: 512
    .name:           _ZN2at4cuda12_GLOBAL__N_121kernelPointwiseApply2IZNS_6native9templates4cuda28bernoulli_tensor_cuda_kernelIsfEEvRKNS_10TensorBaseES9_NS_15PhiloxCudaStateEEUliRsSB_SB_SB_RKfSD_SD_SD_E_sSC_mLin1ELin1ELi4ELi512ELi2EEEvNS0_6detail10TensorInfoIT0_T2_EENSG_IT1_SI_EESI_T_
    .private_segment_fixed_size: 0
    .sgpr_count:     72
    .sgpr_spill_count: 0
    .symbol:         _ZN2at4cuda12_GLOBAL__N_121kernelPointwiseApply2IZNS_6native9templates4cuda28bernoulli_tensor_cuda_kernelIsfEEvRKNS_10TensorBaseES9_NS_15PhiloxCudaStateEEUliRsSB_SB_SB_RKfSD_SD_SD_E_sSC_mLin1ELin1ELi4ELi512ELi2EEEvNS0_6detail10TensorInfoIT0_T2_EENSG_IT1_SI_EESI_T_.kd
    .uniform_work_group_size: 1
    .uses_dynamic_stack: false
    .vgpr_count:     54
    .vgpr_spill_count: 0
    .wavefront_size: 64
  - .agpr_count:     0
    .args:
      - .offset:         0
        .size:           216
        .value_kind:     by_value
      - .offset:         216
        .size:           216
        .value_kind:     by_value
      - .offset:         432
        .size:           4
        .value_kind:     by_value
      - .offset:         440
        .size:           32
        .value_kind:     by_value
      - .offset:         472
        .size:           4
        .value_kind:     hidden_block_count_x
      - .offset:         476
        .size:           4
        .value_kind:     hidden_block_count_y
      - .offset:         480
        .size:           4
        .value_kind:     hidden_block_count_z
      - .offset:         484
        .size:           2
        .value_kind:     hidden_group_size_x
      - .offset:         486
        .size:           2
        .value_kind:     hidden_group_size_y
      - .offset:         488
        .size:           2
        .value_kind:     hidden_group_size_z
      - .offset:         490
        .size:           2
        .value_kind:     hidden_remainder_x
      - .offset:         492
        .size:           2
        .value_kind:     hidden_remainder_y
      - .offset:         494
        .size:           2
        .value_kind:     hidden_remainder_z
      - .offset:         512
        .size:           8
        .value_kind:     hidden_global_offset_x
      - .offset:         520
        .size:           8
        .value_kind:     hidden_global_offset_y
      - .offset:         528
        .size:           8
        .value_kind:     hidden_global_offset_z
      - .offset:         536
        .size:           2
        .value_kind:     hidden_grid_dims
    .group_segment_fixed_size: 0
    .kernarg_segment_align: 8
    .kernarg_segment_size: 728
    .language:       OpenCL C
    .language_version:
      - 2
      - 0
    .max_flat_workgroup_size: 512
    .name:           _ZN2at4cuda12_GLOBAL__N_121kernelPointwiseApply2IZNS_6native9templates4cuda28bernoulli_tensor_cuda_kernelIdfEEvRKNS_10TensorBaseES9_NS_15PhiloxCudaStateEEUliRdSB_SB_SB_RKfSD_SD_SD_E_dSC_jLi1ELi1ELi4ELi512ELi2EEEvNS0_6detail10TensorInfoIT0_T2_EENSG_IT1_SI_EESI_T_
    .private_segment_fixed_size: 0
    .sgpr_count:     65
    .sgpr_spill_count: 0
    .symbol:         _ZN2at4cuda12_GLOBAL__N_121kernelPointwiseApply2IZNS_6native9templates4cuda28bernoulli_tensor_cuda_kernelIdfEEvRKNS_10TensorBaseES9_NS_15PhiloxCudaStateEEUliRdSB_SB_SB_RKfSD_SD_SD_E_dSC_jLi1ELi1ELi4ELi512ELi2EEEvNS0_6detail10TensorInfoIT0_T2_EENSG_IT1_SI_EESI_T_.kd
    .uniform_work_group_size: 1
    .uses_dynamic_stack: false
    .vgpr_count:     54
    .vgpr_spill_count: 0
    .wavefront_size: 64
  - .agpr_count:     0
    .args:
      - .offset:         0
        .size:           216
        .value_kind:     by_value
      - .offset:         216
        .size:           216
        .value_kind:     by_value
      - .offset:         432
        .size:           4
        .value_kind:     by_value
      - .offset:         440
        .size:           32
        .value_kind:     by_value
      - .offset:         472
        .size:           4
        .value_kind:     hidden_block_count_x
      - .offset:         476
        .size:           4
        .value_kind:     hidden_block_count_y
      - .offset:         480
        .size:           4
        .value_kind:     hidden_block_count_z
      - .offset:         484
        .size:           2
        .value_kind:     hidden_group_size_x
      - .offset:         486
        .size:           2
        .value_kind:     hidden_group_size_y
      - .offset:         488
        .size:           2
        .value_kind:     hidden_group_size_z
      - .offset:         490
        .size:           2
        .value_kind:     hidden_remainder_x
      - .offset:         492
        .size:           2
        .value_kind:     hidden_remainder_y
      - .offset:         494
        .size:           2
        .value_kind:     hidden_remainder_z
      - .offset:         512
        .size:           8
        .value_kind:     hidden_global_offset_x
      - .offset:         520
        .size:           8
        .value_kind:     hidden_global_offset_y
      - .offset:         528
        .size:           8
        .value_kind:     hidden_global_offset_z
      - .offset:         536
        .size:           2
        .value_kind:     hidden_grid_dims
    .group_segment_fixed_size: 0
    .kernarg_segment_align: 8
    .kernarg_segment_size: 728
    .language:       OpenCL C
    .language_version:
      - 2
      - 0
    .max_flat_workgroup_size: 512
    .name:           _ZN2at4cuda12_GLOBAL__N_121kernelPointwiseApply2IZNS_6native9templates4cuda28bernoulli_tensor_cuda_kernelIdfEEvRKNS_10TensorBaseES9_NS_15PhiloxCudaStateEEUliRdSB_SB_SB_RKfSD_SD_SD_E_dSC_jLi1ELi2ELi4ELi512ELi2EEEvNS0_6detail10TensorInfoIT0_T2_EENSG_IT1_SI_EESI_T_
    .private_segment_fixed_size: 0
    .sgpr_count:     68
    .sgpr_spill_count: 0
    .symbol:         _ZN2at4cuda12_GLOBAL__N_121kernelPointwiseApply2IZNS_6native9templates4cuda28bernoulli_tensor_cuda_kernelIdfEEvRKNS_10TensorBaseES9_NS_15PhiloxCudaStateEEUliRdSB_SB_SB_RKfSD_SD_SD_E_dSC_jLi1ELi2ELi4ELi512ELi2EEEvNS0_6detail10TensorInfoIT0_T2_EENSG_IT1_SI_EESI_T_.kd
    .uniform_work_group_size: 1
    .uses_dynamic_stack: false
    .vgpr_count:     52
    .vgpr_spill_count: 0
    .wavefront_size: 64
  - .agpr_count:     0
    .args:
      - .offset:         0
        .size:           216
        .value_kind:     by_value
      - .offset:         216
        .size:           216
        .value_kind:     by_value
      - .offset:         432
        .size:           4
        .value_kind:     by_value
      - .offset:         440
        .size:           32
        .value_kind:     by_value
      - .offset:         472
        .size:           4
        .value_kind:     hidden_block_count_x
      - .offset:         476
        .size:           4
        .value_kind:     hidden_block_count_y
      - .offset:         480
        .size:           4
        .value_kind:     hidden_block_count_z
      - .offset:         484
        .size:           2
        .value_kind:     hidden_group_size_x
      - .offset:         486
        .size:           2
        .value_kind:     hidden_group_size_y
      - .offset:         488
        .size:           2
        .value_kind:     hidden_group_size_z
      - .offset:         490
        .size:           2
        .value_kind:     hidden_remainder_x
      - .offset:         492
        .size:           2
        .value_kind:     hidden_remainder_y
      - .offset:         494
        .size:           2
        .value_kind:     hidden_remainder_z
      - .offset:         512
        .size:           8
        .value_kind:     hidden_global_offset_x
      - .offset:         520
        .size:           8
        .value_kind:     hidden_global_offset_y
      - .offset:         528
        .size:           8
        .value_kind:     hidden_global_offset_z
      - .offset:         536
        .size:           2
        .value_kind:     hidden_grid_dims
    .group_segment_fixed_size: 0
    .kernarg_segment_align: 8
    .kernarg_segment_size: 728
    .language:       OpenCL C
    .language_version:
      - 2
      - 0
    .max_flat_workgroup_size: 512
    .name:           _ZN2at4cuda12_GLOBAL__N_121kernelPointwiseApply2IZNS_6native9templates4cuda28bernoulli_tensor_cuda_kernelIdfEEvRKNS_10TensorBaseES9_NS_15PhiloxCudaStateEEUliRdSB_SB_SB_RKfSD_SD_SD_E_dSC_jLi1ELin1ELi4ELi512ELi2EEEvNS0_6detail10TensorInfoIT0_T2_EENSG_IT1_SI_EESI_T_
    .private_segment_fixed_size: 0
    .sgpr_count:     71
    .sgpr_spill_count: 0
    .symbol:         _ZN2at4cuda12_GLOBAL__N_121kernelPointwiseApply2IZNS_6native9templates4cuda28bernoulli_tensor_cuda_kernelIdfEEvRKNS_10TensorBaseES9_NS_15PhiloxCudaStateEEUliRdSB_SB_SB_RKfSD_SD_SD_E_dSC_jLi1ELin1ELi4ELi512ELi2EEEvNS0_6detail10TensorInfoIT0_T2_EENSG_IT1_SI_EESI_T_.kd
    .uniform_work_group_size: 1
    .uses_dynamic_stack: false
    .vgpr_count:     50
    .vgpr_spill_count: 0
    .wavefront_size: 64
  - .agpr_count:     0
    .args:
      - .offset:         0
        .size:           216
        .value_kind:     by_value
      - .offset:         216
        .size:           216
        .value_kind:     by_value
      - .offset:         432
        .size:           4
        .value_kind:     by_value
      - .offset:         440
        .size:           32
        .value_kind:     by_value
      - .offset:         472
        .size:           4
        .value_kind:     hidden_block_count_x
      - .offset:         476
        .size:           4
        .value_kind:     hidden_block_count_y
      - .offset:         480
        .size:           4
        .value_kind:     hidden_block_count_z
      - .offset:         484
        .size:           2
        .value_kind:     hidden_group_size_x
      - .offset:         486
        .size:           2
        .value_kind:     hidden_group_size_y
      - .offset:         488
        .size:           2
        .value_kind:     hidden_group_size_z
      - .offset:         490
        .size:           2
        .value_kind:     hidden_remainder_x
      - .offset:         492
        .size:           2
        .value_kind:     hidden_remainder_y
      - .offset:         494
        .size:           2
        .value_kind:     hidden_remainder_z
      - .offset:         512
        .size:           8
        .value_kind:     hidden_global_offset_x
      - .offset:         520
        .size:           8
        .value_kind:     hidden_global_offset_y
      - .offset:         528
        .size:           8
        .value_kind:     hidden_global_offset_z
      - .offset:         536
        .size:           2
        .value_kind:     hidden_grid_dims
    .group_segment_fixed_size: 0
    .kernarg_segment_align: 8
    .kernarg_segment_size: 728
    .language:       OpenCL C
    .language_version:
      - 2
      - 0
    .max_flat_workgroup_size: 512
    .name:           _ZN2at4cuda12_GLOBAL__N_121kernelPointwiseApply2IZNS_6native9templates4cuda28bernoulli_tensor_cuda_kernelIdfEEvRKNS_10TensorBaseES9_NS_15PhiloxCudaStateEEUliRdSB_SB_SB_RKfSD_SD_SD_E_dSC_jLi2ELi1ELi4ELi512ELi2EEEvNS0_6detail10TensorInfoIT0_T2_EENSG_IT1_SI_EESI_T_
    .private_segment_fixed_size: 0
    .sgpr_count:     64
    .sgpr_spill_count: 0
    .symbol:         _ZN2at4cuda12_GLOBAL__N_121kernelPointwiseApply2IZNS_6native9templates4cuda28bernoulli_tensor_cuda_kernelIdfEEvRKNS_10TensorBaseES9_NS_15PhiloxCudaStateEEUliRdSB_SB_SB_RKfSD_SD_SD_E_dSC_jLi2ELi1ELi4ELi512ELi2EEEvNS0_6detail10TensorInfoIT0_T2_EENSG_IT1_SI_EESI_T_.kd
    .uniform_work_group_size: 1
    .uses_dynamic_stack: false
    .vgpr_count:     58
    .vgpr_spill_count: 0
    .wavefront_size: 64
  - .agpr_count:     0
    .args:
      - .offset:         0
        .size:           216
        .value_kind:     by_value
      - .offset:         216
        .size:           216
        .value_kind:     by_value
      - .offset:         432
        .size:           4
        .value_kind:     by_value
      - .offset:         440
        .size:           32
        .value_kind:     by_value
      - .offset:         472
        .size:           4
        .value_kind:     hidden_block_count_x
      - .offset:         476
        .size:           4
        .value_kind:     hidden_block_count_y
      - .offset:         480
        .size:           4
        .value_kind:     hidden_block_count_z
      - .offset:         484
        .size:           2
        .value_kind:     hidden_group_size_x
      - .offset:         486
        .size:           2
        .value_kind:     hidden_group_size_y
      - .offset:         488
        .size:           2
        .value_kind:     hidden_group_size_z
      - .offset:         490
        .size:           2
        .value_kind:     hidden_remainder_x
      - .offset:         492
        .size:           2
        .value_kind:     hidden_remainder_y
      - .offset:         494
        .size:           2
        .value_kind:     hidden_remainder_z
      - .offset:         512
        .size:           8
        .value_kind:     hidden_global_offset_x
      - .offset:         520
        .size:           8
        .value_kind:     hidden_global_offset_y
      - .offset:         528
        .size:           8
        .value_kind:     hidden_global_offset_z
      - .offset:         536
        .size:           2
        .value_kind:     hidden_grid_dims
    .group_segment_fixed_size: 0
    .kernarg_segment_align: 8
    .kernarg_segment_size: 728
    .language:       OpenCL C
    .language_version:
      - 2
      - 0
    .max_flat_workgroup_size: 512
    .name:           _ZN2at4cuda12_GLOBAL__N_121kernelPointwiseApply2IZNS_6native9templates4cuda28bernoulli_tensor_cuda_kernelIdfEEvRKNS_10TensorBaseES9_NS_15PhiloxCudaStateEEUliRdSB_SB_SB_RKfSD_SD_SD_E_dSC_jLi2ELi2ELi4ELi512ELi2EEEvNS0_6detail10TensorInfoIT0_T2_EENSG_IT1_SI_EESI_T_
    .private_segment_fixed_size: 0
    .sgpr_count:     66
    .sgpr_spill_count: 0
    .symbol:         _ZN2at4cuda12_GLOBAL__N_121kernelPointwiseApply2IZNS_6native9templates4cuda28bernoulli_tensor_cuda_kernelIdfEEvRKNS_10TensorBaseES9_NS_15PhiloxCudaStateEEUliRdSB_SB_SB_RKfSD_SD_SD_E_dSC_jLi2ELi2ELi4ELi512ELi2EEEvNS0_6detail10TensorInfoIT0_T2_EENSG_IT1_SI_EESI_T_.kd
    .uniform_work_group_size: 1
    .uses_dynamic_stack: false
    .vgpr_count:     54
    .vgpr_spill_count: 0
    .wavefront_size: 64
  - .agpr_count:     0
    .args:
      - .offset:         0
        .size:           216
        .value_kind:     by_value
      - .offset:         216
        .size:           216
        .value_kind:     by_value
      - .offset:         432
        .size:           4
        .value_kind:     by_value
      - .offset:         440
        .size:           32
        .value_kind:     by_value
      - .offset:         472
        .size:           4
        .value_kind:     hidden_block_count_x
      - .offset:         476
        .size:           4
        .value_kind:     hidden_block_count_y
      - .offset:         480
        .size:           4
        .value_kind:     hidden_block_count_z
      - .offset:         484
        .size:           2
        .value_kind:     hidden_group_size_x
      - .offset:         486
        .size:           2
        .value_kind:     hidden_group_size_y
      - .offset:         488
        .size:           2
        .value_kind:     hidden_group_size_z
      - .offset:         490
        .size:           2
        .value_kind:     hidden_remainder_x
      - .offset:         492
        .size:           2
        .value_kind:     hidden_remainder_y
      - .offset:         494
        .size:           2
        .value_kind:     hidden_remainder_z
      - .offset:         512
        .size:           8
        .value_kind:     hidden_global_offset_x
      - .offset:         520
        .size:           8
        .value_kind:     hidden_global_offset_y
      - .offset:         528
        .size:           8
        .value_kind:     hidden_global_offset_z
      - .offset:         536
        .size:           2
        .value_kind:     hidden_grid_dims
    .group_segment_fixed_size: 0
    .kernarg_segment_align: 8
    .kernarg_segment_size: 728
    .language:       OpenCL C
    .language_version:
      - 2
      - 0
    .max_flat_workgroup_size: 512
    .name:           _ZN2at4cuda12_GLOBAL__N_121kernelPointwiseApply2IZNS_6native9templates4cuda28bernoulli_tensor_cuda_kernelIdfEEvRKNS_10TensorBaseES9_NS_15PhiloxCudaStateEEUliRdSB_SB_SB_RKfSD_SD_SD_E_dSC_jLi2ELin1ELi4ELi512ELi2EEEvNS0_6detail10TensorInfoIT0_T2_EENSG_IT1_SI_EESI_T_
    .private_segment_fixed_size: 0
    .sgpr_count:     65
    .sgpr_spill_count: 0
    .symbol:         _ZN2at4cuda12_GLOBAL__N_121kernelPointwiseApply2IZNS_6native9templates4cuda28bernoulli_tensor_cuda_kernelIdfEEvRKNS_10TensorBaseES9_NS_15PhiloxCudaStateEEUliRdSB_SB_SB_RKfSD_SD_SD_E_dSC_jLi2ELin1ELi4ELi512ELi2EEEvNS0_6detail10TensorInfoIT0_T2_EENSG_IT1_SI_EESI_T_.kd
    .uniform_work_group_size: 1
    .uses_dynamic_stack: false
    .vgpr_count:     52
    .vgpr_spill_count: 0
    .wavefront_size: 64
  - .agpr_count:     0
    .args:
      - .offset:         0
        .size:           216
        .value_kind:     by_value
      - .offset:         216
        .size:           216
        .value_kind:     by_value
      - .offset:         432
        .size:           4
        .value_kind:     by_value
      - .offset:         440
        .size:           32
        .value_kind:     by_value
      - .offset:         472
        .size:           4
        .value_kind:     hidden_block_count_x
      - .offset:         476
        .size:           4
        .value_kind:     hidden_block_count_y
      - .offset:         480
        .size:           4
        .value_kind:     hidden_block_count_z
      - .offset:         484
        .size:           2
        .value_kind:     hidden_group_size_x
      - .offset:         486
        .size:           2
        .value_kind:     hidden_group_size_y
      - .offset:         488
        .size:           2
        .value_kind:     hidden_group_size_z
      - .offset:         490
        .size:           2
        .value_kind:     hidden_remainder_x
      - .offset:         492
        .size:           2
        .value_kind:     hidden_remainder_y
      - .offset:         494
        .size:           2
        .value_kind:     hidden_remainder_z
      - .offset:         512
        .size:           8
        .value_kind:     hidden_global_offset_x
      - .offset:         520
        .size:           8
        .value_kind:     hidden_global_offset_y
      - .offset:         528
        .size:           8
        .value_kind:     hidden_global_offset_z
      - .offset:         536
        .size:           2
        .value_kind:     hidden_grid_dims
    .group_segment_fixed_size: 0
    .kernarg_segment_align: 8
    .kernarg_segment_size: 728
    .language:       OpenCL C
    .language_version:
      - 2
      - 0
    .max_flat_workgroup_size: 512
    .name:           _ZN2at4cuda12_GLOBAL__N_121kernelPointwiseApply2IZNS_6native9templates4cuda28bernoulli_tensor_cuda_kernelIdfEEvRKNS_10TensorBaseES9_NS_15PhiloxCudaStateEEUliRdSB_SB_SB_RKfSD_SD_SD_E_dSC_jLin1ELi1ELi4ELi512ELi2EEEvNS0_6detail10TensorInfoIT0_T2_EENSG_IT1_SI_EESI_T_
    .private_segment_fixed_size: 0
    .sgpr_count:     65
    .sgpr_spill_count: 0
    .symbol:         _ZN2at4cuda12_GLOBAL__N_121kernelPointwiseApply2IZNS_6native9templates4cuda28bernoulli_tensor_cuda_kernelIdfEEvRKNS_10TensorBaseES9_NS_15PhiloxCudaStateEEUliRdSB_SB_SB_RKfSD_SD_SD_E_dSC_jLin1ELi1ELi4ELi512ELi2EEEvNS0_6detail10TensorInfoIT0_T2_EENSG_IT1_SI_EESI_T_.kd
    .uniform_work_group_size: 1
    .uses_dynamic_stack: false
    .vgpr_count:     52
    .vgpr_spill_count: 0
    .wavefront_size: 64
  - .agpr_count:     0
    .args:
      - .offset:         0
        .size:           216
        .value_kind:     by_value
      - .offset:         216
        .size:           216
        .value_kind:     by_value
      - .offset:         432
        .size:           4
        .value_kind:     by_value
      - .offset:         440
        .size:           32
        .value_kind:     by_value
      - .offset:         472
        .size:           4
        .value_kind:     hidden_block_count_x
      - .offset:         476
        .size:           4
        .value_kind:     hidden_block_count_y
      - .offset:         480
        .size:           4
        .value_kind:     hidden_block_count_z
      - .offset:         484
        .size:           2
        .value_kind:     hidden_group_size_x
      - .offset:         486
        .size:           2
        .value_kind:     hidden_group_size_y
      - .offset:         488
        .size:           2
        .value_kind:     hidden_group_size_z
      - .offset:         490
        .size:           2
        .value_kind:     hidden_remainder_x
      - .offset:         492
        .size:           2
        .value_kind:     hidden_remainder_y
      - .offset:         494
        .size:           2
        .value_kind:     hidden_remainder_z
      - .offset:         512
        .size:           8
        .value_kind:     hidden_global_offset_x
      - .offset:         520
        .size:           8
        .value_kind:     hidden_global_offset_y
      - .offset:         528
        .size:           8
        .value_kind:     hidden_global_offset_z
      - .offset:         536
        .size:           2
        .value_kind:     hidden_grid_dims
    .group_segment_fixed_size: 0
    .kernarg_segment_align: 8
    .kernarg_segment_size: 728
    .language:       OpenCL C
    .language_version:
      - 2
      - 0
    .max_flat_workgroup_size: 512
    .name:           _ZN2at4cuda12_GLOBAL__N_121kernelPointwiseApply2IZNS_6native9templates4cuda28bernoulli_tensor_cuda_kernelIdfEEvRKNS_10TensorBaseES9_NS_15PhiloxCudaStateEEUliRdSB_SB_SB_RKfSD_SD_SD_E_dSC_jLin1ELi2ELi4ELi512ELi2EEEvNS0_6detail10TensorInfoIT0_T2_EENSG_IT1_SI_EESI_T_
    .private_segment_fixed_size: 0
    .sgpr_count:     67
    .sgpr_spill_count: 0
    .symbol:         _ZN2at4cuda12_GLOBAL__N_121kernelPointwiseApply2IZNS_6native9templates4cuda28bernoulli_tensor_cuda_kernelIdfEEvRKNS_10TensorBaseES9_NS_15PhiloxCudaStateEEUliRdSB_SB_SB_RKfSD_SD_SD_E_dSC_jLin1ELi2ELi4ELi512ELi2EEEvNS0_6detail10TensorInfoIT0_T2_EENSG_IT1_SI_EESI_T_.kd
    .uniform_work_group_size: 1
    .uses_dynamic_stack: false
    .vgpr_count:     52
    .vgpr_spill_count: 0
    .wavefront_size: 64
  - .agpr_count:     0
    .args:
      - .offset:         0
        .size:           216
        .value_kind:     by_value
      - .offset:         216
        .size:           216
        .value_kind:     by_value
      - .offset:         432
        .size:           4
        .value_kind:     by_value
      - .offset:         440
        .size:           32
        .value_kind:     by_value
      - .offset:         472
        .size:           4
        .value_kind:     hidden_block_count_x
      - .offset:         476
        .size:           4
        .value_kind:     hidden_block_count_y
      - .offset:         480
        .size:           4
        .value_kind:     hidden_block_count_z
      - .offset:         484
        .size:           2
        .value_kind:     hidden_group_size_x
      - .offset:         486
        .size:           2
        .value_kind:     hidden_group_size_y
      - .offset:         488
        .size:           2
        .value_kind:     hidden_group_size_z
      - .offset:         490
        .size:           2
        .value_kind:     hidden_remainder_x
      - .offset:         492
        .size:           2
        .value_kind:     hidden_remainder_y
      - .offset:         494
        .size:           2
        .value_kind:     hidden_remainder_z
      - .offset:         512
        .size:           8
        .value_kind:     hidden_global_offset_x
      - .offset:         520
        .size:           8
        .value_kind:     hidden_global_offset_y
      - .offset:         528
        .size:           8
        .value_kind:     hidden_global_offset_z
      - .offset:         536
        .size:           2
        .value_kind:     hidden_grid_dims
    .group_segment_fixed_size: 0
    .kernarg_segment_align: 8
    .kernarg_segment_size: 728
    .language:       OpenCL C
    .language_version:
      - 2
      - 0
    .max_flat_workgroup_size: 512
    .name:           _ZN2at4cuda12_GLOBAL__N_121kernelPointwiseApply2IZNS_6native9templates4cuda28bernoulli_tensor_cuda_kernelIdfEEvRKNS_10TensorBaseES9_NS_15PhiloxCudaStateEEUliRdSB_SB_SB_RKfSD_SD_SD_E_dSC_jLin1ELin1ELi4ELi512ELi2EEEvNS0_6detail10TensorInfoIT0_T2_EENSG_IT1_SI_EESI_T_
    .private_segment_fixed_size: 0
    .sgpr_count:     68
    .sgpr_spill_count: 0
    .symbol:         _ZN2at4cuda12_GLOBAL__N_121kernelPointwiseApply2IZNS_6native9templates4cuda28bernoulli_tensor_cuda_kernelIdfEEvRKNS_10TensorBaseES9_NS_15PhiloxCudaStateEEUliRdSB_SB_SB_RKfSD_SD_SD_E_dSC_jLin1ELin1ELi4ELi512ELi2EEEvNS0_6detail10TensorInfoIT0_T2_EENSG_IT1_SI_EESI_T_.kd
    .uniform_work_group_size: 1
    .uses_dynamic_stack: false
    .vgpr_count:     51
    .vgpr_spill_count: 0
    .wavefront_size: 64
  - .agpr_count:     0
    .args:
      - .offset:         0
        .size:           416
        .value_kind:     by_value
      - .offset:         416
        .size:           416
        .value_kind:     by_value
      - .offset:         832
        .size:           8
        .value_kind:     by_value
      - .offset:         840
        .size:           32
        .value_kind:     by_value
      - .offset:         872
        .size:           4
        .value_kind:     hidden_block_count_x
      - .offset:         876
        .size:           4
        .value_kind:     hidden_block_count_y
      - .offset:         880
        .size:           4
        .value_kind:     hidden_block_count_z
      - .offset:         884
        .size:           2
        .value_kind:     hidden_group_size_x
      - .offset:         886
        .size:           2
        .value_kind:     hidden_group_size_y
      - .offset:         888
        .size:           2
        .value_kind:     hidden_group_size_z
      - .offset:         890
        .size:           2
        .value_kind:     hidden_remainder_x
      - .offset:         892
        .size:           2
        .value_kind:     hidden_remainder_y
      - .offset:         894
        .size:           2
        .value_kind:     hidden_remainder_z
      - .offset:         912
        .size:           8
        .value_kind:     hidden_global_offset_x
      - .offset:         920
        .size:           8
        .value_kind:     hidden_global_offset_y
      - .offset:         928
        .size:           8
        .value_kind:     hidden_global_offset_z
      - .offset:         936
        .size:           2
        .value_kind:     hidden_grid_dims
    .group_segment_fixed_size: 0
    .kernarg_segment_align: 8
    .kernarg_segment_size: 1128
    .language:       OpenCL C
    .language_version:
      - 2
      - 0
    .max_flat_workgroup_size: 512
    .name:           _ZN2at4cuda12_GLOBAL__N_121kernelPointwiseApply2IZNS_6native9templates4cuda28bernoulli_tensor_cuda_kernelIdfEEvRKNS_10TensorBaseES9_NS_15PhiloxCudaStateEEUliRdSB_SB_SB_RKfSD_SD_SD_E_dSC_mLi1ELi1ELi4ELi512ELi2EEEvNS0_6detail10TensorInfoIT0_T2_EENSG_IT1_SI_EESI_T_
    .private_segment_fixed_size: 0
    .sgpr_count:     71
    .sgpr_spill_count: 0
    .symbol:         _ZN2at4cuda12_GLOBAL__N_121kernelPointwiseApply2IZNS_6native9templates4cuda28bernoulli_tensor_cuda_kernelIdfEEvRKNS_10TensorBaseES9_NS_15PhiloxCudaStateEEUliRdSB_SB_SB_RKfSD_SD_SD_E_dSC_mLi1ELi1ELi4ELi512ELi2EEEvNS0_6detail10TensorInfoIT0_T2_EENSG_IT1_SI_EESI_T_.kd
    .uniform_work_group_size: 1
    .uses_dynamic_stack: false
    .vgpr_count:     63
    .vgpr_spill_count: 0
    .wavefront_size: 64
  - .agpr_count:     0
    .args:
      - .offset:         0
        .size:           416
        .value_kind:     by_value
      - .offset:         416
        .size:           416
        .value_kind:     by_value
      - .offset:         832
        .size:           8
        .value_kind:     by_value
      - .offset:         840
        .size:           32
        .value_kind:     by_value
      - .offset:         872
        .size:           4
        .value_kind:     hidden_block_count_x
      - .offset:         876
        .size:           4
        .value_kind:     hidden_block_count_y
      - .offset:         880
        .size:           4
        .value_kind:     hidden_block_count_z
      - .offset:         884
        .size:           2
        .value_kind:     hidden_group_size_x
      - .offset:         886
        .size:           2
        .value_kind:     hidden_group_size_y
      - .offset:         888
        .size:           2
        .value_kind:     hidden_group_size_z
      - .offset:         890
        .size:           2
        .value_kind:     hidden_remainder_x
      - .offset:         892
        .size:           2
        .value_kind:     hidden_remainder_y
      - .offset:         894
        .size:           2
        .value_kind:     hidden_remainder_z
      - .offset:         912
        .size:           8
        .value_kind:     hidden_global_offset_x
      - .offset:         920
        .size:           8
        .value_kind:     hidden_global_offset_y
      - .offset:         928
        .size:           8
        .value_kind:     hidden_global_offset_z
      - .offset:         936
        .size:           2
        .value_kind:     hidden_grid_dims
    .group_segment_fixed_size: 0
    .kernarg_segment_align: 8
    .kernarg_segment_size: 1128
    .language:       OpenCL C
    .language_version:
      - 2
      - 0
    .max_flat_workgroup_size: 512
    .name:           _ZN2at4cuda12_GLOBAL__N_121kernelPointwiseApply2IZNS_6native9templates4cuda28bernoulli_tensor_cuda_kernelIdfEEvRKNS_10TensorBaseES9_NS_15PhiloxCudaStateEEUliRdSB_SB_SB_RKfSD_SD_SD_E_dSC_mLin1ELin1ELi4ELi512ELi2EEEvNS0_6detail10TensorInfoIT0_T2_EENSG_IT1_SI_EESI_T_
    .private_segment_fixed_size: 0
    .sgpr_count:     72
    .sgpr_spill_count: 0
    .symbol:         _ZN2at4cuda12_GLOBAL__N_121kernelPointwiseApply2IZNS_6native9templates4cuda28bernoulli_tensor_cuda_kernelIdfEEvRKNS_10TensorBaseES9_NS_15PhiloxCudaStateEEUliRdSB_SB_SB_RKfSD_SD_SD_E_dSC_mLin1ELin1ELi4ELi512ELi2EEEvNS0_6detail10TensorInfoIT0_T2_EENSG_IT1_SI_EESI_T_.kd
    .uniform_work_group_size: 1
    .uses_dynamic_stack: false
    .vgpr_count:     55
    .vgpr_spill_count: 0
    .wavefront_size: 64
  - .agpr_count:     0
    .args:
      - .offset:         0
        .size:           216
        .value_kind:     by_value
      - .offset:         216
        .size:           216
        .value_kind:     by_value
      - .offset:         432
        .size:           4
        .value_kind:     by_value
      - .offset:         440
        .size:           32
        .value_kind:     by_value
      - .offset:         472
        .size:           4
        .value_kind:     hidden_block_count_x
      - .offset:         476
        .size:           4
        .value_kind:     hidden_block_count_y
      - .offset:         480
        .size:           4
        .value_kind:     hidden_block_count_z
      - .offset:         484
        .size:           2
        .value_kind:     hidden_group_size_x
      - .offset:         486
        .size:           2
        .value_kind:     hidden_group_size_y
      - .offset:         488
        .size:           2
        .value_kind:     hidden_group_size_z
      - .offset:         490
        .size:           2
        .value_kind:     hidden_remainder_x
      - .offset:         492
        .size:           2
        .value_kind:     hidden_remainder_y
      - .offset:         494
        .size:           2
        .value_kind:     hidden_remainder_z
      - .offset:         512
        .size:           8
        .value_kind:     hidden_global_offset_x
      - .offset:         520
        .size:           8
        .value_kind:     hidden_global_offset_y
      - .offset:         528
        .size:           8
        .value_kind:     hidden_global_offset_z
      - .offset:         536
        .size:           2
        .value_kind:     hidden_grid_dims
    .group_segment_fixed_size: 0
    .kernarg_segment_align: 8
    .kernarg_segment_size: 728
    .language:       OpenCL C
    .language_version:
      - 2
      - 0
    .max_flat_workgroup_size: 512
    .name:           _ZN2at4cuda12_GLOBAL__N_121kernelPointwiseApply2IZNS_6native9templates4cuda28bernoulli_tensor_cuda_kernelIffEEvRKNS_10TensorBaseES9_NS_15PhiloxCudaStateEEUliRfSB_SB_SB_RKfSD_SD_SD_E_fSC_jLi1ELi1ELi4ELi512ELi2EEEvNS0_6detail10TensorInfoIT0_T2_EENSG_IT1_SI_EESI_T_
    .private_segment_fixed_size: 0
    .sgpr_count:     62
    .sgpr_spill_count: 0
    .symbol:         _ZN2at4cuda12_GLOBAL__N_121kernelPointwiseApply2IZNS_6native9templates4cuda28bernoulli_tensor_cuda_kernelIffEEvRKNS_10TensorBaseES9_NS_15PhiloxCudaStateEEUliRfSB_SB_SB_RKfSD_SD_SD_E_fSC_jLi1ELi1ELi4ELi512ELi2EEEvNS0_6detail10TensorInfoIT0_T2_EENSG_IT1_SI_EESI_T_.kd
    .uniform_work_group_size: 1
    .uses_dynamic_stack: false
    .vgpr_count:     50
    .vgpr_spill_count: 0
    .wavefront_size: 64
  - .agpr_count:     0
    .args:
      - .offset:         0
        .size:           216
        .value_kind:     by_value
      - .offset:         216
        .size:           216
        .value_kind:     by_value
      - .offset:         432
        .size:           4
        .value_kind:     by_value
      - .offset:         440
        .size:           32
        .value_kind:     by_value
      - .offset:         472
        .size:           4
        .value_kind:     hidden_block_count_x
      - .offset:         476
        .size:           4
        .value_kind:     hidden_block_count_y
      - .offset:         480
        .size:           4
        .value_kind:     hidden_block_count_z
      - .offset:         484
        .size:           2
        .value_kind:     hidden_group_size_x
      - .offset:         486
        .size:           2
        .value_kind:     hidden_group_size_y
      - .offset:         488
        .size:           2
        .value_kind:     hidden_group_size_z
      - .offset:         490
        .size:           2
        .value_kind:     hidden_remainder_x
      - .offset:         492
        .size:           2
        .value_kind:     hidden_remainder_y
      - .offset:         494
        .size:           2
        .value_kind:     hidden_remainder_z
      - .offset:         512
        .size:           8
        .value_kind:     hidden_global_offset_x
      - .offset:         520
        .size:           8
        .value_kind:     hidden_global_offset_y
      - .offset:         528
        .size:           8
        .value_kind:     hidden_global_offset_z
      - .offset:         536
        .size:           2
        .value_kind:     hidden_grid_dims
    .group_segment_fixed_size: 0
    .kernarg_segment_align: 8
    .kernarg_segment_size: 728
    .language:       OpenCL C
    .language_version:
      - 2
      - 0
    .max_flat_workgroup_size: 512
    .name:           _ZN2at4cuda12_GLOBAL__N_121kernelPointwiseApply2IZNS_6native9templates4cuda28bernoulli_tensor_cuda_kernelIffEEvRKNS_10TensorBaseES9_NS_15PhiloxCudaStateEEUliRfSB_SB_SB_RKfSD_SD_SD_E_fSC_jLi1ELi2ELi4ELi512ELi2EEEvNS0_6detail10TensorInfoIT0_T2_EENSG_IT1_SI_EESI_T_
    .private_segment_fixed_size: 0
    .sgpr_count:     68
    .sgpr_spill_count: 0
    .symbol:         _ZN2at4cuda12_GLOBAL__N_121kernelPointwiseApply2IZNS_6native9templates4cuda28bernoulli_tensor_cuda_kernelIffEEvRKNS_10TensorBaseES9_NS_15PhiloxCudaStateEEUliRfSB_SB_SB_RKfSD_SD_SD_E_fSC_jLi1ELi2ELi4ELi512ELi2EEEvNS0_6detail10TensorInfoIT0_T2_EENSG_IT1_SI_EESI_T_.kd
    .uniform_work_group_size: 1
    .uses_dynamic_stack: false
    .vgpr_count:     54
    .vgpr_spill_count: 0
    .wavefront_size: 64
  - .agpr_count:     0
    .args:
      - .offset:         0
        .size:           216
        .value_kind:     by_value
      - .offset:         216
        .size:           216
        .value_kind:     by_value
      - .offset:         432
        .size:           4
        .value_kind:     by_value
      - .offset:         440
        .size:           32
        .value_kind:     by_value
      - .offset:         472
        .size:           4
        .value_kind:     hidden_block_count_x
      - .offset:         476
        .size:           4
        .value_kind:     hidden_block_count_y
      - .offset:         480
        .size:           4
        .value_kind:     hidden_block_count_z
      - .offset:         484
        .size:           2
        .value_kind:     hidden_group_size_x
      - .offset:         486
        .size:           2
        .value_kind:     hidden_group_size_y
      - .offset:         488
        .size:           2
        .value_kind:     hidden_group_size_z
      - .offset:         490
        .size:           2
        .value_kind:     hidden_remainder_x
      - .offset:         492
        .size:           2
        .value_kind:     hidden_remainder_y
      - .offset:         494
        .size:           2
        .value_kind:     hidden_remainder_z
      - .offset:         512
        .size:           8
        .value_kind:     hidden_global_offset_x
      - .offset:         520
        .size:           8
        .value_kind:     hidden_global_offset_y
      - .offset:         528
        .size:           8
        .value_kind:     hidden_global_offset_z
      - .offset:         536
        .size:           2
        .value_kind:     hidden_grid_dims
    .group_segment_fixed_size: 0
    .kernarg_segment_align: 8
    .kernarg_segment_size: 728
    .language:       OpenCL C
    .language_version:
      - 2
      - 0
    .max_flat_workgroup_size: 512
    .name:           _ZN2at4cuda12_GLOBAL__N_121kernelPointwiseApply2IZNS_6native9templates4cuda28bernoulli_tensor_cuda_kernelIffEEvRKNS_10TensorBaseES9_NS_15PhiloxCudaStateEEUliRfSB_SB_SB_RKfSD_SD_SD_E_fSC_jLi1ELin1ELi4ELi512ELi2EEEvNS0_6detail10TensorInfoIT0_T2_EENSG_IT1_SI_EESI_T_
    .private_segment_fixed_size: 0
    .sgpr_count:     71
    .sgpr_spill_count: 0
    .symbol:         _ZN2at4cuda12_GLOBAL__N_121kernelPointwiseApply2IZNS_6native9templates4cuda28bernoulli_tensor_cuda_kernelIffEEvRKNS_10TensorBaseES9_NS_15PhiloxCudaStateEEUliRfSB_SB_SB_RKfSD_SD_SD_E_fSC_jLi1ELin1ELi4ELi512ELi2EEEvNS0_6detail10TensorInfoIT0_T2_EENSG_IT1_SI_EESI_T_.kd
    .uniform_work_group_size: 1
    .uses_dynamic_stack: false
    .vgpr_count:     51
    .vgpr_spill_count: 0
    .wavefront_size: 64
  - .agpr_count:     0
    .args:
      - .offset:         0
        .size:           216
        .value_kind:     by_value
      - .offset:         216
        .size:           216
        .value_kind:     by_value
      - .offset:         432
        .size:           4
        .value_kind:     by_value
      - .offset:         440
        .size:           32
        .value_kind:     by_value
      - .offset:         472
        .size:           4
        .value_kind:     hidden_block_count_x
      - .offset:         476
        .size:           4
        .value_kind:     hidden_block_count_y
      - .offset:         480
        .size:           4
        .value_kind:     hidden_block_count_z
      - .offset:         484
        .size:           2
        .value_kind:     hidden_group_size_x
      - .offset:         486
        .size:           2
        .value_kind:     hidden_group_size_y
      - .offset:         488
        .size:           2
        .value_kind:     hidden_group_size_z
      - .offset:         490
        .size:           2
        .value_kind:     hidden_remainder_x
      - .offset:         492
        .size:           2
        .value_kind:     hidden_remainder_y
      - .offset:         494
        .size:           2
        .value_kind:     hidden_remainder_z
      - .offset:         512
        .size:           8
        .value_kind:     hidden_global_offset_x
      - .offset:         520
        .size:           8
        .value_kind:     hidden_global_offset_y
      - .offset:         528
        .size:           8
        .value_kind:     hidden_global_offset_z
      - .offset:         536
        .size:           2
        .value_kind:     hidden_grid_dims
    .group_segment_fixed_size: 0
    .kernarg_segment_align: 8
    .kernarg_segment_size: 728
    .language:       OpenCL C
    .language_version:
      - 2
      - 0
    .max_flat_workgroup_size: 512
    .name:           _ZN2at4cuda12_GLOBAL__N_121kernelPointwiseApply2IZNS_6native9templates4cuda28bernoulli_tensor_cuda_kernelIffEEvRKNS_10TensorBaseES9_NS_15PhiloxCudaStateEEUliRfSB_SB_SB_RKfSD_SD_SD_E_fSC_jLi2ELi1ELi4ELi512ELi2EEEvNS0_6detail10TensorInfoIT0_T2_EENSG_IT1_SI_EESI_T_
    .private_segment_fixed_size: 0
    .sgpr_count:     68
    .sgpr_spill_count: 0
    .symbol:         _ZN2at4cuda12_GLOBAL__N_121kernelPointwiseApply2IZNS_6native9templates4cuda28bernoulli_tensor_cuda_kernelIffEEvRKNS_10TensorBaseES9_NS_15PhiloxCudaStateEEUliRfSB_SB_SB_RKfSD_SD_SD_E_fSC_jLi2ELi1ELi4ELi512ELi2EEEvNS0_6detail10TensorInfoIT0_T2_EENSG_IT1_SI_EESI_T_.kd
    .uniform_work_group_size: 1
    .uses_dynamic_stack: false
    .vgpr_count:     54
    .vgpr_spill_count: 0
    .wavefront_size: 64
  - .agpr_count:     0
    .args:
      - .offset:         0
        .size:           216
        .value_kind:     by_value
      - .offset:         216
        .size:           216
        .value_kind:     by_value
      - .offset:         432
        .size:           4
        .value_kind:     by_value
      - .offset:         440
        .size:           32
        .value_kind:     by_value
      - .offset:         472
        .size:           4
        .value_kind:     hidden_block_count_x
      - .offset:         476
        .size:           4
        .value_kind:     hidden_block_count_y
      - .offset:         480
        .size:           4
        .value_kind:     hidden_block_count_z
      - .offset:         484
        .size:           2
        .value_kind:     hidden_group_size_x
      - .offset:         486
        .size:           2
        .value_kind:     hidden_group_size_y
      - .offset:         488
        .size:           2
        .value_kind:     hidden_group_size_z
      - .offset:         490
        .size:           2
        .value_kind:     hidden_remainder_x
      - .offset:         492
        .size:           2
        .value_kind:     hidden_remainder_y
      - .offset:         494
        .size:           2
        .value_kind:     hidden_remainder_z
      - .offset:         512
        .size:           8
        .value_kind:     hidden_global_offset_x
      - .offset:         520
        .size:           8
        .value_kind:     hidden_global_offset_y
      - .offset:         528
        .size:           8
        .value_kind:     hidden_global_offset_z
      - .offset:         536
        .size:           2
        .value_kind:     hidden_grid_dims
    .group_segment_fixed_size: 0
    .kernarg_segment_align: 8
    .kernarg_segment_size: 728
    .language:       OpenCL C
    .language_version:
      - 2
      - 0
    .max_flat_workgroup_size: 512
    .name:           _ZN2at4cuda12_GLOBAL__N_121kernelPointwiseApply2IZNS_6native9templates4cuda28bernoulli_tensor_cuda_kernelIffEEvRKNS_10TensorBaseES9_NS_15PhiloxCudaStateEEUliRfSB_SB_SB_RKfSD_SD_SD_E_fSC_jLi2ELi2ELi4ELi512ELi2EEEvNS0_6detail10TensorInfoIT0_T2_EENSG_IT1_SI_EESI_T_
    .private_segment_fixed_size: 0
    .sgpr_count:     66
    .sgpr_spill_count: 0
    .symbol:         _ZN2at4cuda12_GLOBAL__N_121kernelPointwiseApply2IZNS_6native9templates4cuda28bernoulli_tensor_cuda_kernelIffEEvRKNS_10TensorBaseES9_NS_15PhiloxCudaStateEEUliRfSB_SB_SB_RKfSD_SD_SD_E_fSC_jLi2ELi2ELi4ELi512ELi2EEEvNS0_6detail10TensorInfoIT0_T2_EENSG_IT1_SI_EESI_T_.kd
    .uniform_work_group_size: 1
    .uses_dynamic_stack: false
    .vgpr_count:     55
    .vgpr_spill_count: 0
    .wavefront_size: 64
  - .agpr_count:     0
    .args:
      - .offset:         0
        .size:           216
        .value_kind:     by_value
      - .offset:         216
        .size:           216
        .value_kind:     by_value
      - .offset:         432
        .size:           4
        .value_kind:     by_value
      - .offset:         440
        .size:           32
        .value_kind:     by_value
      - .offset:         472
        .size:           4
        .value_kind:     hidden_block_count_x
      - .offset:         476
        .size:           4
        .value_kind:     hidden_block_count_y
      - .offset:         480
        .size:           4
        .value_kind:     hidden_block_count_z
      - .offset:         484
        .size:           2
        .value_kind:     hidden_group_size_x
      - .offset:         486
        .size:           2
        .value_kind:     hidden_group_size_y
      - .offset:         488
        .size:           2
        .value_kind:     hidden_group_size_z
      - .offset:         490
        .size:           2
        .value_kind:     hidden_remainder_x
      - .offset:         492
        .size:           2
        .value_kind:     hidden_remainder_y
      - .offset:         494
        .size:           2
        .value_kind:     hidden_remainder_z
      - .offset:         512
        .size:           8
        .value_kind:     hidden_global_offset_x
      - .offset:         520
        .size:           8
        .value_kind:     hidden_global_offset_y
      - .offset:         528
        .size:           8
        .value_kind:     hidden_global_offset_z
      - .offset:         536
        .size:           2
        .value_kind:     hidden_grid_dims
    .group_segment_fixed_size: 0
    .kernarg_segment_align: 8
    .kernarg_segment_size: 728
    .language:       OpenCL C
    .language_version:
      - 2
      - 0
    .max_flat_workgroup_size: 512
    .name:           _ZN2at4cuda12_GLOBAL__N_121kernelPointwiseApply2IZNS_6native9templates4cuda28bernoulli_tensor_cuda_kernelIffEEvRKNS_10TensorBaseES9_NS_15PhiloxCudaStateEEUliRfSB_SB_SB_RKfSD_SD_SD_E_fSC_jLi2ELin1ELi4ELi512ELi2EEEvNS0_6detail10TensorInfoIT0_T2_EENSG_IT1_SI_EESI_T_
    .private_segment_fixed_size: 0
    .sgpr_count:     65
    .sgpr_spill_count: 0
    .symbol:         _ZN2at4cuda12_GLOBAL__N_121kernelPointwiseApply2IZNS_6native9templates4cuda28bernoulli_tensor_cuda_kernelIffEEvRKNS_10TensorBaseES9_NS_15PhiloxCudaStateEEUliRfSB_SB_SB_RKfSD_SD_SD_E_fSC_jLi2ELin1ELi4ELi512ELi2EEEvNS0_6detail10TensorInfoIT0_T2_EENSG_IT1_SI_EESI_T_.kd
    .uniform_work_group_size: 1
    .uses_dynamic_stack: false
    .vgpr_count:     53
    .vgpr_spill_count: 0
    .wavefront_size: 64
  - .agpr_count:     0
    .args:
      - .offset:         0
        .size:           216
        .value_kind:     by_value
      - .offset:         216
        .size:           216
        .value_kind:     by_value
      - .offset:         432
        .size:           4
        .value_kind:     by_value
      - .offset:         440
        .size:           32
        .value_kind:     by_value
      - .offset:         472
        .size:           4
        .value_kind:     hidden_block_count_x
      - .offset:         476
        .size:           4
        .value_kind:     hidden_block_count_y
      - .offset:         480
        .size:           4
        .value_kind:     hidden_block_count_z
      - .offset:         484
        .size:           2
        .value_kind:     hidden_group_size_x
      - .offset:         486
        .size:           2
        .value_kind:     hidden_group_size_y
      - .offset:         488
        .size:           2
        .value_kind:     hidden_group_size_z
      - .offset:         490
        .size:           2
        .value_kind:     hidden_remainder_x
      - .offset:         492
        .size:           2
        .value_kind:     hidden_remainder_y
      - .offset:         494
        .size:           2
        .value_kind:     hidden_remainder_z
      - .offset:         512
        .size:           8
        .value_kind:     hidden_global_offset_x
      - .offset:         520
        .size:           8
        .value_kind:     hidden_global_offset_y
      - .offset:         528
        .size:           8
        .value_kind:     hidden_global_offset_z
      - .offset:         536
        .size:           2
        .value_kind:     hidden_grid_dims
    .group_segment_fixed_size: 0
    .kernarg_segment_align: 8
    .kernarg_segment_size: 728
    .language:       OpenCL C
    .language_version:
      - 2
      - 0
    .max_flat_workgroup_size: 512
    .name:           _ZN2at4cuda12_GLOBAL__N_121kernelPointwiseApply2IZNS_6native9templates4cuda28bernoulli_tensor_cuda_kernelIffEEvRKNS_10TensorBaseES9_NS_15PhiloxCudaStateEEUliRfSB_SB_SB_RKfSD_SD_SD_E_fSC_jLin1ELi1ELi4ELi512ELi2EEEvNS0_6detail10TensorInfoIT0_T2_EENSG_IT1_SI_EESI_T_
    .private_segment_fixed_size: 0
    .sgpr_count:     73
    .sgpr_spill_count: 0
    .symbol:         _ZN2at4cuda12_GLOBAL__N_121kernelPointwiseApply2IZNS_6native9templates4cuda28bernoulli_tensor_cuda_kernelIffEEvRKNS_10TensorBaseES9_NS_15PhiloxCudaStateEEUliRfSB_SB_SB_RKfSD_SD_SD_E_fSC_jLin1ELi1ELi4ELi512ELi2EEEvNS0_6detail10TensorInfoIT0_T2_EENSG_IT1_SI_EESI_T_.kd
    .uniform_work_group_size: 1
    .uses_dynamic_stack: false
    .vgpr_count:     51
    .vgpr_spill_count: 0
    .wavefront_size: 64
  - .agpr_count:     0
    .args:
      - .offset:         0
        .size:           216
        .value_kind:     by_value
      - .offset:         216
        .size:           216
        .value_kind:     by_value
      - .offset:         432
        .size:           4
        .value_kind:     by_value
      - .offset:         440
        .size:           32
        .value_kind:     by_value
      - .offset:         472
        .size:           4
        .value_kind:     hidden_block_count_x
      - .offset:         476
        .size:           4
        .value_kind:     hidden_block_count_y
      - .offset:         480
        .size:           4
        .value_kind:     hidden_block_count_z
      - .offset:         484
        .size:           2
        .value_kind:     hidden_group_size_x
      - .offset:         486
        .size:           2
        .value_kind:     hidden_group_size_y
      - .offset:         488
        .size:           2
        .value_kind:     hidden_group_size_z
      - .offset:         490
        .size:           2
        .value_kind:     hidden_remainder_x
      - .offset:         492
        .size:           2
        .value_kind:     hidden_remainder_y
      - .offset:         494
        .size:           2
        .value_kind:     hidden_remainder_z
      - .offset:         512
        .size:           8
        .value_kind:     hidden_global_offset_x
      - .offset:         520
        .size:           8
        .value_kind:     hidden_global_offset_y
      - .offset:         528
        .size:           8
        .value_kind:     hidden_global_offset_z
      - .offset:         536
        .size:           2
        .value_kind:     hidden_grid_dims
    .group_segment_fixed_size: 0
    .kernarg_segment_align: 8
    .kernarg_segment_size: 728
    .language:       OpenCL C
    .language_version:
      - 2
      - 0
    .max_flat_workgroup_size: 512
    .name:           _ZN2at4cuda12_GLOBAL__N_121kernelPointwiseApply2IZNS_6native9templates4cuda28bernoulli_tensor_cuda_kernelIffEEvRKNS_10TensorBaseES9_NS_15PhiloxCudaStateEEUliRfSB_SB_SB_RKfSD_SD_SD_E_fSC_jLin1ELi2ELi4ELi512ELi2EEEvNS0_6detail10TensorInfoIT0_T2_EENSG_IT1_SI_EESI_T_
    .private_segment_fixed_size: 0
    .sgpr_count:     67
    .sgpr_spill_count: 0
    .symbol:         _ZN2at4cuda12_GLOBAL__N_121kernelPointwiseApply2IZNS_6native9templates4cuda28bernoulli_tensor_cuda_kernelIffEEvRKNS_10TensorBaseES9_NS_15PhiloxCudaStateEEUliRfSB_SB_SB_RKfSD_SD_SD_E_fSC_jLin1ELi2ELi4ELi512ELi2EEEvNS0_6detail10TensorInfoIT0_T2_EENSG_IT1_SI_EESI_T_.kd
    .uniform_work_group_size: 1
    .uses_dynamic_stack: false
    .vgpr_count:     52
    .vgpr_spill_count: 0
    .wavefront_size: 64
  - .agpr_count:     0
    .args:
      - .offset:         0
        .size:           216
        .value_kind:     by_value
      - .offset:         216
        .size:           216
        .value_kind:     by_value
      - .offset:         432
        .size:           4
        .value_kind:     by_value
      - .offset:         440
        .size:           32
        .value_kind:     by_value
      - .offset:         472
        .size:           4
        .value_kind:     hidden_block_count_x
      - .offset:         476
        .size:           4
        .value_kind:     hidden_block_count_y
      - .offset:         480
        .size:           4
        .value_kind:     hidden_block_count_z
      - .offset:         484
        .size:           2
        .value_kind:     hidden_group_size_x
      - .offset:         486
        .size:           2
        .value_kind:     hidden_group_size_y
      - .offset:         488
        .size:           2
        .value_kind:     hidden_group_size_z
      - .offset:         490
        .size:           2
        .value_kind:     hidden_remainder_x
      - .offset:         492
        .size:           2
        .value_kind:     hidden_remainder_y
      - .offset:         494
        .size:           2
        .value_kind:     hidden_remainder_z
      - .offset:         512
        .size:           8
        .value_kind:     hidden_global_offset_x
      - .offset:         520
        .size:           8
        .value_kind:     hidden_global_offset_y
      - .offset:         528
        .size:           8
        .value_kind:     hidden_global_offset_z
      - .offset:         536
        .size:           2
        .value_kind:     hidden_grid_dims
    .group_segment_fixed_size: 0
    .kernarg_segment_align: 8
    .kernarg_segment_size: 728
    .language:       OpenCL C
    .language_version:
      - 2
      - 0
    .max_flat_workgroup_size: 512
    .name:           _ZN2at4cuda12_GLOBAL__N_121kernelPointwiseApply2IZNS_6native9templates4cuda28bernoulli_tensor_cuda_kernelIffEEvRKNS_10TensorBaseES9_NS_15PhiloxCudaStateEEUliRfSB_SB_SB_RKfSD_SD_SD_E_fSC_jLin1ELin1ELi4ELi512ELi2EEEvNS0_6detail10TensorInfoIT0_T2_EENSG_IT1_SI_EESI_T_
    .private_segment_fixed_size: 0
    .sgpr_count:     68
    .sgpr_spill_count: 0
    .symbol:         _ZN2at4cuda12_GLOBAL__N_121kernelPointwiseApply2IZNS_6native9templates4cuda28bernoulli_tensor_cuda_kernelIffEEvRKNS_10TensorBaseES9_NS_15PhiloxCudaStateEEUliRfSB_SB_SB_RKfSD_SD_SD_E_fSC_jLin1ELin1ELi4ELi512ELi2EEEvNS0_6detail10TensorInfoIT0_T2_EENSG_IT1_SI_EESI_T_.kd
    .uniform_work_group_size: 1
    .uses_dynamic_stack: false
    .vgpr_count:     52
    .vgpr_spill_count: 0
    .wavefront_size: 64
  - .agpr_count:     0
    .args:
      - .offset:         0
        .size:           416
        .value_kind:     by_value
      - .offset:         416
        .size:           416
        .value_kind:     by_value
      - .offset:         832
        .size:           8
        .value_kind:     by_value
      - .offset:         840
        .size:           32
        .value_kind:     by_value
      - .offset:         872
        .size:           4
        .value_kind:     hidden_block_count_x
      - .offset:         876
        .size:           4
        .value_kind:     hidden_block_count_y
      - .offset:         880
        .size:           4
        .value_kind:     hidden_block_count_z
      - .offset:         884
        .size:           2
        .value_kind:     hidden_group_size_x
      - .offset:         886
        .size:           2
        .value_kind:     hidden_group_size_y
      - .offset:         888
        .size:           2
        .value_kind:     hidden_group_size_z
      - .offset:         890
        .size:           2
        .value_kind:     hidden_remainder_x
      - .offset:         892
        .size:           2
        .value_kind:     hidden_remainder_y
      - .offset:         894
        .size:           2
        .value_kind:     hidden_remainder_z
      - .offset:         912
        .size:           8
        .value_kind:     hidden_global_offset_x
      - .offset:         920
        .size:           8
        .value_kind:     hidden_global_offset_y
      - .offset:         928
        .size:           8
        .value_kind:     hidden_global_offset_z
      - .offset:         936
        .size:           2
        .value_kind:     hidden_grid_dims
    .group_segment_fixed_size: 0
    .kernarg_segment_align: 8
    .kernarg_segment_size: 1128
    .language:       OpenCL C
    .language_version:
      - 2
      - 0
    .max_flat_workgroup_size: 512
    .name:           _ZN2at4cuda12_GLOBAL__N_121kernelPointwiseApply2IZNS_6native9templates4cuda28bernoulli_tensor_cuda_kernelIffEEvRKNS_10TensorBaseES9_NS_15PhiloxCudaStateEEUliRfSB_SB_SB_RKfSD_SD_SD_E_fSC_mLi1ELi1ELi4ELi512ELi2EEEvNS0_6detail10TensorInfoIT0_T2_EENSG_IT1_SI_EESI_T_
    .private_segment_fixed_size: 0
    .sgpr_count:     68
    .sgpr_spill_count: 0
    .symbol:         _ZN2at4cuda12_GLOBAL__N_121kernelPointwiseApply2IZNS_6native9templates4cuda28bernoulli_tensor_cuda_kernelIffEEvRKNS_10TensorBaseES9_NS_15PhiloxCudaStateEEUliRfSB_SB_SB_RKfSD_SD_SD_E_fSC_mLi1ELi1ELi4ELi512ELi2EEEvNS0_6detail10TensorInfoIT0_T2_EENSG_IT1_SI_EESI_T_.kd
    .uniform_work_group_size: 1
    .uses_dynamic_stack: false
    .vgpr_count:     58
    .vgpr_spill_count: 0
    .wavefront_size: 64
  - .agpr_count:     0
    .args:
      - .offset:         0
        .size:           416
        .value_kind:     by_value
      - .offset:         416
        .size:           416
        .value_kind:     by_value
      - .offset:         832
        .size:           8
        .value_kind:     by_value
      - .offset:         840
        .size:           32
        .value_kind:     by_value
      - .offset:         872
        .size:           4
        .value_kind:     hidden_block_count_x
      - .offset:         876
        .size:           4
        .value_kind:     hidden_block_count_y
      - .offset:         880
        .size:           4
        .value_kind:     hidden_block_count_z
      - .offset:         884
        .size:           2
        .value_kind:     hidden_group_size_x
      - .offset:         886
        .size:           2
        .value_kind:     hidden_group_size_y
      - .offset:         888
        .size:           2
        .value_kind:     hidden_group_size_z
      - .offset:         890
        .size:           2
        .value_kind:     hidden_remainder_x
      - .offset:         892
        .size:           2
        .value_kind:     hidden_remainder_y
      - .offset:         894
        .size:           2
        .value_kind:     hidden_remainder_z
      - .offset:         912
        .size:           8
        .value_kind:     hidden_global_offset_x
      - .offset:         920
        .size:           8
        .value_kind:     hidden_global_offset_y
      - .offset:         928
        .size:           8
        .value_kind:     hidden_global_offset_z
      - .offset:         936
        .size:           2
        .value_kind:     hidden_grid_dims
    .group_segment_fixed_size: 0
    .kernarg_segment_align: 8
    .kernarg_segment_size: 1128
    .language:       OpenCL C
    .language_version:
      - 2
      - 0
    .max_flat_workgroup_size: 512
    .name:           _ZN2at4cuda12_GLOBAL__N_121kernelPointwiseApply2IZNS_6native9templates4cuda28bernoulli_tensor_cuda_kernelIffEEvRKNS_10TensorBaseES9_NS_15PhiloxCudaStateEEUliRfSB_SB_SB_RKfSD_SD_SD_E_fSC_mLin1ELin1ELi4ELi512ELi2EEEvNS0_6detail10TensorInfoIT0_T2_EENSG_IT1_SI_EESI_T_
    .private_segment_fixed_size: 0
    .sgpr_count:     72
    .sgpr_spill_count: 0
    .symbol:         _ZN2at4cuda12_GLOBAL__N_121kernelPointwiseApply2IZNS_6native9templates4cuda28bernoulli_tensor_cuda_kernelIffEEvRKNS_10TensorBaseES9_NS_15PhiloxCudaStateEEUliRfSB_SB_SB_RKfSD_SD_SD_E_fSC_mLin1ELin1ELi4ELi512ELi2EEEvNS0_6detail10TensorInfoIT0_T2_EENSG_IT1_SI_EESI_T_.kd
    .uniform_work_group_size: 1
    .uses_dynamic_stack: false
    .vgpr_count:     57
    .vgpr_spill_count: 0
    .wavefront_size: 64
  - .agpr_count:     0
    .args:
      - .offset:         0
        .size:           216
        .value_kind:     by_value
      - .offset:         216
        .size:           216
        .value_kind:     by_value
      - .offset:         432
        .size:           4
        .value_kind:     by_value
      - .offset:         440
        .size:           32
        .value_kind:     by_value
      - .offset:         472
        .size:           4
        .value_kind:     hidden_block_count_x
      - .offset:         476
        .size:           4
        .value_kind:     hidden_block_count_y
      - .offset:         480
        .size:           4
        .value_kind:     hidden_block_count_z
      - .offset:         484
        .size:           2
        .value_kind:     hidden_group_size_x
      - .offset:         486
        .size:           2
        .value_kind:     hidden_group_size_y
      - .offset:         488
        .size:           2
        .value_kind:     hidden_group_size_z
      - .offset:         490
        .size:           2
        .value_kind:     hidden_remainder_x
      - .offset:         492
        .size:           2
        .value_kind:     hidden_remainder_y
      - .offset:         494
        .size:           2
        .value_kind:     hidden_remainder_z
      - .offset:         512
        .size:           8
        .value_kind:     hidden_global_offset_x
      - .offset:         520
        .size:           8
        .value_kind:     hidden_global_offset_y
      - .offset:         528
        .size:           8
        .value_kind:     hidden_global_offset_z
      - .offset:         536
        .size:           2
        .value_kind:     hidden_grid_dims
    .group_segment_fixed_size: 0
    .kernarg_segment_align: 8
    .kernarg_segment_size: 728
    .language:       OpenCL C
    .language_version:
      - 2
      - 0
    .max_flat_workgroup_size: 512
    .name:           _ZN2at4cuda12_GLOBAL__N_121kernelPointwiseApply2IZNS_6native9templates4cuda28bernoulli_tensor_cuda_kernelIN3c104HalfEfEEvRKNS_10TensorBaseESB_NS_15PhiloxCudaStateEEUliRS8_SD_SD_SD_RKfSF_SF_SF_E_S8_SE_jLi1ELi1ELi4ELi512ELi2EEEvNS0_6detail10TensorInfoIT0_T2_EENSI_IT1_SK_EESK_T_
    .private_segment_fixed_size: 0
    .sgpr_count:     65
    .sgpr_spill_count: 0
    .symbol:         _ZN2at4cuda12_GLOBAL__N_121kernelPointwiseApply2IZNS_6native9templates4cuda28bernoulli_tensor_cuda_kernelIN3c104HalfEfEEvRKNS_10TensorBaseESB_NS_15PhiloxCudaStateEEUliRS8_SD_SD_SD_RKfSF_SF_SF_E_S8_SE_jLi1ELi1ELi4ELi512ELi2EEEvNS0_6detail10TensorInfoIT0_T2_EENSI_IT1_SK_EESK_T_.kd
    .uniform_work_group_size: 1
    .uses_dynamic_stack: false
    .vgpr_count:     54
    .vgpr_spill_count: 0
    .wavefront_size: 64
  - .agpr_count:     0
    .args:
      - .offset:         0
        .size:           216
        .value_kind:     by_value
      - .offset:         216
        .size:           216
        .value_kind:     by_value
      - .offset:         432
        .size:           4
        .value_kind:     by_value
      - .offset:         440
        .size:           32
        .value_kind:     by_value
      - .offset:         472
        .size:           4
        .value_kind:     hidden_block_count_x
      - .offset:         476
        .size:           4
        .value_kind:     hidden_block_count_y
      - .offset:         480
        .size:           4
        .value_kind:     hidden_block_count_z
      - .offset:         484
        .size:           2
        .value_kind:     hidden_group_size_x
      - .offset:         486
        .size:           2
        .value_kind:     hidden_group_size_y
      - .offset:         488
        .size:           2
        .value_kind:     hidden_group_size_z
      - .offset:         490
        .size:           2
        .value_kind:     hidden_remainder_x
      - .offset:         492
        .size:           2
        .value_kind:     hidden_remainder_y
      - .offset:         494
        .size:           2
        .value_kind:     hidden_remainder_z
      - .offset:         512
        .size:           8
        .value_kind:     hidden_global_offset_x
      - .offset:         520
        .size:           8
        .value_kind:     hidden_global_offset_y
      - .offset:         528
        .size:           8
        .value_kind:     hidden_global_offset_z
      - .offset:         536
        .size:           2
        .value_kind:     hidden_grid_dims
    .group_segment_fixed_size: 0
    .kernarg_segment_align: 8
    .kernarg_segment_size: 728
    .language:       OpenCL C
    .language_version:
      - 2
      - 0
    .max_flat_workgroup_size: 512
    .name:           _ZN2at4cuda12_GLOBAL__N_121kernelPointwiseApply2IZNS_6native9templates4cuda28bernoulli_tensor_cuda_kernelIN3c104HalfEfEEvRKNS_10TensorBaseESB_NS_15PhiloxCudaStateEEUliRS8_SD_SD_SD_RKfSF_SF_SF_E_S8_SE_jLi1ELi2ELi4ELi512ELi2EEEvNS0_6detail10TensorInfoIT0_T2_EENSI_IT1_SK_EESK_T_
    .private_segment_fixed_size: 0
    .sgpr_count:     68
    .sgpr_spill_count: 0
    .symbol:         _ZN2at4cuda12_GLOBAL__N_121kernelPointwiseApply2IZNS_6native9templates4cuda28bernoulli_tensor_cuda_kernelIN3c104HalfEfEEvRKNS_10TensorBaseESB_NS_15PhiloxCudaStateEEUliRS8_SD_SD_SD_RKfSF_SF_SF_E_S8_SE_jLi1ELi2ELi4ELi512ELi2EEEvNS0_6detail10TensorInfoIT0_T2_EENSI_IT1_SK_EESK_T_.kd
    .uniform_work_group_size: 1
    .uses_dynamic_stack: false
    .vgpr_count:     52
    .vgpr_spill_count: 0
    .wavefront_size: 64
  - .agpr_count:     0
    .args:
      - .offset:         0
        .size:           216
        .value_kind:     by_value
      - .offset:         216
        .size:           216
        .value_kind:     by_value
      - .offset:         432
        .size:           4
        .value_kind:     by_value
      - .offset:         440
        .size:           32
        .value_kind:     by_value
      - .offset:         472
        .size:           4
        .value_kind:     hidden_block_count_x
      - .offset:         476
        .size:           4
        .value_kind:     hidden_block_count_y
      - .offset:         480
        .size:           4
        .value_kind:     hidden_block_count_z
      - .offset:         484
        .size:           2
        .value_kind:     hidden_group_size_x
      - .offset:         486
        .size:           2
        .value_kind:     hidden_group_size_y
      - .offset:         488
        .size:           2
        .value_kind:     hidden_group_size_z
      - .offset:         490
        .size:           2
        .value_kind:     hidden_remainder_x
      - .offset:         492
        .size:           2
        .value_kind:     hidden_remainder_y
      - .offset:         494
        .size:           2
        .value_kind:     hidden_remainder_z
      - .offset:         512
        .size:           8
        .value_kind:     hidden_global_offset_x
      - .offset:         520
        .size:           8
        .value_kind:     hidden_global_offset_y
      - .offset:         528
        .size:           8
        .value_kind:     hidden_global_offset_z
      - .offset:         536
        .size:           2
        .value_kind:     hidden_grid_dims
    .group_segment_fixed_size: 0
    .kernarg_segment_align: 8
    .kernarg_segment_size: 728
    .language:       OpenCL C
    .language_version:
      - 2
      - 0
    .max_flat_workgroup_size: 512
    .name:           _ZN2at4cuda12_GLOBAL__N_121kernelPointwiseApply2IZNS_6native9templates4cuda28bernoulli_tensor_cuda_kernelIN3c104HalfEfEEvRKNS_10TensorBaseESB_NS_15PhiloxCudaStateEEUliRS8_SD_SD_SD_RKfSF_SF_SF_E_S8_SE_jLi1ELin1ELi4ELi512ELi2EEEvNS0_6detail10TensorInfoIT0_T2_EENSI_IT1_SK_EESK_T_
    .private_segment_fixed_size: 0
    .sgpr_count:     71
    .sgpr_spill_count: 0
    .symbol:         _ZN2at4cuda12_GLOBAL__N_121kernelPointwiseApply2IZNS_6native9templates4cuda28bernoulli_tensor_cuda_kernelIN3c104HalfEfEEvRKNS_10TensorBaseESB_NS_15PhiloxCudaStateEEUliRS8_SD_SD_SD_RKfSF_SF_SF_E_S8_SE_jLi1ELin1ELi4ELi512ELi2EEEvNS0_6detail10TensorInfoIT0_T2_EENSI_IT1_SK_EESK_T_.kd
    .uniform_work_group_size: 1
    .uses_dynamic_stack: false
    .vgpr_count:     50
    .vgpr_spill_count: 0
    .wavefront_size: 64
  - .agpr_count:     0
    .args:
      - .offset:         0
        .size:           216
        .value_kind:     by_value
      - .offset:         216
        .size:           216
        .value_kind:     by_value
      - .offset:         432
        .size:           4
        .value_kind:     by_value
      - .offset:         440
        .size:           32
        .value_kind:     by_value
      - .offset:         472
        .size:           4
        .value_kind:     hidden_block_count_x
      - .offset:         476
        .size:           4
        .value_kind:     hidden_block_count_y
      - .offset:         480
        .size:           4
        .value_kind:     hidden_block_count_z
      - .offset:         484
        .size:           2
        .value_kind:     hidden_group_size_x
      - .offset:         486
        .size:           2
        .value_kind:     hidden_group_size_y
      - .offset:         488
        .size:           2
        .value_kind:     hidden_group_size_z
      - .offset:         490
        .size:           2
        .value_kind:     hidden_remainder_x
      - .offset:         492
        .size:           2
        .value_kind:     hidden_remainder_y
      - .offset:         494
        .size:           2
        .value_kind:     hidden_remainder_z
      - .offset:         512
        .size:           8
        .value_kind:     hidden_global_offset_x
      - .offset:         520
        .size:           8
        .value_kind:     hidden_global_offset_y
      - .offset:         528
        .size:           8
        .value_kind:     hidden_global_offset_z
      - .offset:         536
        .size:           2
        .value_kind:     hidden_grid_dims
    .group_segment_fixed_size: 0
    .kernarg_segment_align: 8
    .kernarg_segment_size: 728
    .language:       OpenCL C
    .language_version:
      - 2
      - 0
    .max_flat_workgroup_size: 512
    .name:           _ZN2at4cuda12_GLOBAL__N_121kernelPointwiseApply2IZNS_6native9templates4cuda28bernoulli_tensor_cuda_kernelIN3c104HalfEfEEvRKNS_10TensorBaseESB_NS_15PhiloxCudaStateEEUliRS8_SD_SD_SD_RKfSF_SF_SF_E_S8_SE_jLi2ELi1ELi4ELi512ELi2EEEvNS0_6detail10TensorInfoIT0_T2_EENSI_IT1_SK_EESK_T_
    .private_segment_fixed_size: 0
    .sgpr_count:     64
    .sgpr_spill_count: 0
    .symbol:         _ZN2at4cuda12_GLOBAL__N_121kernelPointwiseApply2IZNS_6native9templates4cuda28bernoulli_tensor_cuda_kernelIN3c104HalfEfEEvRKNS_10TensorBaseESB_NS_15PhiloxCudaStateEEUliRS8_SD_SD_SD_RKfSF_SF_SF_E_S8_SE_jLi2ELi1ELi4ELi512ELi2EEEvNS0_6detail10TensorInfoIT0_T2_EENSI_IT1_SK_EESK_T_.kd
    .uniform_work_group_size: 1
    .uses_dynamic_stack: false
    .vgpr_count:     58
    .vgpr_spill_count: 0
    .wavefront_size: 64
  - .agpr_count:     0
    .args:
      - .offset:         0
        .size:           216
        .value_kind:     by_value
      - .offset:         216
        .size:           216
        .value_kind:     by_value
      - .offset:         432
        .size:           4
        .value_kind:     by_value
      - .offset:         440
        .size:           32
        .value_kind:     by_value
      - .offset:         472
        .size:           4
        .value_kind:     hidden_block_count_x
      - .offset:         476
        .size:           4
        .value_kind:     hidden_block_count_y
      - .offset:         480
        .size:           4
        .value_kind:     hidden_block_count_z
      - .offset:         484
        .size:           2
        .value_kind:     hidden_group_size_x
      - .offset:         486
        .size:           2
        .value_kind:     hidden_group_size_y
      - .offset:         488
        .size:           2
        .value_kind:     hidden_group_size_z
      - .offset:         490
        .size:           2
        .value_kind:     hidden_remainder_x
      - .offset:         492
        .size:           2
        .value_kind:     hidden_remainder_y
      - .offset:         494
        .size:           2
        .value_kind:     hidden_remainder_z
      - .offset:         512
        .size:           8
        .value_kind:     hidden_global_offset_x
      - .offset:         520
        .size:           8
        .value_kind:     hidden_global_offset_y
      - .offset:         528
        .size:           8
        .value_kind:     hidden_global_offset_z
      - .offset:         536
        .size:           2
        .value_kind:     hidden_grid_dims
    .group_segment_fixed_size: 0
    .kernarg_segment_align: 8
    .kernarg_segment_size: 728
    .language:       OpenCL C
    .language_version:
      - 2
      - 0
    .max_flat_workgroup_size: 512
    .name:           _ZN2at4cuda12_GLOBAL__N_121kernelPointwiseApply2IZNS_6native9templates4cuda28bernoulli_tensor_cuda_kernelIN3c104HalfEfEEvRKNS_10TensorBaseESB_NS_15PhiloxCudaStateEEUliRS8_SD_SD_SD_RKfSF_SF_SF_E_S8_SE_jLi2ELi2ELi4ELi512ELi2EEEvNS0_6detail10TensorInfoIT0_T2_EENSI_IT1_SK_EESK_T_
    .private_segment_fixed_size: 0
    .sgpr_count:     66
    .sgpr_spill_count: 0
    .symbol:         _ZN2at4cuda12_GLOBAL__N_121kernelPointwiseApply2IZNS_6native9templates4cuda28bernoulli_tensor_cuda_kernelIN3c104HalfEfEEvRKNS_10TensorBaseESB_NS_15PhiloxCudaStateEEUliRS8_SD_SD_SD_RKfSF_SF_SF_E_S8_SE_jLi2ELi2ELi4ELi512ELi2EEEvNS0_6detail10TensorInfoIT0_T2_EENSI_IT1_SK_EESK_T_.kd
    .uniform_work_group_size: 1
    .uses_dynamic_stack: false
    .vgpr_count:     54
    .vgpr_spill_count: 0
    .wavefront_size: 64
  - .agpr_count:     0
    .args:
      - .offset:         0
        .size:           216
        .value_kind:     by_value
      - .offset:         216
        .size:           216
        .value_kind:     by_value
      - .offset:         432
        .size:           4
        .value_kind:     by_value
      - .offset:         440
        .size:           32
        .value_kind:     by_value
      - .offset:         472
        .size:           4
        .value_kind:     hidden_block_count_x
      - .offset:         476
        .size:           4
        .value_kind:     hidden_block_count_y
      - .offset:         480
        .size:           4
        .value_kind:     hidden_block_count_z
      - .offset:         484
        .size:           2
        .value_kind:     hidden_group_size_x
      - .offset:         486
        .size:           2
        .value_kind:     hidden_group_size_y
      - .offset:         488
        .size:           2
        .value_kind:     hidden_group_size_z
      - .offset:         490
        .size:           2
        .value_kind:     hidden_remainder_x
      - .offset:         492
        .size:           2
        .value_kind:     hidden_remainder_y
      - .offset:         494
        .size:           2
        .value_kind:     hidden_remainder_z
      - .offset:         512
        .size:           8
        .value_kind:     hidden_global_offset_x
      - .offset:         520
        .size:           8
        .value_kind:     hidden_global_offset_y
      - .offset:         528
        .size:           8
        .value_kind:     hidden_global_offset_z
      - .offset:         536
        .size:           2
        .value_kind:     hidden_grid_dims
    .group_segment_fixed_size: 0
    .kernarg_segment_align: 8
    .kernarg_segment_size: 728
    .language:       OpenCL C
    .language_version:
      - 2
      - 0
    .max_flat_workgroup_size: 512
    .name:           _ZN2at4cuda12_GLOBAL__N_121kernelPointwiseApply2IZNS_6native9templates4cuda28bernoulli_tensor_cuda_kernelIN3c104HalfEfEEvRKNS_10TensorBaseESB_NS_15PhiloxCudaStateEEUliRS8_SD_SD_SD_RKfSF_SF_SF_E_S8_SE_jLi2ELin1ELi4ELi512ELi2EEEvNS0_6detail10TensorInfoIT0_T2_EENSI_IT1_SK_EESK_T_
    .private_segment_fixed_size: 0
    .sgpr_count:     65
    .sgpr_spill_count: 0
    .symbol:         _ZN2at4cuda12_GLOBAL__N_121kernelPointwiseApply2IZNS_6native9templates4cuda28bernoulli_tensor_cuda_kernelIN3c104HalfEfEEvRKNS_10TensorBaseESB_NS_15PhiloxCudaStateEEUliRS8_SD_SD_SD_RKfSF_SF_SF_E_S8_SE_jLi2ELin1ELi4ELi512ELi2EEEvNS0_6detail10TensorInfoIT0_T2_EENSI_IT1_SK_EESK_T_.kd
    .uniform_work_group_size: 1
    .uses_dynamic_stack: false
    .vgpr_count:     52
    .vgpr_spill_count: 0
    .wavefront_size: 64
  - .agpr_count:     0
    .args:
      - .offset:         0
        .size:           216
        .value_kind:     by_value
      - .offset:         216
        .size:           216
        .value_kind:     by_value
      - .offset:         432
        .size:           4
        .value_kind:     by_value
      - .offset:         440
        .size:           32
        .value_kind:     by_value
      - .offset:         472
        .size:           4
        .value_kind:     hidden_block_count_x
      - .offset:         476
        .size:           4
        .value_kind:     hidden_block_count_y
      - .offset:         480
        .size:           4
        .value_kind:     hidden_block_count_z
      - .offset:         484
        .size:           2
        .value_kind:     hidden_group_size_x
      - .offset:         486
        .size:           2
        .value_kind:     hidden_group_size_y
      - .offset:         488
        .size:           2
        .value_kind:     hidden_group_size_z
      - .offset:         490
        .size:           2
        .value_kind:     hidden_remainder_x
      - .offset:         492
        .size:           2
        .value_kind:     hidden_remainder_y
      - .offset:         494
        .size:           2
        .value_kind:     hidden_remainder_z
      - .offset:         512
        .size:           8
        .value_kind:     hidden_global_offset_x
      - .offset:         520
        .size:           8
        .value_kind:     hidden_global_offset_y
      - .offset:         528
        .size:           8
        .value_kind:     hidden_global_offset_z
      - .offset:         536
        .size:           2
        .value_kind:     hidden_grid_dims
    .group_segment_fixed_size: 0
    .kernarg_segment_align: 8
    .kernarg_segment_size: 728
    .language:       OpenCL C
    .language_version:
      - 2
      - 0
    .max_flat_workgroup_size: 512
    .name:           _ZN2at4cuda12_GLOBAL__N_121kernelPointwiseApply2IZNS_6native9templates4cuda28bernoulli_tensor_cuda_kernelIN3c104HalfEfEEvRKNS_10TensorBaseESB_NS_15PhiloxCudaStateEEUliRS8_SD_SD_SD_RKfSF_SF_SF_E_S8_SE_jLin1ELi1ELi4ELi512ELi2EEEvNS0_6detail10TensorInfoIT0_T2_EENSI_IT1_SK_EESK_T_
    .private_segment_fixed_size: 0
    .sgpr_count:     65
    .sgpr_spill_count: 0
    .symbol:         _ZN2at4cuda12_GLOBAL__N_121kernelPointwiseApply2IZNS_6native9templates4cuda28bernoulli_tensor_cuda_kernelIN3c104HalfEfEEvRKNS_10TensorBaseESB_NS_15PhiloxCudaStateEEUliRS8_SD_SD_SD_RKfSF_SF_SF_E_S8_SE_jLin1ELi1ELi4ELi512ELi2EEEvNS0_6detail10TensorInfoIT0_T2_EENSI_IT1_SK_EESK_T_.kd
    .uniform_work_group_size: 1
    .uses_dynamic_stack: false
    .vgpr_count:     52
    .vgpr_spill_count: 0
    .wavefront_size: 64
  - .agpr_count:     0
    .args:
      - .offset:         0
        .size:           216
        .value_kind:     by_value
      - .offset:         216
        .size:           216
        .value_kind:     by_value
      - .offset:         432
        .size:           4
        .value_kind:     by_value
      - .offset:         440
        .size:           32
        .value_kind:     by_value
      - .offset:         472
        .size:           4
        .value_kind:     hidden_block_count_x
      - .offset:         476
        .size:           4
        .value_kind:     hidden_block_count_y
      - .offset:         480
        .size:           4
        .value_kind:     hidden_block_count_z
      - .offset:         484
        .size:           2
        .value_kind:     hidden_group_size_x
      - .offset:         486
        .size:           2
        .value_kind:     hidden_group_size_y
      - .offset:         488
        .size:           2
        .value_kind:     hidden_group_size_z
      - .offset:         490
        .size:           2
        .value_kind:     hidden_remainder_x
      - .offset:         492
        .size:           2
        .value_kind:     hidden_remainder_y
      - .offset:         494
        .size:           2
        .value_kind:     hidden_remainder_z
      - .offset:         512
        .size:           8
        .value_kind:     hidden_global_offset_x
      - .offset:         520
        .size:           8
        .value_kind:     hidden_global_offset_y
      - .offset:         528
        .size:           8
        .value_kind:     hidden_global_offset_z
      - .offset:         536
        .size:           2
        .value_kind:     hidden_grid_dims
    .group_segment_fixed_size: 0
    .kernarg_segment_align: 8
    .kernarg_segment_size: 728
    .language:       OpenCL C
    .language_version:
      - 2
      - 0
    .max_flat_workgroup_size: 512
    .name:           _ZN2at4cuda12_GLOBAL__N_121kernelPointwiseApply2IZNS_6native9templates4cuda28bernoulli_tensor_cuda_kernelIN3c104HalfEfEEvRKNS_10TensorBaseESB_NS_15PhiloxCudaStateEEUliRS8_SD_SD_SD_RKfSF_SF_SF_E_S8_SE_jLin1ELi2ELi4ELi512ELi2EEEvNS0_6detail10TensorInfoIT0_T2_EENSI_IT1_SK_EESK_T_
    .private_segment_fixed_size: 0
    .sgpr_count:     67
    .sgpr_spill_count: 0
    .symbol:         _ZN2at4cuda12_GLOBAL__N_121kernelPointwiseApply2IZNS_6native9templates4cuda28bernoulli_tensor_cuda_kernelIN3c104HalfEfEEvRKNS_10TensorBaseESB_NS_15PhiloxCudaStateEEUliRS8_SD_SD_SD_RKfSF_SF_SF_E_S8_SE_jLin1ELi2ELi4ELi512ELi2EEEvNS0_6detail10TensorInfoIT0_T2_EENSI_IT1_SK_EESK_T_.kd
    .uniform_work_group_size: 1
    .uses_dynamic_stack: false
    .vgpr_count:     52
    .vgpr_spill_count: 0
    .wavefront_size: 64
  - .agpr_count:     0
    .args:
      - .offset:         0
        .size:           216
        .value_kind:     by_value
      - .offset:         216
        .size:           216
        .value_kind:     by_value
      - .offset:         432
        .size:           4
        .value_kind:     by_value
      - .offset:         440
        .size:           32
        .value_kind:     by_value
      - .offset:         472
        .size:           4
        .value_kind:     hidden_block_count_x
      - .offset:         476
        .size:           4
        .value_kind:     hidden_block_count_y
      - .offset:         480
        .size:           4
        .value_kind:     hidden_block_count_z
      - .offset:         484
        .size:           2
        .value_kind:     hidden_group_size_x
      - .offset:         486
        .size:           2
        .value_kind:     hidden_group_size_y
      - .offset:         488
        .size:           2
        .value_kind:     hidden_group_size_z
      - .offset:         490
        .size:           2
        .value_kind:     hidden_remainder_x
      - .offset:         492
        .size:           2
        .value_kind:     hidden_remainder_y
      - .offset:         494
        .size:           2
        .value_kind:     hidden_remainder_z
      - .offset:         512
        .size:           8
        .value_kind:     hidden_global_offset_x
      - .offset:         520
        .size:           8
        .value_kind:     hidden_global_offset_y
      - .offset:         528
        .size:           8
        .value_kind:     hidden_global_offset_z
      - .offset:         536
        .size:           2
        .value_kind:     hidden_grid_dims
    .group_segment_fixed_size: 0
    .kernarg_segment_align: 8
    .kernarg_segment_size: 728
    .language:       OpenCL C
    .language_version:
      - 2
      - 0
    .max_flat_workgroup_size: 512
    .name:           _ZN2at4cuda12_GLOBAL__N_121kernelPointwiseApply2IZNS_6native9templates4cuda28bernoulli_tensor_cuda_kernelIN3c104HalfEfEEvRKNS_10TensorBaseESB_NS_15PhiloxCudaStateEEUliRS8_SD_SD_SD_RKfSF_SF_SF_E_S8_SE_jLin1ELin1ELi4ELi512ELi2EEEvNS0_6detail10TensorInfoIT0_T2_EENSI_IT1_SK_EESK_T_
    .private_segment_fixed_size: 0
    .sgpr_count:     68
    .sgpr_spill_count: 0
    .symbol:         _ZN2at4cuda12_GLOBAL__N_121kernelPointwiseApply2IZNS_6native9templates4cuda28bernoulli_tensor_cuda_kernelIN3c104HalfEfEEvRKNS_10TensorBaseESB_NS_15PhiloxCudaStateEEUliRS8_SD_SD_SD_RKfSF_SF_SF_E_S8_SE_jLin1ELin1ELi4ELi512ELi2EEEvNS0_6detail10TensorInfoIT0_T2_EENSI_IT1_SK_EESK_T_.kd
    .uniform_work_group_size: 1
    .uses_dynamic_stack: false
    .vgpr_count:     51
    .vgpr_spill_count: 0
    .wavefront_size: 64
  - .agpr_count:     0
    .args:
      - .offset:         0
        .size:           416
        .value_kind:     by_value
      - .offset:         416
        .size:           416
        .value_kind:     by_value
      - .offset:         832
        .size:           8
        .value_kind:     by_value
      - .offset:         840
        .size:           32
        .value_kind:     by_value
      - .offset:         872
        .size:           4
        .value_kind:     hidden_block_count_x
      - .offset:         876
        .size:           4
        .value_kind:     hidden_block_count_y
      - .offset:         880
        .size:           4
        .value_kind:     hidden_block_count_z
      - .offset:         884
        .size:           2
        .value_kind:     hidden_group_size_x
      - .offset:         886
        .size:           2
        .value_kind:     hidden_group_size_y
      - .offset:         888
        .size:           2
        .value_kind:     hidden_group_size_z
      - .offset:         890
        .size:           2
        .value_kind:     hidden_remainder_x
      - .offset:         892
        .size:           2
        .value_kind:     hidden_remainder_y
      - .offset:         894
        .size:           2
        .value_kind:     hidden_remainder_z
      - .offset:         912
        .size:           8
        .value_kind:     hidden_global_offset_x
      - .offset:         920
        .size:           8
        .value_kind:     hidden_global_offset_y
      - .offset:         928
        .size:           8
        .value_kind:     hidden_global_offset_z
      - .offset:         936
        .size:           2
        .value_kind:     hidden_grid_dims
    .group_segment_fixed_size: 0
    .kernarg_segment_align: 8
    .kernarg_segment_size: 1128
    .language:       OpenCL C
    .language_version:
      - 2
      - 0
    .max_flat_workgroup_size: 512
    .name:           _ZN2at4cuda12_GLOBAL__N_121kernelPointwiseApply2IZNS_6native9templates4cuda28bernoulli_tensor_cuda_kernelIN3c104HalfEfEEvRKNS_10TensorBaseESB_NS_15PhiloxCudaStateEEUliRS8_SD_SD_SD_RKfSF_SF_SF_E_S8_SE_mLi1ELi1ELi4ELi512ELi2EEEvNS0_6detail10TensorInfoIT0_T2_EENSI_IT1_SK_EESK_T_
    .private_segment_fixed_size: 0
    .sgpr_count:     71
    .sgpr_spill_count: 0
    .symbol:         _ZN2at4cuda12_GLOBAL__N_121kernelPointwiseApply2IZNS_6native9templates4cuda28bernoulli_tensor_cuda_kernelIN3c104HalfEfEEvRKNS_10TensorBaseESB_NS_15PhiloxCudaStateEEUliRS8_SD_SD_SD_RKfSF_SF_SF_E_S8_SE_mLi1ELi1ELi4ELi512ELi2EEEvNS0_6detail10TensorInfoIT0_T2_EENSI_IT1_SK_EESK_T_.kd
    .uniform_work_group_size: 1
    .uses_dynamic_stack: false
    .vgpr_count:     62
    .vgpr_spill_count: 0
    .wavefront_size: 64
  - .agpr_count:     0
    .args:
      - .offset:         0
        .size:           416
        .value_kind:     by_value
      - .offset:         416
        .size:           416
        .value_kind:     by_value
      - .offset:         832
        .size:           8
        .value_kind:     by_value
      - .offset:         840
        .size:           32
        .value_kind:     by_value
      - .offset:         872
        .size:           4
        .value_kind:     hidden_block_count_x
      - .offset:         876
        .size:           4
        .value_kind:     hidden_block_count_y
      - .offset:         880
        .size:           4
        .value_kind:     hidden_block_count_z
      - .offset:         884
        .size:           2
        .value_kind:     hidden_group_size_x
      - .offset:         886
        .size:           2
        .value_kind:     hidden_group_size_y
      - .offset:         888
        .size:           2
        .value_kind:     hidden_group_size_z
      - .offset:         890
        .size:           2
        .value_kind:     hidden_remainder_x
      - .offset:         892
        .size:           2
        .value_kind:     hidden_remainder_y
      - .offset:         894
        .size:           2
        .value_kind:     hidden_remainder_z
      - .offset:         912
        .size:           8
        .value_kind:     hidden_global_offset_x
      - .offset:         920
        .size:           8
        .value_kind:     hidden_global_offset_y
      - .offset:         928
        .size:           8
        .value_kind:     hidden_global_offset_z
      - .offset:         936
        .size:           2
        .value_kind:     hidden_grid_dims
    .group_segment_fixed_size: 0
    .kernarg_segment_align: 8
    .kernarg_segment_size: 1128
    .language:       OpenCL C
    .language_version:
      - 2
      - 0
    .max_flat_workgroup_size: 512
    .name:           _ZN2at4cuda12_GLOBAL__N_121kernelPointwiseApply2IZNS_6native9templates4cuda28bernoulli_tensor_cuda_kernelIN3c104HalfEfEEvRKNS_10TensorBaseESB_NS_15PhiloxCudaStateEEUliRS8_SD_SD_SD_RKfSF_SF_SF_E_S8_SE_mLin1ELin1ELi4ELi512ELi2EEEvNS0_6detail10TensorInfoIT0_T2_EENSI_IT1_SK_EESK_T_
    .private_segment_fixed_size: 0
    .sgpr_count:     72
    .sgpr_spill_count: 0
    .symbol:         _ZN2at4cuda12_GLOBAL__N_121kernelPointwiseApply2IZNS_6native9templates4cuda28bernoulli_tensor_cuda_kernelIN3c104HalfEfEEvRKNS_10TensorBaseESB_NS_15PhiloxCudaStateEEUliRS8_SD_SD_SD_RKfSF_SF_SF_E_S8_SE_mLin1ELin1ELi4ELi512ELi2EEEvNS0_6detail10TensorInfoIT0_T2_EENSI_IT1_SK_EESK_T_.kd
    .uniform_work_group_size: 1
    .uses_dynamic_stack: false
    .vgpr_count:     55
    .vgpr_spill_count: 0
    .wavefront_size: 64
  - .agpr_count:     0
    .args:
      - .offset:         0
        .size:           216
        .value_kind:     by_value
      - .offset:         216
        .size:           216
        .value_kind:     by_value
      - .offset:         432
        .size:           4
        .value_kind:     by_value
      - .offset:         440
        .size:           32
        .value_kind:     by_value
      - .offset:         472
        .size:           4
        .value_kind:     hidden_block_count_x
      - .offset:         476
        .size:           4
        .value_kind:     hidden_block_count_y
      - .offset:         480
        .size:           4
        .value_kind:     hidden_block_count_z
      - .offset:         484
        .size:           2
        .value_kind:     hidden_group_size_x
      - .offset:         486
        .size:           2
        .value_kind:     hidden_group_size_y
      - .offset:         488
        .size:           2
        .value_kind:     hidden_group_size_z
      - .offset:         490
        .size:           2
        .value_kind:     hidden_remainder_x
      - .offset:         492
        .size:           2
        .value_kind:     hidden_remainder_y
      - .offset:         494
        .size:           2
        .value_kind:     hidden_remainder_z
      - .offset:         512
        .size:           8
        .value_kind:     hidden_global_offset_x
      - .offset:         520
        .size:           8
        .value_kind:     hidden_global_offset_y
      - .offset:         528
        .size:           8
        .value_kind:     hidden_global_offset_z
      - .offset:         536
        .size:           2
        .value_kind:     hidden_grid_dims
    .group_segment_fixed_size: 0
    .kernarg_segment_align: 8
    .kernarg_segment_size: 728
    .language:       OpenCL C
    .language_version:
      - 2
      - 0
    .max_flat_workgroup_size: 512
    .name:           _ZN2at4cuda12_GLOBAL__N_121kernelPointwiseApply2IZNS_6native9templates4cuda28bernoulli_tensor_cuda_kernelIN3c108BFloat16EfEEvRKNS_10TensorBaseESB_NS_15PhiloxCudaStateEEUliRS8_SD_SD_SD_RKfSF_SF_SF_E_S8_SE_jLi1ELi1ELi4ELi512ELi2EEEvNS0_6detail10TensorInfoIT0_T2_EENSI_IT1_SK_EESK_T_
    .private_segment_fixed_size: 0
    .sgpr_count:     65
    .sgpr_spill_count: 0
    .symbol:         _ZN2at4cuda12_GLOBAL__N_121kernelPointwiseApply2IZNS_6native9templates4cuda28bernoulli_tensor_cuda_kernelIN3c108BFloat16EfEEvRKNS_10TensorBaseESB_NS_15PhiloxCudaStateEEUliRS8_SD_SD_SD_RKfSF_SF_SF_E_S8_SE_jLi1ELi1ELi4ELi512ELi2EEEvNS0_6detail10TensorInfoIT0_T2_EENSI_IT1_SK_EESK_T_.kd
    .uniform_work_group_size: 1
    .uses_dynamic_stack: false
    .vgpr_count:     53
    .vgpr_spill_count: 0
    .wavefront_size: 64
  - .agpr_count:     0
    .args:
      - .offset:         0
        .size:           216
        .value_kind:     by_value
      - .offset:         216
        .size:           216
        .value_kind:     by_value
      - .offset:         432
        .size:           4
        .value_kind:     by_value
      - .offset:         440
        .size:           32
        .value_kind:     by_value
      - .offset:         472
        .size:           4
        .value_kind:     hidden_block_count_x
      - .offset:         476
        .size:           4
        .value_kind:     hidden_block_count_y
      - .offset:         480
        .size:           4
        .value_kind:     hidden_block_count_z
      - .offset:         484
        .size:           2
        .value_kind:     hidden_group_size_x
      - .offset:         486
        .size:           2
        .value_kind:     hidden_group_size_y
      - .offset:         488
        .size:           2
        .value_kind:     hidden_group_size_z
      - .offset:         490
        .size:           2
        .value_kind:     hidden_remainder_x
      - .offset:         492
        .size:           2
        .value_kind:     hidden_remainder_y
      - .offset:         494
        .size:           2
        .value_kind:     hidden_remainder_z
      - .offset:         512
        .size:           8
        .value_kind:     hidden_global_offset_x
      - .offset:         520
        .size:           8
        .value_kind:     hidden_global_offset_y
      - .offset:         528
        .size:           8
        .value_kind:     hidden_global_offset_z
      - .offset:         536
        .size:           2
        .value_kind:     hidden_grid_dims
    .group_segment_fixed_size: 0
    .kernarg_segment_align: 8
    .kernarg_segment_size: 728
    .language:       OpenCL C
    .language_version:
      - 2
      - 0
    .max_flat_workgroup_size: 512
    .name:           _ZN2at4cuda12_GLOBAL__N_121kernelPointwiseApply2IZNS_6native9templates4cuda28bernoulli_tensor_cuda_kernelIN3c108BFloat16EfEEvRKNS_10TensorBaseESB_NS_15PhiloxCudaStateEEUliRS8_SD_SD_SD_RKfSF_SF_SF_E_S8_SE_jLi1ELi2ELi4ELi512ELi2EEEvNS0_6detail10TensorInfoIT0_T2_EENSI_IT1_SK_EESK_T_
    .private_segment_fixed_size: 0
    .sgpr_count:     68
    .sgpr_spill_count: 0
    .symbol:         _ZN2at4cuda12_GLOBAL__N_121kernelPointwiseApply2IZNS_6native9templates4cuda28bernoulli_tensor_cuda_kernelIN3c108BFloat16EfEEvRKNS_10TensorBaseESB_NS_15PhiloxCudaStateEEUliRS8_SD_SD_SD_RKfSF_SF_SF_E_S8_SE_jLi1ELi2ELi4ELi512ELi2EEEvNS0_6detail10TensorInfoIT0_T2_EENSI_IT1_SK_EESK_T_.kd
    .uniform_work_group_size: 1
    .uses_dynamic_stack: false
    .vgpr_count:     51
    .vgpr_spill_count: 0
    .wavefront_size: 64
  - .agpr_count:     0
    .args:
      - .offset:         0
        .size:           216
        .value_kind:     by_value
      - .offset:         216
        .size:           216
        .value_kind:     by_value
      - .offset:         432
        .size:           4
        .value_kind:     by_value
      - .offset:         440
        .size:           32
        .value_kind:     by_value
      - .offset:         472
        .size:           4
        .value_kind:     hidden_block_count_x
      - .offset:         476
        .size:           4
        .value_kind:     hidden_block_count_y
      - .offset:         480
        .size:           4
        .value_kind:     hidden_block_count_z
      - .offset:         484
        .size:           2
        .value_kind:     hidden_group_size_x
      - .offset:         486
        .size:           2
        .value_kind:     hidden_group_size_y
      - .offset:         488
        .size:           2
        .value_kind:     hidden_group_size_z
      - .offset:         490
        .size:           2
        .value_kind:     hidden_remainder_x
      - .offset:         492
        .size:           2
        .value_kind:     hidden_remainder_y
      - .offset:         494
        .size:           2
        .value_kind:     hidden_remainder_z
      - .offset:         512
        .size:           8
        .value_kind:     hidden_global_offset_x
      - .offset:         520
        .size:           8
        .value_kind:     hidden_global_offset_y
      - .offset:         528
        .size:           8
        .value_kind:     hidden_global_offset_z
      - .offset:         536
        .size:           2
        .value_kind:     hidden_grid_dims
    .group_segment_fixed_size: 0
    .kernarg_segment_align: 8
    .kernarg_segment_size: 728
    .language:       OpenCL C
    .language_version:
      - 2
      - 0
    .max_flat_workgroup_size: 512
    .name:           _ZN2at4cuda12_GLOBAL__N_121kernelPointwiseApply2IZNS_6native9templates4cuda28bernoulli_tensor_cuda_kernelIN3c108BFloat16EfEEvRKNS_10TensorBaseESB_NS_15PhiloxCudaStateEEUliRS8_SD_SD_SD_RKfSF_SF_SF_E_S8_SE_jLi1ELin1ELi4ELi512ELi2EEEvNS0_6detail10TensorInfoIT0_T2_EENSI_IT1_SK_EESK_T_
    .private_segment_fixed_size: 0
    .sgpr_count:     71
    .sgpr_spill_count: 0
    .symbol:         _ZN2at4cuda12_GLOBAL__N_121kernelPointwiseApply2IZNS_6native9templates4cuda28bernoulli_tensor_cuda_kernelIN3c108BFloat16EfEEvRKNS_10TensorBaseESB_NS_15PhiloxCudaStateEEUliRS8_SD_SD_SD_RKfSF_SF_SF_E_S8_SE_jLi1ELin1ELi4ELi512ELi2EEEvNS0_6detail10TensorInfoIT0_T2_EENSI_IT1_SK_EESK_T_.kd
    .uniform_work_group_size: 1
    .uses_dynamic_stack: false
    .vgpr_count:     49
    .vgpr_spill_count: 0
    .wavefront_size: 64
  - .agpr_count:     0
    .args:
      - .offset:         0
        .size:           216
        .value_kind:     by_value
      - .offset:         216
        .size:           216
        .value_kind:     by_value
      - .offset:         432
        .size:           4
        .value_kind:     by_value
      - .offset:         440
        .size:           32
        .value_kind:     by_value
      - .offset:         472
        .size:           4
        .value_kind:     hidden_block_count_x
      - .offset:         476
        .size:           4
        .value_kind:     hidden_block_count_y
      - .offset:         480
        .size:           4
        .value_kind:     hidden_block_count_z
      - .offset:         484
        .size:           2
        .value_kind:     hidden_group_size_x
      - .offset:         486
        .size:           2
        .value_kind:     hidden_group_size_y
      - .offset:         488
        .size:           2
        .value_kind:     hidden_group_size_z
      - .offset:         490
        .size:           2
        .value_kind:     hidden_remainder_x
      - .offset:         492
        .size:           2
        .value_kind:     hidden_remainder_y
      - .offset:         494
        .size:           2
        .value_kind:     hidden_remainder_z
      - .offset:         512
        .size:           8
        .value_kind:     hidden_global_offset_x
      - .offset:         520
        .size:           8
        .value_kind:     hidden_global_offset_y
      - .offset:         528
        .size:           8
        .value_kind:     hidden_global_offset_z
      - .offset:         536
        .size:           2
        .value_kind:     hidden_grid_dims
    .group_segment_fixed_size: 0
    .kernarg_segment_align: 8
    .kernarg_segment_size: 728
    .language:       OpenCL C
    .language_version:
      - 2
      - 0
    .max_flat_workgroup_size: 512
    .name:           _ZN2at4cuda12_GLOBAL__N_121kernelPointwiseApply2IZNS_6native9templates4cuda28bernoulli_tensor_cuda_kernelIN3c108BFloat16EfEEvRKNS_10TensorBaseESB_NS_15PhiloxCudaStateEEUliRS8_SD_SD_SD_RKfSF_SF_SF_E_S8_SE_jLi2ELi1ELi4ELi512ELi2EEEvNS0_6detail10TensorInfoIT0_T2_EENSI_IT1_SK_EESK_T_
    .private_segment_fixed_size: 0
    .sgpr_count:     64
    .sgpr_spill_count: 0
    .symbol:         _ZN2at4cuda12_GLOBAL__N_121kernelPointwiseApply2IZNS_6native9templates4cuda28bernoulli_tensor_cuda_kernelIN3c108BFloat16EfEEvRKNS_10TensorBaseESB_NS_15PhiloxCudaStateEEUliRS8_SD_SD_SD_RKfSF_SF_SF_E_S8_SE_jLi2ELi1ELi4ELi512ELi2EEEvNS0_6detail10TensorInfoIT0_T2_EENSI_IT1_SK_EESK_T_.kd
    .uniform_work_group_size: 1
    .uses_dynamic_stack: false
    .vgpr_count:     57
    .vgpr_spill_count: 0
    .wavefront_size: 64
  - .agpr_count:     0
    .args:
      - .offset:         0
        .size:           216
        .value_kind:     by_value
      - .offset:         216
        .size:           216
        .value_kind:     by_value
      - .offset:         432
        .size:           4
        .value_kind:     by_value
      - .offset:         440
        .size:           32
        .value_kind:     by_value
      - .offset:         472
        .size:           4
        .value_kind:     hidden_block_count_x
      - .offset:         476
        .size:           4
        .value_kind:     hidden_block_count_y
      - .offset:         480
        .size:           4
        .value_kind:     hidden_block_count_z
      - .offset:         484
        .size:           2
        .value_kind:     hidden_group_size_x
      - .offset:         486
        .size:           2
        .value_kind:     hidden_group_size_y
      - .offset:         488
        .size:           2
        .value_kind:     hidden_group_size_z
      - .offset:         490
        .size:           2
        .value_kind:     hidden_remainder_x
      - .offset:         492
        .size:           2
        .value_kind:     hidden_remainder_y
      - .offset:         494
        .size:           2
        .value_kind:     hidden_remainder_z
      - .offset:         512
        .size:           8
        .value_kind:     hidden_global_offset_x
      - .offset:         520
        .size:           8
        .value_kind:     hidden_global_offset_y
      - .offset:         528
        .size:           8
        .value_kind:     hidden_global_offset_z
      - .offset:         536
        .size:           2
        .value_kind:     hidden_grid_dims
    .group_segment_fixed_size: 0
    .kernarg_segment_align: 8
    .kernarg_segment_size: 728
    .language:       OpenCL C
    .language_version:
      - 2
      - 0
    .max_flat_workgroup_size: 512
    .name:           _ZN2at4cuda12_GLOBAL__N_121kernelPointwiseApply2IZNS_6native9templates4cuda28bernoulli_tensor_cuda_kernelIN3c108BFloat16EfEEvRKNS_10TensorBaseESB_NS_15PhiloxCudaStateEEUliRS8_SD_SD_SD_RKfSF_SF_SF_E_S8_SE_jLi2ELi2ELi4ELi512ELi2EEEvNS0_6detail10TensorInfoIT0_T2_EENSI_IT1_SK_EESK_T_
    .private_segment_fixed_size: 0
    .sgpr_count:     66
    .sgpr_spill_count: 0
    .symbol:         _ZN2at4cuda12_GLOBAL__N_121kernelPointwiseApply2IZNS_6native9templates4cuda28bernoulli_tensor_cuda_kernelIN3c108BFloat16EfEEvRKNS_10TensorBaseESB_NS_15PhiloxCudaStateEEUliRS8_SD_SD_SD_RKfSF_SF_SF_E_S8_SE_jLi2ELi2ELi4ELi512ELi2EEEvNS0_6detail10TensorInfoIT0_T2_EENSI_IT1_SK_EESK_T_.kd
    .uniform_work_group_size: 1
    .uses_dynamic_stack: false
    .vgpr_count:     53
    .vgpr_spill_count: 0
    .wavefront_size: 64
  - .agpr_count:     0
    .args:
      - .offset:         0
        .size:           216
        .value_kind:     by_value
      - .offset:         216
        .size:           216
        .value_kind:     by_value
      - .offset:         432
        .size:           4
        .value_kind:     by_value
      - .offset:         440
        .size:           32
        .value_kind:     by_value
      - .offset:         472
        .size:           4
        .value_kind:     hidden_block_count_x
      - .offset:         476
        .size:           4
        .value_kind:     hidden_block_count_y
      - .offset:         480
        .size:           4
        .value_kind:     hidden_block_count_z
      - .offset:         484
        .size:           2
        .value_kind:     hidden_group_size_x
      - .offset:         486
        .size:           2
        .value_kind:     hidden_group_size_y
      - .offset:         488
        .size:           2
        .value_kind:     hidden_group_size_z
      - .offset:         490
        .size:           2
        .value_kind:     hidden_remainder_x
      - .offset:         492
        .size:           2
        .value_kind:     hidden_remainder_y
      - .offset:         494
        .size:           2
        .value_kind:     hidden_remainder_z
      - .offset:         512
        .size:           8
        .value_kind:     hidden_global_offset_x
      - .offset:         520
        .size:           8
        .value_kind:     hidden_global_offset_y
      - .offset:         528
        .size:           8
        .value_kind:     hidden_global_offset_z
      - .offset:         536
        .size:           2
        .value_kind:     hidden_grid_dims
    .group_segment_fixed_size: 0
    .kernarg_segment_align: 8
    .kernarg_segment_size: 728
    .language:       OpenCL C
    .language_version:
      - 2
      - 0
    .max_flat_workgroup_size: 512
    .name:           _ZN2at4cuda12_GLOBAL__N_121kernelPointwiseApply2IZNS_6native9templates4cuda28bernoulli_tensor_cuda_kernelIN3c108BFloat16EfEEvRKNS_10TensorBaseESB_NS_15PhiloxCudaStateEEUliRS8_SD_SD_SD_RKfSF_SF_SF_E_S8_SE_jLi2ELin1ELi4ELi512ELi2EEEvNS0_6detail10TensorInfoIT0_T2_EENSI_IT1_SK_EESK_T_
    .private_segment_fixed_size: 0
    .sgpr_count:     65
    .sgpr_spill_count: 0
    .symbol:         _ZN2at4cuda12_GLOBAL__N_121kernelPointwiseApply2IZNS_6native9templates4cuda28bernoulli_tensor_cuda_kernelIN3c108BFloat16EfEEvRKNS_10TensorBaseESB_NS_15PhiloxCudaStateEEUliRS8_SD_SD_SD_RKfSF_SF_SF_E_S8_SE_jLi2ELin1ELi4ELi512ELi2EEEvNS0_6detail10TensorInfoIT0_T2_EENSI_IT1_SK_EESK_T_.kd
    .uniform_work_group_size: 1
    .uses_dynamic_stack: false
    .vgpr_count:     51
    .vgpr_spill_count: 0
    .wavefront_size: 64
  - .agpr_count:     0
    .args:
      - .offset:         0
        .size:           216
        .value_kind:     by_value
      - .offset:         216
        .size:           216
        .value_kind:     by_value
      - .offset:         432
        .size:           4
        .value_kind:     by_value
      - .offset:         440
        .size:           32
        .value_kind:     by_value
      - .offset:         472
        .size:           4
        .value_kind:     hidden_block_count_x
      - .offset:         476
        .size:           4
        .value_kind:     hidden_block_count_y
      - .offset:         480
        .size:           4
        .value_kind:     hidden_block_count_z
      - .offset:         484
        .size:           2
        .value_kind:     hidden_group_size_x
      - .offset:         486
        .size:           2
        .value_kind:     hidden_group_size_y
      - .offset:         488
        .size:           2
        .value_kind:     hidden_group_size_z
      - .offset:         490
        .size:           2
        .value_kind:     hidden_remainder_x
      - .offset:         492
        .size:           2
        .value_kind:     hidden_remainder_y
      - .offset:         494
        .size:           2
        .value_kind:     hidden_remainder_z
      - .offset:         512
        .size:           8
        .value_kind:     hidden_global_offset_x
      - .offset:         520
        .size:           8
        .value_kind:     hidden_global_offset_y
      - .offset:         528
        .size:           8
        .value_kind:     hidden_global_offset_z
      - .offset:         536
        .size:           2
        .value_kind:     hidden_grid_dims
    .group_segment_fixed_size: 0
    .kernarg_segment_align: 8
    .kernarg_segment_size: 728
    .language:       OpenCL C
    .language_version:
      - 2
      - 0
    .max_flat_workgroup_size: 512
    .name:           _ZN2at4cuda12_GLOBAL__N_121kernelPointwiseApply2IZNS_6native9templates4cuda28bernoulli_tensor_cuda_kernelIN3c108BFloat16EfEEvRKNS_10TensorBaseESB_NS_15PhiloxCudaStateEEUliRS8_SD_SD_SD_RKfSF_SF_SF_E_S8_SE_jLin1ELi1ELi4ELi512ELi2EEEvNS0_6detail10TensorInfoIT0_T2_EENSI_IT1_SK_EESK_T_
    .private_segment_fixed_size: 0
    .sgpr_count:     65
    .sgpr_spill_count: 0
    .symbol:         _ZN2at4cuda12_GLOBAL__N_121kernelPointwiseApply2IZNS_6native9templates4cuda28bernoulli_tensor_cuda_kernelIN3c108BFloat16EfEEvRKNS_10TensorBaseESB_NS_15PhiloxCudaStateEEUliRS8_SD_SD_SD_RKfSF_SF_SF_E_S8_SE_jLin1ELi1ELi4ELi512ELi2EEEvNS0_6detail10TensorInfoIT0_T2_EENSI_IT1_SK_EESK_T_.kd
    .uniform_work_group_size: 1
    .uses_dynamic_stack: false
    .vgpr_count:     51
    .vgpr_spill_count: 0
    .wavefront_size: 64
  - .agpr_count:     0
    .args:
      - .offset:         0
        .size:           216
        .value_kind:     by_value
      - .offset:         216
        .size:           216
        .value_kind:     by_value
      - .offset:         432
        .size:           4
        .value_kind:     by_value
      - .offset:         440
        .size:           32
        .value_kind:     by_value
      - .offset:         472
        .size:           4
        .value_kind:     hidden_block_count_x
      - .offset:         476
        .size:           4
        .value_kind:     hidden_block_count_y
      - .offset:         480
        .size:           4
        .value_kind:     hidden_block_count_z
      - .offset:         484
        .size:           2
        .value_kind:     hidden_group_size_x
      - .offset:         486
        .size:           2
        .value_kind:     hidden_group_size_y
      - .offset:         488
        .size:           2
        .value_kind:     hidden_group_size_z
      - .offset:         490
        .size:           2
        .value_kind:     hidden_remainder_x
      - .offset:         492
        .size:           2
        .value_kind:     hidden_remainder_y
      - .offset:         494
        .size:           2
        .value_kind:     hidden_remainder_z
      - .offset:         512
        .size:           8
        .value_kind:     hidden_global_offset_x
      - .offset:         520
        .size:           8
        .value_kind:     hidden_global_offset_y
      - .offset:         528
        .size:           8
        .value_kind:     hidden_global_offset_z
      - .offset:         536
        .size:           2
        .value_kind:     hidden_grid_dims
    .group_segment_fixed_size: 0
    .kernarg_segment_align: 8
    .kernarg_segment_size: 728
    .language:       OpenCL C
    .language_version:
      - 2
      - 0
    .max_flat_workgroup_size: 512
    .name:           _ZN2at4cuda12_GLOBAL__N_121kernelPointwiseApply2IZNS_6native9templates4cuda28bernoulli_tensor_cuda_kernelIN3c108BFloat16EfEEvRKNS_10TensorBaseESB_NS_15PhiloxCudaStateEEUliRS8_SD_SD_SD_RKfSF_SF_SF_E_S8_SE_jLin1ELi2ELi4ELi512ELi2EEEvNS0_6detail10TensorInfoIT0_T2_EENSI_IT1_SK_EESK_T_
    .private_segment_fixed_size: 0
    .sgpr_count:     67
    .sgpr_spill_count: 0
    .symbol:         _ZN2at4cuda12_GLOBAL__N_121kernelPointwiseApply2IZNS_6native9templates4cuda28bernoulli_tensor_cuda_kernelIN3c108BFloat16EfEEvRKNS_10TensorBaseESB_NS_15PhiloxCudaStateEEUliRS8_SD_SD_SD_RKfSF_SF_SF_E_S8_SE_jLin1ELi2ELi4ELi512ELi2EEEvNS0_6detail10TensorInfoIT0_T2_EENSI_IT1_SK_EESK_T_.kd
    .uniform_work_group_size: 1
    .uses_dynamic_stack: false
    .vgpr_count:     51
    .vgpr_spill_count: 0
    .wavefront_size: 64
  - .agpr_count:     0
    .args:
      - .offset:         0
        .size:           216
        .value_kind:     by_value
      - .offset:         216
        .size:           216
        .value_kind:     by_value
      - .offset:         432
        .size:           4
        .value_kind:     by_value
      - .offset:         440
        .size:           32
        .value_kind:     by_value
      - .offset:         472
        .size:           4
        .value_kind:     hidden_block_count_x
      - .offset:         476
        .size:           4
        .value_kind:     hidden_block_count_y
      - .offset:         480
        .size:           4
        .value_kind:     hidden_block_count_z
      - .offset:         484
        .size:           2
        .value_kind:     hidden_group_size_x
      - .offset:         486
        .size:           2
        .value_kind:     hidden_group_size_y
      - .offset:         488
        .size:           2
        .value_kind:     hidden_group_size_z
      - .offset:         490
        .size:           2
        .value_kind:     hidden_remainder_x
      - .offset:         492
        .size:           2
        .value_kind:     hidden_remainder_y
      - .offset:         494
        .size:           2
        .value_kind:     hidden_remainder_z
      - .offset:         512
        .size:           8
        .value_kind:     hidden_global_offset_x
      - .offset:         520
        .size:           8
        .value_kind:     hidden_global_offset_y
      - .offset:         528
        .size:           8
        .value_kind:     hidden_global_offset_z
      - .offset:         536
        .size:           2
        .value_kind:     hidden_grid_dims
    .group_segment_fixed_size: 0
    .kernarg_segment_align: 8
    .kernarg_segment_size: 728
    .language:       OpenCL C
    .language_version:
      - 2
      - 0
    .max_flat_workgroup_size: 512
    .name:           _ZN2at4cuda12_GLOBAL__N_121kernelPointwiseApply2IZNS_6native9templates4cuda28bernoulli_tensor_cuda_kernelIN3c108BFloat16EfEEvRKNS_10TensorBaseESB_NS_15PhiloxCudaStateEEUliRS8_SD_SD_SD_RKfSF_SF_SF_E_S8_SE_jLin1ELin1ELi4ELi512ELi2EEEvNS0_6detail10TensorInfoIT0_T2_EENSI_IT1_SK_EESK_T_
    .private_segment_fixed_size: 0
    .sgpr_count:     68
    .sgpr_spill_count: 0
    .symbol:         _ZN2at4cuda12_GLOBAL__N_121kernelPointwiseApply2IZNS_6native9templates4cuda28bernoulli_tensor_cuda_kernelIN3c108BFloat16EfEEvRKNS_10TensorBaseESB_NS_15PhiloxCudaStateEEUliRS8_SD_SD_SD_RKfSF_SF_SF_E_S8_SE_jLin1ELin1ELi4ELi512ELi2EEEvNS0_6detail10TensorInfoIT0_T2_EENSI_IT1_SK_EESK_T_.kd
    .uniform_work_group_size: 1
    .uses_dynamic_stack: false
    .vgpr_count:     50
    .vgpr_spill_count: 0
    .wavefront_size: 64
  - .agpr_count:     0
    .args:
      - .offset:         0
        .size:           416
        .value_kind:     by_value
      - .offset:         416
        .size:           416
        .value_kind:     by_value
      - .offset:         832
        .size:           8
        .value_kind:     by_value
      - .offset:         840
        .size:           32
        .value_kind:     by_value
      - .offset:         872
        .size:           4
        .value_kind:     hidden_block_count_x
      - .offset:         876
        .size:           4
        .value_kind:     hidden_block_count_y
      - .offset:         880
        .size:           4
        .value_kind:     hidden_block_count_z
      - .offset:         884
        .size:           2
        .value_kind:     hidden_group_size_x
      - .offset:         886
        .size:           2
        .value_kind:     hidden_group_size_y
      - .offset:         888
        .size:           2
        .value_kind:     hidden_group_size_z
      - .offset:         890
        .size:           2
        .value_kind:     hidden_remainder_x
      - .offset:         892
        .size:           2
        .value_kind:     hidden_remainder_y
      - .offset:         894
        .size:           2
        .value_kind:     hidden_remainder_z
      - .offset:         912
        .size:           8
        .value_kind:     hidden_global_offset_x
      - .offset:         920
        .size:           8
        .value_kind:     hidden_global_offset_y
      - .offset:         928
        .size:           8
        .value_kind:     hidden_global_offset_z
      - .offset:         936
        .size:           2
        .value_kind:     hidden_grid_dims
    .group_segment_fixed_size: 0
    .kernarg_segment_align: 8
    .kernarg_segment_size: 1128
    .language:       OpenCL C
    .language_version:
      - 2
      - 0
    .max_flat_workgroup_size: 512
    .name:           _ZN2at4cuda12_GLOBAL__N_121kernelPointwiseApply2IZNS_6native9templates4cuda28bernoulli_tensor_cuda_kernelIN3c108BFloat16EfEEvRKNS_10TensorBaseESB_NS_15PhiloxCudaStateEEUliRS8_SD_SD_SD_RKfSF_SF_SF_E_S8_SE_mLi1ELi1ELi4ELi512ELi2EEEvNS0_6detail10TensorInfoIT0_T2_EENSI_IT1_SK_EESK_T_
    .private_segment_fixed_size: 0
    .sgpr_count:     71
    .sgpr_spill_count: 0
    .symbol:         _ZN2at4cuda12_GLOBAL__N_121kernelPointwiseApply2IZNS_6native9templates4cuda28bernoulli_tensor_cuda_kernelIN3c108BFloat16EfEEvRKNS_10TensorBaseESB_NS_15PhiloxCudaStateEEUliRS8_SD_SD_SD_RKfSF_SF_SF_E_S8_SE_mLi1ELi1ELi4ELi512ELi2EEEvNS0_6detail10TensorInfoIT0_T2_EENSI_IT1_SK_EESK_T_.kd
    .uniform_work_group_size: 1
    .uses_dynamic_stack: false
    .vgpr_count:     61
    .vgpr_spill_count: 0
    .wavefront_size: 64
  - .agpr_count:     0
    .args:
      - .offset:         0
        .size:           416
        .value_kind:     by_value
      - .offset:         416
        .size:           416
        .value_kind:     by_value
      - .offset:         832
        .size:           8
        .value_kind:     by_value
      - .offset:         840
        .size:           32
        .value_kind:     by_value
      - .offset:         872
        .size:           4
        .value_kind:     hidden_block_count_x
      - .offset:         876
        .size:           4
        .value_kind:     hidden_block_count_y
      - .offset:         880
        .size:           4
        .value_kind:     hidden_block_count_z
      - .offset:         884
        .size:           2
        .value_kind:     hidden_group_size_x
      - .offset:         886
        .size:           2
        .value_kind:     hidden_group_size_y
      - .offset:         888
        .size:           2
        .value_kind:     hidden_group_size_z
      - .offset:         890
        .size:           2
        .value_kind:     hidden_remainder_x
      - .offset:         892
        .size:           2
        .value_kind:     hidden_remainder_y
      - .offset:         894
        .size:           2
        .value_kind:     hidden_remainder_z
      - .offset:         912
        .size:           8
        .value_kind:     hidden_global_offset_x
      - .offset:         920
        .size:           8
        .value_kind:     hidden_global_offset_y
      - .offset:         928
        .size:           8
        .value_kind:     hidden_global_offset_z
      - .offset:         936
        .size:           2
        .value_kind:     hidden_grid_dims
    .group_segment_fixed_size: 0
    .kernarg_segment_align: 8
    .kernarg_segment_size: 1128
    .language:       OpenCL C
    .language_version:
      - 2
      - 0
    .max_flat_workgroup_size: 512
    .name:           _ZN2at4cuda12_GLOBAL__N_121kernelPointwiseApply2IZNS_6native9templates4cuda28bernoulli_tensor_cuda_kernelIN3c108BFloat16EfEEvRKNS_10TensorBaseESB_NS_15PhiloxCudaStateEEUliRS8_SD_SD_SD_RKfSF_SF_SF_E_S8_SE_mLin1ELin1ELi4ELi512ELi2EEEvNS0_6detail10TensorInfoIT0_T2_EENSI_IT1_SK_EESK_T_
    .private_segment_fixed_size: 0
    .sgpr_count:     72
    .sgpr_spill_count: 0
    .symbol:         _ZN2at4cuda12_GLOBAL__N_121kernelPointwiseApply2IZNS_6native9templates4cuda28bernoulli_tensor_cuda_kernelIN3c108BFloat16EfEEvRKNS_10TensorBaseESB_NS_15PhiloxCudaStateEEUliRS8_SD_SD_SD_RKfSF_SF_SF_E_S8_SE_mLin1ELin1ELi4ELi512ELi2EEEvNS0_6detail10TensorInfoIT0_T2_EENSI_IT1_SK_EESK_T_.kd
    .uniform_work_group_size: 1
    .uses_dynamic_stack: false
    .vgpr_count:     54
    .vgpr_spill_count: 0
    .wavefront_size: 64
  - .agpr_count:     0
    .args:
      - .offset:         0
        .size:           216
        .value_kind:     by_value
      - .offset:         216
        .size:           216
        .value_kind:     by_value
      - .offset:         432
        .size:           4
        .value_kind:     by_value
      - .offset:         440
        .size:           32
        .value_kind:     by_value
      - .offset:         472
        .size:           4
        .value_kind:     hidden_block_count_x
      - .offset:         476
        .size:           4
        .value_kind:     hidden_block_count_y
      - .offset:         480
        .size:           4
        .value_kind:     hidden_block_count_z
      - .offset:         484
        .size:           2
        .value_kind:     hidden_group_size_x
      - .offset:         486
        .size:           2
        .value_kind:     hidden_group_size_y
      - .offset:         488
        .size:           2
        .value_kind:     hidden_group_size_z
      - .offset:         490
        .size:           2
        .value_kind:     hidden_remainder_x
      - .offset:         492
        .size:           2
        .value_kind:     hidden_remainder_y
      - .offset:         494
        .size:           2
        .value_kind:     hidden_remainder_z
      - .offset:         512
        .size:           8
        .value_kind:     hidden_global_offset_x
      - .offset:         520
        .size:           8
        .value_kind:     hidden_global_offset_y
      - .offset:         528
        .size:           8
        .value_kind:     hidden_global_offset_z
      - .offset:         536
        .size:           2
        .value_kind:     hidden_grid_dims
    .group_segment_fixed_size: 0
    .kernarg_segment_align: 8
    .kernarg_segment_size: 728
    .language:       OpenCL C
    .language_version:
      - 2
      - 0
    .max_flat_workgroup_size: 512
    .name:           _ZN2at4cuda12_GLOBAL__N_121kernelPointwiseApply2IZNS_6native9templates4cuda28bernoulli_tensor_cuda_kernelIbfEEvRKNS_10TensorBaseES9_NS_15PhiloxCudaStateEEUliRbSB_SB_SB_RKfSD_SD_SD_E_bSC_jLi1ELi1ELi4ELi512ELi2EEEvNS0_6detail10TensorInfoIT0_T2_EENSG_IT1_SI_EESI_T_
    .private_segment_fixed_size: 0
    .sgpr_count:     65
    .sgpr_spill_count: 0
    .symbol:         _ZN2at4cuda12_GLOBAL__N_121kernelPointwiseApply2IZNS_6native9templates4cuda28bernoulli_tensor_cuda_kernelIbfEEvRKNS_10TensorBaseES9_NS_15PhiloxCudaStateEEUliRbSB_SB_SB_RKfSD_SD_SD_E_bSC_jLi1ELi1ELi4ELi512ELi2EEEvNS0_6detail10TensorInfoIT0_T2_EENSG_IT1_SI_EESI_T_.kd
    .uniform_work_group_size: 1
    .uses_dynamic_stack: false
    .vgpr_count:     53
    .vgpr_spill_count: 0
    .wavefront_size: 64
  - .agpr_count:     0
    .args:
      - .offset:         0
        .size:           216
        .value_kind:     by_value
      - .offset:         216
        .size:           216
        .value_kind:     by_value
      - .offset:         432
        .size:           4
        .value_kind:     by_value
      - .offset:         440
        .size:           32
        .value_kind:     by_value
      - .offset:         472
        .size:           4
        .value_kind:     hidden_block_count_x
      - .offset:         476
        .size:           4
        .value_kind:     hidden_block_count_y
      - .offset:         480
        .size:           4
        .value_kind:     hidden_block_count_z
      - .offset:         484
        .size:           2
        .value_kind:     hidden_group_size_x
      - .offset:         486
        .size:           2
        .value_kind:     hidden_group_size_y
      - .offset:         488
        .size:           2
        .value_kind:     hidden_group_size_z
      - .offset:         490
        .size:           2
        .value_kind:     hidden_remainder_x
      - .offset:         492
        .size:           2
        .value_kind:     hidden_remainder_y
      - .offset:         494
        .size:           2
        .value_kind:     hidden_remainder_z
      - .offset:         512
        .size:           8
        .value_kind:     hidden_global_offset_x
      - .offset:         520
        .size:           8
        .value_kind:     hidden_global_offset_y
      - .offset:         528
        .size:           8
        .value_kind:     hidden_global_offset_z
      - .offset:         536
        .size:           2
        .value_kind:     hidden_grid_dims
    .group_segment_fixed_size: 0
    .kernarg_segment_align: 8
    .kernarg_segment_size: 728
    .language:       OpenCL C
    .language_version:
      - 2
      - 0
    .max_flat_workgroup_size: 512
    .name:           _ZN2at4cuda12_GLOBAL__N_121kernelPointwiseApply2IZNS_6native9templates4cuda28bernoulli_tensor_cuda_kernelIbfEEvRKNS_10TensorBaseES9_NS_15PhiloxCudaStateEEUliRbSB_SB_SB_RKfSD_SD_SD_E_bSC_jLi1ELi2ELi4ELi512ELi2EEEvNS0_6detail10TensorInfoIT0_T2_EENSG_IT1_SI_EESI_T_
    .private_segment_fixed_size: 0
    .sgpr_count:     68
    .sgpr_spill_count: 0
    .symbol:         _ZN2at4cuda12_GLOBAL__N_121kernelPointwiseApply2IZNS_6native9templates4cuda28bernoulli_tensor_cuda_kernelIbfEEvRKNS_10TensorBaseES9_NS_15PhiloxCudaStateEEUliRbSB_SB_SB_RKfSD_SD_SD_E_bSC_jLi1ELi2ELi4ELi512ELi2EEEvNS0_6detail10TensorInfoIT0_T2_EENSG_IT1_SI_EESI_T_.kd
    .uniform_work_group_size: 1
    .uses_dynamic_stack: false
    .vgpr_count:     51
    .vgpr_spill_count: 0
    .wavefront_size: 64
  - .agpr_count:     0
    .args:
      - .offset:         0
        .size:           216
        .value_kind:     by_value
      - .offset:         216
        .size:           216
        .value_kind:     by_value
      - .offset:         432
        .size:           4
        .value_kind:     by_value
      - .offset:         440
        .size:           32
        .value_kind:     by_value
      - .offset:         472
        .size:           4
        .value_kind:     hidden_block_count_x
      - .offset:         476
        .size:           4
        .value_kind:     hidden_block_count_y
      - .offset:         480
        .size:           4
        .value_kind:     hidden_block_count_z
      - .offset:         484
        .size:           2
        .value_kind:     hidden_group_size_x
      - .offset:         486
        .size:           2
        .value_kind:     hidden_group_size_y
      - .offset:         488
        .size:           2
        .value_kind:     hidden_group_size_z
      - .offset:         490
        .size:           2
        .value_kind:     hidden_remainder_x
      - .offset:         492
        .size:           2
        .value_kind:     hidden_remainder_y
      - .offset:         494
        .size:           2
        .value_kind:     hidden_remainder_z
      - .offset:         512
        .size:           8
        .value_kind:     hidden_global_offset_x
      - .offset:         520
        .size:           8
        .value_kind:     hidden_global_offset_y
      - .offset:         528
        .size:           8
        .value_kind:     hidden_global_offset_z
      - .offset:         536
        .size:           2
        .value_kind:     hidden_grid_dims
    .group_segment_fixed_size: 0
    .kernarg_segment_align: 8
    .kernarg_segment_size: 728
    .language:       OpenCL C
    .language_version:
      - 2
      - 0
    .max_flat_workgroup_size: 512
    .name:           _ZN2at4cuda12_GLOBAL__N_121kernelPointwiseApply2IZNS_6native9templates4cuda28bernoulli_tensor_cuda_kernelIbfEEvRKNS_10TensorBaseES9_NS_15PhiloxCudaStateEEUliRbSB_SB_SB_RKfSD_SD_SD_E_bSC_jLi1ELin1ELi4ELi512ELi2EEEvNS0_6detail10TensorInfoIT0_T2_EENSG_IT1_SI_EESI_T_
    .private_segment_fixed_size: 0
    .sgpr_count:     71
    .sgpr_spill_count: 0
    .symbol:         _ZN2at4cuda12_GLOBAL__N_121kernelPointwiseApply2IZNS_6native9templates4cuda28bernoulli_tensor_cuda_kernelIbfEEvRKNS_10TensorBaseES9_NS_15PhiloxCudaStateEEUliRbSB_SB_SB_RKfSD_SD_SD_E_bSC_jLi1ELin1ELi4ELi512ELi2EEEvNS0_6detail10TensorInfoIT0_T2_EENSG_IT1_SI_EESI_T_.kd
    .uniform_work_group_size: 1
    .uses_dynamic_stack: false
    .vgpr_count:     49
    .vgpr_spill_count: 0
    .wavefront_size: 64
  - .agpr_count:     0
    .args:
      - .offset:         0
        .size:           216
        .value_kind:     by_value
      - .offset:         216
        .size:           216
        .value_kind:     by_value
      - .offset:         432
        .size:           4
        .value_kind:     by_value
      - .offset:         440
        .size:           32
        .value_kind:     by_value
      - .offset:         472
        .size:           4
        .value_kind:     hidden_block_count_x
      - .offset:         476
        .size:           4
        .value_kind:     hidden_block_count_y
      - .offset:         480
        .size:           4
        .value_kind:     hidden_block_count_z
      - .offset:         484
        .size:           2
        .value_kind:     hidden_group_size_x
      - .offset:         486
        .size:           2
        .value_kind:     hidden_group_size_y
      - .offset:         488
        .size:           2
        .value_kind:     hidden_group_size_z
      - .offset:         490
        .size:           2
        .value_kind:     hidden_remainder_x
      - .offset:         492
        .size:           2
        .value_kind:     hidden_remainder_y
      - .offset:         494
        .size:           2
        .value_kind:     hidden_remainder_z
      - .offset:         512
        .size:           8
        .value_kind:     hidden_global_offset_x
      - .offset:         520
        .size:           8
        .value_kind:     hidden_global_offset_y
      - .offset:         528
        .size:           8
        .value_kind:     hidden_global_offset_z
      - .offset:         536
        .size:           2
        .value_kind:     hidden_grid_dims
    .group_segment_fixed_size: 0
    .kernarg_segment_align: 8
    .kernarg_segment_size: 728
    .language:       OpenCL C
    .language_version:
      - 2
      - 0
    .max_flat_workgroup_size: 512
    .name:           _ZN2at4cuda12_GLOBAL__N_121kernelPointwiseApply2IZNS_6native9templates4cuda28bernoulli_tensor_cuda_kernelIbfEEvRKNS_10TensorBaseES9_NS_15PhiloxCudaStateEEUliRbSB_SB_SB_RKfSD_SD_SD_E_bSC_jLi2ELi1ELi4ELi512ELi2EEEvNS0_6detail10TensorInfoIT0_T2_EENSG_IT1_SI_EESI_T_
    .private_segment_fixed_size: 0
    .sgpr_count:     64
    .sgpr_spill_count: 0
    .symbol:         _ZN2at4cuda12_GLOBAL__N_121kernelPointwiseApply2IZNS_6native9templates4cuda28bernoulli_tensor_cuda_kernelIbfEEvRKNS_10TensorBaseES9_NS_15PhiloxCudaStateEEUliRbSB_SB_SB_RKfSD_SD_SD_E_bSC_jLi2ELi1ELi4ELi512ELi2EEEvNS0_6detail10TensorInfoIT0_T2_EENSG_IT1_SI_EESI_T_.kd
    .uniform_work_group_size: 1
    .uses_dynamic_stack: false
    .vgpr_count:     57
    .vgpr_spill_count: 0
    .wavefront_size: 64
  - .agpr_count:     0
    .args:
      - .offset:         0
        .size:           216
        .value_kind:     by_value
      - .offset:         216
        .size:           216
        .value_kind:     by_value
      - .offset:         432
        .size:           4
        .value_kind:     by_value
      - .offset:         440
        .size:           32
        .value_kind:     by_value
      - .offset:         472
        .size:           4
        .value_kind:     hidden_block_count_x
      - .offset:         476
        .size:           4
        .value_kind:     hidden_block_count_y
      - .offset:         480
        .size:           4
        .value_kind:     hidden_block_count_z
      - .offset:         484
        .size:           2
        .value_kind:     hidden_group_size_x
      - .offset:         486
        .size:           2
        .value_kind:     hidden_group_size_y
      - .offset:         488
        .size:           2
        .value_kind:     hidden_group_size_z
      - .offset:         490
        .size:           2
        .value_kind:     hidden_remainder_x
      - .offset:         492
        .size:           2
        .value_kind:     hidden_remainder_y
      - .offset:         494
        .size:           2
        .value_kind:     hidden_remainder_z
      - .offset:         512
        .size:           8
        .value_kind:     hidden_global_offset_x
      - .offset:         520
        .size:           8
        .value_kind:     hidden_global_offset_y
      - .offset:         528
        .size:           8
        .value_kind:     hidden_global_offset_z
      - .offset:         536
        .size:           2
        .value_kind:     hidden_grid_dims
    .group_segment_fixed_size: 0
    .kernarg_segment_align: 8
    .kernarg_segment_size: 728
    .language:       OpenCL C
    .language_version:
      - 2
      - 0
    .max_flat_workgroup_size: 512
    .name:           _ZN2at4cuda12_GLOBAL__N_121kernelPointwiseApply2IZNS_6native9templates4cuda28bernoulli_tensor_cuda_kernelIbfEEvRKNS_10TensorBaseES9_NS_15PhiloxCudaStateEEUliRbSB_SB_SB_RKfSD_SD_SD_E_bSC_jLi2ELi2ELi4ELi512ELi2EEEvNS0_6detail10TensorInfoIT0_T2_EENSG_IT1_SI_EESI_T_
    .private_segment_fixed_size: 0
    .sgpr_count:     66
    .sgpr_spill_count: 0
    .symbol:         _ZN2at4cuda12_GLOBAL__N_121kernelPointwiseApply2IZNS_6native9templates4cuda28bernoulli_tensor_cuda_kernelIbfEEvRKNS_10TensorBaseES9_NS_15PhiloxCudaStateEEUliRbSB_SB_SB_RKfSD_SD_SD_E_bSC_jLi2ELi2ELi4ELi512ELi2EEEvNS0_6detail10TensorInfoIT0_T2_EENSG_IT1_SI_EESI_T_.kd
    .uniform_work_group_size: 1
    .uses_dynamic_stack: false
    .vgpr_count:     53
    .vgpr_spill_count: 0
    .wavefront_size: 64
  - .agpr_count:     0
    .args:
      - .offset:         0
        .size:           216
        .value_kind:     by_value
      - .offset:         216
        .size:           216
        .value_kind:     by_value
      - .offset:         432
        .size:           4
        .value_kind:     by_value
      - .offset:         440
        .size:           32
        .value_kind:     by_value
      - .offset:         472
        .size:           4
        .value_kind:     hidden_block_count_x
      - .offset:         476
        .size:           4
        .value_kind:     hidden_block_count_y
      - .offset:         480
        .size:           4
        .value_kind:     hidden_block_count_z
      - .offset:         484
        .size:           2
        .value_kind:     hidden_group_size_x
      - .offset:         486
        .size:           2
        .value_kind:     hidden_group_size_y
      - .offset:         488
        .size:           2
        .value_kind:     hidden_group_size_z
      - .offset:         490
        .size:           2
        .value_kind:     hidden_remainder_x
      - .offset:         492
        .size:           2
        .value_kind:     hidden_remainder_y
      - .offset:         494
        .size:           2
        .value_kind:     hidden_remainder_z
      - .offset:         512
        .size:           8
        .value_kind:     hidden_global_offset_x
      - .offset:         520
        .size:           8
        .value_kind:     hidden_global_offset_y
      - .offset:         528
        .size:           8
        .value_kind:     hidden_global_offset_z
      - .offset:         536
        .size:           2
        .value_kind:     hidden_grid_dims
    .group_segment_fixed_size: 0
    .kernarg_segment_align: 8
    .kernarg_segment_size: 728
    .language:       OpenCL C
    .language_version:
      - 2
      - 0
    .max_flat_workgroup_size: 512
    .name:           _ZN2at4cuda12_GLOBAL__N_121kernelPointwiseApply2IZNS_6native9templates4cuda28bernoulli_tensor_cuda_kernelIbfEEvRKNS_10TensorBaseES9_NS_15PhiloxCudaStateEEUliRbSB_SB_SB_RKfSD_SD_SD_E_bSC_jLi2ELin1ELi4ELi512ELi2EEEvNS0_6detail10TensorInfoIT0_T2_EENSG_IT1_SI_EESI_T_
    .private_segment_fixed_size: 0
    .sgpr_count:     65
    .sgpr_spill_count: 0
    .symbol:         _ZN2at4cuda12_GLOBAL__N_121kernelPointwiseApply2IZNS_6native9templates4cuda28bernoulli_tensor_cuda_kernelIbfEEvRKNS_10TensorBaseES9_NS_15PhiloxCudaStateEEUliRbSB_SB_SB_RKfSD_SD_SD_E_bSC_jLi2ELin1ELi4ELi512ELi2EEEvNS0_6detail10TensorInfoIT0_T2_EENSG_IT1_SI_EESI_T_.kd
    .uniform_work_group_size: 1
    .uses_dynamic_stack: false
    .vgpr_count:     51
    .vgpr_spill_count: 0
    .wavefront_size: 64
  - .agpr_count:     0
    .args:
      - .offset:         0
        .size:           216
        .value_kind:     by_value
      - .offset:         216
        .size:           216
        .value_kind:     by_value
      - .offset:         432
        .size:           4
        .value_kind:     by_value
      - .offset:         440
        .size:           32
        .value_kind:     by_value
      - .offset:         472
        .size:           4
        .value_kind:     hidden_block_count_x
      - .offset:         476
        .size:           4
        .value_kind:     hidden_block_count_y
      - .offset:         480
        .size:           4
        .value_kind:     hidden_block_count_z
      - .offset:         484
        .size:           2
        .value_kind:     hidden_group_size_x
      - .offset:         486
        .size:           2
        .value_kind:     hidden_group_size_y
      - .offset:         488
        .size:           2
        .value_kind:     hidden_group_size_z
      - .offset:         490
        .size:           2
        .value_kind:     hidden_remainder_x
      - .offset:         492
        .size:           2
        .value_kind:     hidden_remainder_y
      - .offset:         494
        .size:           2
        .value_kind:     hidden_remainder_z
      - .offset:         512
        .size:           8
        .value_kind:     hidden_global_offset_x
      - .offset:         520
        .size:           8
        .value_kind:     hidden_global_offset_y
      - .offset:         528
        .size:           8
        .value_kind:     hidden_global_offset_z
      - .offset:         536
        .size:           2
        .value_kind:     hidden_grid_dims
    .group_segment_fixed_size: 0
    .kernarg_segment_align: 8
    .kernarg_segment_size: 728
    .language:       OpenCL C
    .language_version:
      - 2
      - 0
    .max_flat_workgroup_size: 512
    .name:           _ZN2at4cuda12_GLOBAL__N_121kernelPointwiseApply2IZNS_6native9templates4cuda28bernoulli_tensor_cuda_kernelIbfEEvRKNS_10TensorBaseES9_NS_15PhiloxCudaStateEEUliRbSB_SB_SB_RKfSD_SD_SD_E_bSC_jLin1ELi1ELi4ELi512ELi2EEEvNS0_6detail10TensorInfoIT0_T2_EENSG_IT1_SI_EESI_T_
    .private_segment_fixed_size: 0
    .sgpr_count:     65
    .sgpr_spill_count: 0
    .symbol:         _ZN2at4cuda12_GLOBAL__N_121kernelPointwiseApply2IZNS_6native9templates4cuda28bernoulli_tensor_cuda_kernelIbfEEvRKNS_10TensorBaseES9_NS_15PhiloxCudaStateEEUliRbSB_SB_SB_RKfSD_SD_SD_E_bSC_jLin1ELi1ELi4ELi512ELi2EEEvNS0_6detail10TensorInfoIT0_T2_EENSG_IT1_SI_EESI_T_.kd
    .uniform_work_group_size: 1
    .uses_dynamic_stack: false
    .vgpr_count:     51
    .vgpr_spill_count: 0
    .wavefront_size: 64
  - .agpr_count:     0
    .args:
      - .offset:         0
        .size:           216
        .value_kind:     by_value
      - .offset:         216
        .size:           216
        .value_kind:     by_value
      - .offset:         432
        .size:           4
        .value_kind:     by_value
      - .offset:         440
        .size:           32
        .value_kind:     by_value
      - .offset:         472
        .size:           4
        .value_kind:     hidden_block_count_x
      - .offset:         476
        .size:           4
        .value_kind:     hidden_block_count_y
      - .offset:         480
        .size:           4
        .value_kind:     hidden_block_count_z
      - .offset:         484
        .size:           2
        .value_kind:     hidden_group_size_x
      - .offset:         486
        .size:           2
        .value_kind:     hidden_group_size_y
      - .offset:         488
        .size:           2
        .value_kind:     hidden_group_size_z
      - .offset:         490
        .size:           2
        .value_kind:     hidden_remainder_x
      - .offset:         492
        .size:           2
        .value_kind:     hidden_remainder_y
      - .offset:         494
        .size:           2
        .value_kind:     hidden_remainder_z
      - .offset:         512
        .size:           8
        .value_kind:     hidden_global_offset_x
      - .offset:         520
        .size:           8
        .value_kind:     hidden_global_offset_y
      - .offset:         528
        .size:           8
        .value_kind:     hidden_global_offset_z
      - .offset:         536
        .size:           2
        .value_kind:     hidden_grid_dims
    .group_segment_fixed_size: 0
    .kernarg_segment_align: 8
    .kernarg_segment_size: 728
    .language:       OpenCL C
    .language_version:
      - 2
      - 0
    .max_flat_workgroup_size: 512
    .name:           _ZN2at4cuda12_GLOBAL__N_121kernelPointwiseApply2IZNS_6native9templates4cuda28bernoulli_tensor_cuda_kernelIbfEEvRKNS_10TensorBaseES9_NS_15PhiloxCudaStateEEUliRbSB_SB_SB_RKfSD_SD_SD_E_bSC_jLin1ELi2ELi4ELi512ELi2EEEvNS0_6detail10TensorInfoIT0_T2_EENSG_IT1_SI_EESI_T_
    .private_segment_fixed_size: 0
    .sgpr_count:     67
    .sgpr_spill_count: 0
    .symbol:         _ZN2at4cuda12_GLOBAL__N_121kernelPointwiseApply2IZNS_6native9templates4cuda28bernoulli_tensor_cuda_kernelIbfEEvRKNS_10TensorBaseES9_NS_15PhiloxCudaStateEEUliRbSB_SB_SB_RKfSD_SD_SD_E_bSC_jLin1ELi2ELi4ELi512ELi2EEEvNS0_6detail10TensorInfoIT0_T2_EENSG_IT1_SI_EESI_T_.kd
    .uniform_work_group_size: 1
    .uses_dynamic_stack: false
    .vgpr_count:     51
    .vgpr_spill_count: 0
    .wavefront_size: 64
  - .agpr_count:     0
    .args:
      - .offset:         0
        .size:           216
        .value_kind:     by_value
      - .offset:         216
        .size:           216
        .value_kind:     by_value
      - .offset:         432
        .size:           4
        .value_kind:     by_value
      - .offset:         440
        .size:           32
        .value_kind:     by_value
      - .offset:         472
        .size:           4
        .value_kind:     hidden_block_count_x
      - .offset:         476
        .size:           4
        .value_kind:     hidden_block_count_y
      - .offset:         480
        .size:           4
        .value_kind:     hidden_block_count_z
      - .offset:         484
        .size:           2
        .value_kind:     hidden_group_size_x
      - .offset:         486
        .size:           2
        .value_kind:     hidden_group_size_y
      - .offset:         488
        .size:           2
        .value_kind:     hidden_group_size_z
      - .offset:         490
        .size:           2
        .value_kind:     hidden_remainder_x
      - .offset:         492
        .size:           2
        .value_kind:     hidden_remainder_y
      - .offset:         494
        .size:           2
        .value_kind:     hidden_remainder_z
      - .offset:         512
        .size:           8
        .value_kind:     hidden_global_offset_x
      - .offset:         520
        .size:           8
        .value_kind:     hidden_global_offset_y
      - .offset:         528
        .size:           8
        .value_kind:     hidden_global_offset_z
      - .offset:         536
        .size:           2
        .value_kind:     hidden_grid_dims
    .group_segment_fixed_size: 0
    .kernarg_segment_align: 8
    .kernarg_segment_size: 728
    .language:       OpenCL C
    .language_version:
      - 2
      - 0
    .max_flat_workgroup_size: 512
    .name:           _ZN2at4cuda12_GLOBAL__N_121kernelPointwiseApply2IZNS_6native9templates4cuda28bernoulli_tensor_cuda_kernelIbfEEvRKNS_10TensorBaseES9_NS_15PhiloxCudaStateEEUliRbSB_SB_SB_RKfSD_SD_SD_E_bSC_jLin1ELin1ELi4ELi512ELi2EEEvNS0_6detail10TensorInfoIT0_T2_EENSG_IT1_SI_EESI_T_
    .private_segment_fixed_size: 0
    .sgpr_count:     68
    .sgpr_spill_count: 0
    .symbol:         _ZN2at4cuda12_GLOBAL__N_121kernelPointwiseApply2IZNS_6native9templates4cuda28bernoulli_tensor_cuda_kernelIbfEEvRKNS_10TensorBaseES9_NS_15PhiloxCudaStateEEUliRbSB_SB_SB_RKfSD_SD_SD_E_bSC_jLin1ELin1ELi4ELi512ELi2EEEvNS0_6detail10TensorInfoIT0_T2_EENSG_IT1_SI_EESI_T_.kd
    .uniform_work_group_size: 1
    .uses_dynamic_stack: false
    .vgpr_count:     50
    .vgpr_spill_count: 0
    .wavefront_size: 64
  - .agpr_count:     0
    .args:
      - .offset:         0
        .size:           416
        .value_kind:     by_value
      - .offset:         416
        .size:           416
        .value_kind:     by_value
      - .offset:         832
        .size:           8
        .value_kind:     by_value
      - .offset:         840
        .size:           32
        .value_kind:     by_value
      - .offset:         872
        .size:           4
        .value_kind:     hidden_block_count_x
      - .offset:         876
        .size:           4
        .value_kind:     hidden_block_count_y
      - .offset:         880
        .size:           4
        .value_kind:     hidden_block_count_z
      - .offset:         884
        .size:           2
        .value_kind:     hidden_group_size_x
      - .offset:         886
        .size:           2
        .value_kind:     hidden_group_size_y
      - .offset:         888
        .size:           2
        .value_kind:     hidden_group_size_z
      - .offset:         890
        .size:           2
        .value_kind:     hidden_remainder_x
      - .offset:         892
        .size:           2
        .value_kind:     hidden_remainder_y
      - .offset:         894
        .size:           2
        .value_kind:     hidden_remainder_z
      - .offset:         912
        .size:           8
        .value_kind:     hidden_global_offset_x
      - .offset:         920
        .size:           8
        .value_kind:     hidden_global_offset_y
      - .offset:         928
        .size:           8
        .value_kind:     hidden_global_offset_z
      - .offset:         936
        .size:           2
        .value_kind:     hidden_grid_dims
    .group_segment_fixed_size: 0
    .kernarg_segment_align: 8
    .kernarg_segment_size: 1128
    .language:       OpenCL C
    .language_version:
      - 2
      - 0
    .max_flat_workgroup_size: 512
    .name:           _ZN2at4cuda12_GLOBAL__N_121kernelPointwiseApply2IZNS_6native9templates4cuda28bernoulli_tensor_cuda_kernelIbfEEvRKNS_10TensorBaseES9_NS_15PhiloxCudaStateEEUliRbSB_SB_SB_RKfSD_SD_SD_E_bSC_mLi1ELi1ELi4ELi512ELi2EEEvNS0_6detail10TensorInfoIT0_T2_EENSG_IT1_SI_EESI_T_
    .private_segment_fixed_size: 0
    .sgpr_count:     71
    .sgpr_spill_count: 0
    .symbol:         _ZN2at4cuda12_GLOBAL__N_121kernelPointwiseApply2IZNS_6native9templates4cuda28bernoulli_tensor_cuda_kernelIbfEEvRKNS_10TensorBaseES9_NS_15PhiloxCudaStateEEUliRbSB_SB_SB_RKfSD_SD_SD_E_bSC_mLi1ELi1ELi4ELi512ELi2EEEvNS0_6detail10TensorInfoIT0_T2_EENSG_IT1_SI_EESI_T_.kd
    .uniform_work_group_size: 1
    .uses_dynamic_stack: false
    .vgpr_count:     61
    .vgpr_spill_count: 0
    .wavefront_size: 64
  - .agpr_count:     0
    .args:
      - .offset:         0
        .size:           416
        .value_kind:     by_value
      - .offset:         416
        .size:           416
        .value_kind:     by_value
      - .offset:         832
        .size:           8
        .value_kind:     by_value
      - .offset:         840
        .size:           32
        .value_kind:     by_value
      - .offset:         872
        .size:           4
        .value_kind:     hidden_block_count_x
      - .offset:         876
        .size:           4
        .value_kind:     hidden_block_count_y
      - .offset:         880
        .size:           4
        .value_kind:     hidden_block_count_z
      - .offset:         884
        .size:           2
        .value_kind:     hidden_group_size_x
      - .offset:         886
        .size:           2
        .value_kind:     hidden_group_size_y
      - .offset:         888
        .size:           2
        .value_kind:     hidden_group_size_z
      - .offset:         890
        .size:           2
        .value_kind:     hidden_remainder_x
      - .offset:         892
        .size:           2
        .value_kind:     hidden_remainder_y
      - .offset:         894
        .size:           2
        .value_kind:     hidden_remainder_z
      - .offset:         912
        .size:           8
        .value_kind:     hidden_global_offset_x
      - .offset:         920
        .size:           8
        .value_kind:     hidden_global_offset_y
      - .offset:         928
        .size:           8
        .value_kind:     hidden_global_offset_z
      - .offset:         936
        .size:           2
        .value_kind:     hidden_grid_dims
    .group_segment_fixed_size: 0
    .kernarg_segment_align: 8
    .kernarg_segment_size: 1128
    .language:       OpenCL C
    .language_version:
      - 2
      - 0
    .max_flat_workgroup_size: 512
    .name:           _ZN2at4cuda12_GLOBAL__N_121kernelPointwiseApply2IZNS_6native9templates4cuda28bernoulli_tensor_cuda_kernelIbfEEvRKNS_10TensorBaseES9_NS_15PhiloxCudaStateEEUliRbSB_SB_SB_RKfSD_SD_SD_E_bSC_mLin1ELin1ELi4ELi512ELi2EEEvNS0_6detail10TensorInfoIT0_T2_EENSG_IT1_SI_EESI_T_
    .private_segment_fixed_size: 0
    .sgpr_count:     72
    .sgpr_spill_count: 0
    .symbol:         _ZN2at4cuda12_GLOBAL__N_121kernelPointwiseApply2IZNS_6native9templates4cuda28bernoulli_tensor_cuda_kernelIbfEEvRKNS_10TensorBaseES9_NS_15PhiloxCudaStateEEUliRbSB_SB_SB_RKfSD_SD_SD_E_bSC_mLin1ELin1ELi4ELi512ELi2EEEvNS0_6detail10TensorInfoIT0_T2_EENSG_IT1_SI_EESI_T_.kd
    .uniform_work_group_size: 1
    .uses_dynamic_stack: false
    .vgpr_count:     54
    .vgpr_spill_count: 0
    .wavefront_size: 64
  - .agpr_count:     0
    .args:
      - .offset:         0
        .size:           8
        .value_kind:     by_value
      - .offset:         8
        .size:           32
        .value_kind:     by_value
      - .offset:         40
        .size:           1
        .value_kind:     by_value
      - .offset:         48
        .size:           24
        .value_kind:     by_value
      - .offset:         72
        .size:           4
        .value_kind:     hidden_block_count_x
      - .offset:         76
        .size:           4
        .value_kind:     hidden_block_count_y
      - .offset:         80
        .size:           4
        .value_kind:     hidden_block_count_z
      - .offset:         84
        .size:           2
        .value_kind:     hidden_group_size_x
      - .offset:         86
        .size:           2
        .value_kind:     hidden_group_size_y
      - .offset:         88
        .size:           2
        .value_kind:     hidden_group_size_z
      - .offset:         90
        .size:           2
        .value_kind:     hidden_remainder_x
      - .offset:         92
        .size:           2
        .value_kind:     hidden_remainder_y
      - .offset:         94
        .size:           2
        .value_kind:     hidden_remainder_z
      - .offset:         112
        .size:           8
        .value_kind:     hidden_global_offset_x
      - .offset:         120
        .size:           8
        .value_kind:     hidden_global_offset_y
      - .offset:         128
        .size:           8
        .value_kind:     hidden_global_offset_z
      - .offset:         136
        .size:           2
        .value_kind:     hidden_grid_dims
    .group_segment_fixed_size: 0
    .kernarg_segment_align: 8
    .kernarg_segment_size: 328
    .language:       OpenCL C
    .language_version:
      - 2
      - 0
    .max_flat_workgroup_size: 256
    .name:           _ZN2at6native12_GLOBAL__N_143distribution_elementwise_grid_stride_kernelIfLi4EZNS0_9templates4cuda21uniform_and_transformIhfPNS_17CUDAGeneratorImplEZZZNS4_16bernoulli_kernelIS7_EEvRNS_18TensorIteratorBaseEdT_ENKUlvE_clEvENKUlvE_clEvEUlfE_EEvSA_T1_T2_EUlP25hiprandStatePhilox4_32_10E_ZNS1_27distribution_nullary_kernelIhf15HIP_vector_typeIdLj2EES7_SJ_SE_EEvSA_SG_RKT3_T4_EUlifE_EEvlNS_15PhiloxCudaStateESF_SG_
    .private_segment_fixed_size: 0
    .sgpr_count:     28
    .sgpr_spill_count: 0
    .symbol:         _ZN2at6native12_GLOBAL__N_143distribution_elementwise_grid_stride_kernelIfLi4EZNS0_9templates4cuda21uniform_and_transformIhfPNS_17CUDAGeneratorImplEZZZNS4_16bernoulli_kernelIS7_EEvRNS_18TensorIteratorBaseEdT_ENKUlvE_clEvENKUlvE_clEvEUlfE_EEvSA_T1_T2_EUlP25hiprandStatePhilox4_32_10E_ZNS1_27distribution_nullary_kernelIhf15HIP_vector_typeIdLj2EES7_SJ_SE_EEvSA_SG_RKT3_T4_EUlifE_EEvlNS_15PhiloxCudaStateESF_SG_.kd
    .uniform_work_group_size: 1
    .uses_dynamic_stack: false
    .vgpr_count:     46
    .vgpr_spill_count: 0
    .wavefront_size: 64
  - .agpr_count:     0
    .args:
      - .offset:         0
        .size:           8
        .value_kind:     by_value
      - .offset:         8
        .size:           32
        .value_kind:     by_value
      - .offset:         40
        .size:           1
        .value_kind:     by_value
      - .offset:         48
        .size:           280
        .value_kind:     by_value
      - .offset:         328
        .size:           4
        .value_kind:     hidden_block_count_x
      - .offset:         332
        .size:           4
        .value_kind:     hidden_block_count_y
      - .offset:         336
        .size:           4
        .value_kind:     hidden_block_count_z
      - .offset:         340
        .size:           2
        .value_kind:     hidden_group_size_x
      - .offset:         342
        .size:           2
        .value_kind:     hidden_group_size_y
      - .offset:         344
        .size:           2
        .value_kind:     hidden_group_size_z
      - .offset:         346
        .size:           2
        .value_kind:     hidden_remainder_x
      - .offset:         348
        .size:           2
        .value_kind:     hidden_remainder_y
      - .offset:         350
        .size:           2
        .value_kind:     hidden_remainder_z
      - .offset:         368
        .size:           8
        .value_kind:     hidden_global_offset_x
      - .offset:         376
        .size:           8
        .value_kind:     hidden_global_offset_y
      - .offset:         384
        .size:           8
        .value_kind:     hidden_global_offset_z
      - .offset:         392
        .size:           2
        .value_kind:     hidden_grid_dims
    .group_segment_fixed_size: 0
    .kernarg_segment_align: 8
    .kernarg_segment_size: 584
    .language:       OpenCL C
    .language_version:
      - 2
      - 0
    .max_flat_workgroup_size: 256
    .name:           _ZN2at6native12_GLOBAL__N_143distribution_elementwise_grid_stride_kernelIfLi4EZNS0_9templates4cuda21uniform_and_transformIhfPNS_17CUDAGeneratorImplEZZZNS4_16bernoulli_kernelIS7_EEvRNS_18TensorIteratorBaseEdT_ENKUlvE_clEvENKUlvE_clEvEUlfE_EEvSA_T1_T2_EUlP25hiprandStatePhilox4_32_10E_ZNS1_27distribution_nullary_kernelIhf15HIP_vector_typeIdLj2EES7_SJ_SE_EEvSA_SG_RKT3_T4_EUlifE0_EEvlNS_15PhiloxCudaStateESF_SG_
    .private_segment_fixed_size: 0
    .sgpr_count:     67
    .sgpr_spill_count: 0
    .symbol:         _ZN2at6native12_GLOBAL__N_143distribution_elementwise_grid_stride_kernelIfLi4EZNS0_9templates4cuda21uniform_and_transformIhfPNS_17CUDAGeneratorImplEZZZNS4_16bernoulli_kernelIS7_EEvRNS_18TensorIteratorBaseEdT_ENKUlvE_clEvENKUlvE_clEvEUlfE_EEvSA_T1_T2_EUlP25hiprandStatePhilox4_32_10E_ZNS1_27distribution_nullary_kernelIhf15HIP_vector_typeIdLj2EES7_SJ_SE_EEvSA_SG_RKT3_T4_EUlifE0_EEvlNS_15PhiloxCudaStateESF_SG_.kd
    .uniform_work_group_size: 1
    .uses_dynamic_stack: false
    .vgpr_count:     42
    .vgpr_spill_count: 0
    .wavefront_size: 64
  - .agpr_count:     0
    .args:
      - .offset:         0
        .size:           8
        .value_kind:     by_value
      - .offset:         8
        .size:           32
        .value_kind:     by_value
      - .offset:         40
        .size:           1
        .value_kind:     by_value
      - .offset:         48
        .size:           24
        .value_kind:     by_value
      - .offset:         72
        .size:           4
        .value_kind:     hidden_block_count_x
      - .offset:         76
        .size:           4
        .value_kind:     hidden_block_count_y
      - .offset:         80
        .size:           4
        .value_kind:     hidden_block_count_z
      - .offset:         84
        .size:           2
        .value_kind:     hidden_group_size_x
      - .offset:         86
        .size:           2
        .value_kind:     hidden_group_size_y
      - .offset:         88
        .size:           2
        .value_kind:     hidden_group_size_z
      - .offset:         90
        .size:           2
        .value_kind:     hidden_remainder_x
      - .offset:         92
        .size:           2
        .value_kind:     hidden_remainder_y
      - .offset:         94
        .size:           2
        .value_kind:     hidden_remainder_z
      - .offset:         112
        .size:           8
        .value_kind:     hidden_global_offset_x
      - .offset:         120
        .size:           8
        .value_kind:     hidden_global_offset_y
      - .offset:         128
        .size:           8
        .value_kind:     hidden_global_offset_z
      - .offset:         136
        .size:           2
        .value_kind:     hidden_grid_dims
    .group_segment_fixed_size: 0
    .kernarg_segment_align: 8
    .kernarg_segment_size: 328
    .language:       OpenCL C
    .language_version:
      - 2
      - 0
    .max_flat_workgroup_size: 256
    .name:           _ZN2at6native12_GLOBAL__N_143distribution_elementwise_grid_stride_kernelIfLi4EZNS0_9templates4cuda21uniform_and_transformIhfPNS_17CUDAGeneratorImplEZZZNS4_16bernoulli_kernelIS7_EEvRNS_18TensorIteratorBaseEdT_ENKUlvE_clEvENKUlvE_clEvEUlfE_EEvSA_T1_T2_EUlP25hiprandStatePhilox4_32_10E0_ZNS1_27distribution_nullary_kernelIhf15HIP_vector_typeIfLj4EES7_SJ_SE_EEvSA_SG_RKT3_T4_EUlifE_EEvlNS_15PhiloxCudaStateESF_SG_
    .private_segment_fixed_size: 0
    .sgpr_count:     28
    .sgpr_spill_count: 0
    .symbol:         _ZN2at6native12_GLOBAL__N_143distribution_elementwise_grid_stride_kernelIfLi4EZNS0_9templates4cuda21uniform_and_transformIhfPNS_17CUDAGeneratorImplEZZZNS4_16bernoulli_kernelIS7_EEvRNS_18TensorIteratorBaseEdT_ENKUlvE_clEvENKUlvE_clEvEUlfE_EEvSA_T1_T2_EUlP25hiprandStatePhilox4_32_10E0_ZNS1_27distribution_nullary_kernelIhf15HIP_vector_typeIfLj4EES7_SJ_SE_EEvSA_SG_RKT3_T4_EUlifE_EEvlNS_15PhiloxCudaStateESF_SG_.kd
    .uniform_work_group_size: 1
    .uses_dynamic_stack: false
    .vgpr_count:     48
    .vgpr_spill_count: 0
    .wavefront_size: 64
  - .agpr_count:     0
    .args:
      - .offset:         0
        .size:           8
        .value_kind:     by_value
      - .offset:         8
        .size:           32
        .value_kind:     by_value
      - .offset:         40
        .size:           1
        .value_kind:     by_value
      - .offset:         48
        .size:           280
        .value_kind:     by_value
      - .offset:         328
        .size:           4
        .value_kind:     hidden_block_count_x
      - .offset:         332
        .size:           4
        .value_kind:     hidden_block_count_y
      - .offset:         336
        .size:           4
        .value_kind:     hidden_block_count_z
      - .offset:         340
        .size:           2
        .value_kind:     hidden_group_size_x
      - .offset:         342
        .size:           2
        .value_kind:     hidden_group_size_y
      - .offset:         344
        .size:           2
        .value_kind:     hidden_group_size_z
      - .offset:         346
        .size:           2
        .value_kind:     hidden_remainder_x
      - .offset:         348
        .size:           2
        .value_kind:     hidden_remainder_y
      - .offset:         350
        .size:           2
        .value_kind:     hidden_remainder_z
      - .offset:         368
        .size:           8
        .value_kind:     hidden_global_offset_x
      - .offset:         376
        .size:           8
        .value_kind:     hidden_global_offset_y
      - .offset:         384
        .size:           8
        .value_kind:     hidden_global_offset_z
      - .offset:         392
        .size:           2
        .value_kind:     hidden_grid_dims
    .group_segment_fixed_size: 0
    .kernarg_segment_align: 8
    .kernarg_segment_size: 584
    .language:       OpenCL C
    .language_version:
      - 2
      - 0
    .max_flat_workgroup_size: 256
    .name:           _ZN2at6native12_GLOBAL__N_143distribution_elementwise_grid_stride_kernelIfLi4EZNS0_9templates4cuda21uniform_and_transformIhfPNS_17CUDAGeneratorImplEZZZNS4_16bernoulli_kernelIS7_EEvRNS_18TensorIteratorBaseEdT_ENKUlvE_clEvENKUlvE_clEvEUlfE_EEvSA_T1_T2_EUlP25hiprandStatePhilox4_32_10E0_ZNS1_27distribution_nullary_kernelIhf15HIP_vector_typeIfLj4EES7_SJ_SE_EEvSA_SG_RKT3_T4_EUlifE0_EEvlNS_15PhiloxCudaStateESF_SG_
    .private_segment_fixed_size: 0
    .sgpr_count:     71
    .sgpr_spill_count: 0
    .symbol:         _ZN2at6native12_GLOBAL__N_143distribution_elementwise_grid_stride_kernelIfLi4EZNS0_9templates4cuda21uniform_and_transformIhfPNS_17CUDAGeneratorImplEZZZNS4_16bernoulli_kernelIS7_EEvRNS_18TensorIteratorBaseEdT_ENKUlvE_clEvENKUlvE_clEvEUlfE_EEvSA_T1_T2_EUlP25hiprandStatePhilox4_32_10E0_ZNS1_27distribution_nullary_kernelIhf15HIP_vector_typeIfLj4EES7_SJ_SE_EEvSA_SG_RKT3_T4_EUlifE0_EEvlNS_15PhiloxCudaStateESF_SG_.kd
    .uniform_work_group_size: 1
    .uses_dynamic_stack: false
    .vgpr_count:     42
    .vgpr_spill_count: 0
    .wavefront_size: 64
  - .agpr_count:     0
    .args:
      - .offset:         0
        .size:           8
        .value_kind:     by_value
      - .offset:         8
        .size:           32
        .value_kind:     by_value
      - .offset:         40
        .size:           1
        .value_kind:     by_value
      - .offset:         48
        .size:           24
        .value_kind:     by_value
      - .offset:         72
        .size:           4
        .value_kind:     hidden_block_count_x
      - .offset:         76
        .size:           4
        .value_kind:     hidden_block_count_y
      - .offset:         80
        .size:           4
        .value_kind:     hidden_block_count_z
      - .offset:         84
        .size:           2
        .value_kind:     hidden_group_size_x
      - .offset:         86
        .size:           2
        .value_kind:     hidden_group_size_y
      - .offset:         88
        .size:           2
        .value_kind:     hidden_group_size_z
      - .offset:         90
        .size:           2
        .value_kind:     hidden_remainder_x
      - .offset:         92
        .size:           2
        .value_kind:     hidden_remainder_y
      - .offset:         94
        .size:           2
        .value_kind:     hidden_remainder_z
      - .offset:         112
        .size:           8
        .value_kind:     hidden_global_offset_x
      - .offset:         120
        .size:           8
        .value_kind:     hidden_global_offset_y
      - .offset:         128
        .size:           8
        .value_kind:     hidden_global_offset_z
      - .offset:         136
        .size:           2
        .value_kind:     hidden_grid_dims
    .group_segment_fixed_size: 0
    .kernarg_segment_align: 8
    .kernarg_segment_size: 328
    .language:       OpenCL C
    .language_version:
      - 2
      - 0
    .max_flat_workgroup_size: 256
    .name:           _ZN2at6native12_GLOBAL__N_143distribution_elementwise_grid_stride_kernelIfLi4EZNS0_9templates4cuda21uniform_and_transformIafPNS_17CUDAGeneratorImplEZZZNS4_16bernoulli_kernelIS7_EEvRNS_18TensorIteratorBaseEdT_ENKUlvE_clEvENKUlvE0_clEvEUlfE_EEvSA_T1_T2_EUlP25hiprandStatePhilox4_32_10E_ZNS1_27distribution_nullary_kernelIaf15HIP_vector_typeIdLj2EES7_SJ_SE_EEvSA_SG_RKT3_T4_EUlifE_EEvlNS_15PhiloxCudaStateESF_SG_
    .private_segment_fixed_size: 0
    .sgpr_count:     28
    .sgpr_spill_count: 0
    .symbol:         _ZN2at6native12_GLOBAL__N_143distribution_elementwise_grid_stride_kernelIfLi4EZNS0_9templates4cuda21uniform_and_transformIafPNS_17CUDAGeneratorImplEZZZNS4_16bernoulli_kernelIS7_EEvRNS_18TensorIteratorBaseEdT_ENKUlvE_clEvENKUlvE0_clEvEUlfE_EEvSA_T1_T2_EUlP25hiprandStatePhilox4_32_10E_ZNS1_27distribution_nullary_kernelIaf15HIP_vector_typeIdLj2EES7_SJ_SE_EEvSA_SG_RKT3_T4_EUlifE_EEvlNS_15PhiloxCudaStateESF_SG_.kd
    .uniform_work_group_size: 1
    .uses_dynamic_stack: false
    .vgpr_count:     46
    .vgpr_spill_count: 0
    .wavefront_size: 64
  - .agpr_count:     0
    .args:
      - .offset:         0
        .size:           8
        .value_kind:     by_value
      - .offset:         8
        .size:           32
        .value_kind:     by_value
      - .offset:         40
        .size:           1
        .value_kind:     by_value
      - .offset:         48
        .size:           280
        .value_kind:     by_value
      - .offset:         328
        .size:           4
        .value_kind:     hidden_block_count_x
      - .offset:         332
        .size:           4
        .value_kind:     hidden_block_count_y
      - .offset:         336
        .size:           4
        .value_kind:     hidden_block_count_z
      - .offset:         340
        .size:           2
        .value_kind:     hidden_group_size_x
      - .offset:         342
        .size:           2
        .value_kind:     hidden_group_size_y
      - .offset:         344
        .size:           2
        .value_kind:     hidden_group_size_z
      - .offset:         346
        .size:           2
        .value_kind:     hidden_remainder_x
      - .offset:         348
        .size:           2
        .value_kind:     hidden_remainder_y
      - .offset:         350
        .size:           2
        .value_kind:     hidden_remainder_z
      - .offset:         368
        .size:           8
        .value_kind:     hidden_global_offset_x
      - .offset:         376
        .size:           8
        .value_kind:     hidden_global_offset_y
      - .offset:         384
        .size:           8
        .value_kind:     hidden_global_offset_z
      - .offset:         392
        .size:           2
        .value_kind:     hidden_grid_dims
    .group_segment_fixed_size: 0
    .kernarg_segment_align: 8
    .kernarg_segment_size: 584
    .language:       OpenCL C
    .language_version:
      - 2
      - 0
    .max_flat_workgroup_size: 256
    .name:           _ZN2at6native12_GLOBAL__N_143distribution_elementwise_grid_stride_kernelIfLi4EZNS0_9templates4cuda21uniform_and_transformIafPNS_17CUDAGeneratorImplEZZZNS4_16bernoulli_kernelIS7_EEvRNS_18TensorIteratorBaseEdT_ENKUlvE_clEvENKUlvE0_clEvEUlfE_EEvSA_T1_T2_EUlP25hiprandStatePhilox4_32_10E_ZNS1_27distribution_nullary_kernelIaf15HIP_vector_typeIdLj2EES7_SJ_SE_EEvSA_SG_RKT3_T4_EUlifE0_EEvlNS_15PhiloxCudaStateESF_SG_
    .private_segment_fixed_size: 0
    .sgpr_count:     67
    .sgpr_spill_count: 0
    .symbol:         _ZN2at6native12_GLOBAL__N_143distribution_elementwise_grid_stride_kernelIfLi4EZNS0_9templates4cuda21uniform_and_transformIafPNS_17CUDAGeneratorImplEZZZNS4_16bernoulli_kernelIS7_EEvRNS_18TensorIteratorBaseEdT_ENKUlvE_clEvENKUlvE0_clEvEUlfE_EEvSA_T1_T2_EUlP25hiprandStatePhilox4_32_10E_ZNS1_27distribution_nullary_kernelIaf15HIP_vector_typeIdLj2EES7_SJ_SE_EEvSA_SG_RKT3_T4_EUlifE0_EEvlNS_15PhiloxCudaStateESF_SG_.kd
    .uniform_work_group_size: 1
    .uses_dynamic_stack: false
    .vgpr_count:     42
    .vgpr_spill_count: 0
    .wavefront_size: 64
  - .agpr_count:     0
    .args:
      - .offset:         0
        .size:           8
        .value_kind:     by_value
      - .offset:         8
        .size:           32
        .value_kind:     by_value
      - .offset:         40
        .size:           1
        .value_kind:     by_value
      - .offset:         48
        .size:           24
        .value_kind:     by_value
      - .offset:         72
        .size:           4
        .value_kind:     hidden_block_count_x
      - .offset:         76
        .size:           4
        .value_kind:     hidden_block_count_y
      - .offset:         80
        .size:           4
        .value_kind:     hidden_block_count_z
      - .offset:         84
        .size:           2
        .value_kind:     hidden_group_size_x
      - .offset:         86
        .size:           2
        .value_kind:     hidden_group_size_y
      - .offset:         88
        .size:           2
        .value_kind:     hidden_group_size_z
      - .offset:         90
        .size:           2
        .value_kind:     hidden_remainder_x
      - .offset:         92
        .size:           2
        .value_kind:     hidden_remainder_y
      - .offset:         94
        .size:           2
        .value_kind:     hidden_remainder_z
      - .offset:         112
        .size:           8
        .value_kind:     hidden_global_offset_x
      - .offset:         120
        .size:           8
        .value_kind:     hidden_global_offset_y
      - .offset:         128
        .size:           8
        .value_kind:     hidden_global_offset_z
      - .offset:         136
        .size:           2
        .value_kind:     hidden_grid_dims
    .group_segment_fixed_size: 0
    .kernarg_segment_align: 8
    .kernarg_segment_size: 328
    .language:       OpenCL C
    .language_version:
      - 2
      - 0
    .max_flat_workgroup_size: 256
    .name:           _ZN2at6native12_GLOBAL__N_143distribution_elementwise_grid_stride_kernelIfLi4EZNS0_9templates4cuda21uniform_and_transformIafPNS_17CUDAGeneratorImplEZZZNS4_16bernoulli_kernelIS7_EEvRNS_18TensorIteratorBaseEdT_ENKUlvE_clEvENKUlvE0_clEvEUlfE_EEvSA_T1_T2_EUlP25hiprandStatePhilox4_32_10E0_ZNS1_27distribution_nullary_kernelIaf15HIP_vector_typeIfLj4EES7_SJ_SE_EEvSA_SG_RKT3_T4_EUlifE_EEvlNS_15PhiloxCudaStateESF_SG_
    .private_segment_fixed_size: 0
    .sgpr_count:     28
    .sgpr_spill_count: 0
    .symbol:         _ZN2at6native12_GLOBAL__N_143distribution_elementwise_grid_stride_kernelIfLi4EZNS0_9templates4cuda21uniform_and_transformIafPNS_17CUDAGeneratorImplEZZZNS4_16bernoulli_kernelIS7_EEvRNS_18TensorIteratorBaseEdT_ENKUlvE_clEvENKUlvE0_clEvEUlfE_EEvSA_T1_T2_EUlP25hiprandStatePhilox4_32_10E0_ZNS1_27distribution_nullary_kernelIaf15HIP_vector_typeIfLj4EES7_SJ_SE_EEvSA_SG_RKT3_T4_EUlifE_EEvlNS_15PhiloxCudaStateESF_SG_.kd
    .uniform_work_group_size: 1
    .uses_dynamic_stack: false
    .vgpr_count:     48
    .vgpr_spill_count: 0
    .wavefront_size: 64
  - .agpr_count:     0
    .args:
      - .offset:         0
        .size:           8
        .value_kind:     by_value
      - .offset:         8
        .size:           32
        .value_kind:     by_value
      - .offset:         40
        .size:           1
        .value_kind:     by_value
      - .offset:         48
        .size:           280
        .value_kind:     by_value
      - .offset:         328
        .size:           4
        .value_kind:     hidden_block_count_x
      - .offset:         332
        .size:           4
        .value_kind:     hidden_block_count_y
      - .offset:         336
        .size:           4
        .value_kind:     hidden_block_count_z
      - .offset:         340
        .size:           2
        .value_kind:     hidden_group_size_x
      - .offset:         342
        .size:           2
        .value_kind:     hidden_group_size_y
      - .offset:         344
        .size:           2
        .value_kind:     hidden_group_size_z
      - .offset:         346
        .size:           2
        .value_kind:     hidden_remainder_x
      - .offset:         348
        .size:           2
        .value_kind:     hidden_remainder_y
      - .offset:         350
        .size:           2
        .value_kind:     hidden_remainder_z
      - .offset:         368
        .size:           8
        .value_kind:     hidden_global_offset_x
      - .offset:         376
        .size:           8
        .value_kind:     hidden_global_offset_y
      - .offset:         384
        .size:           8
        .value_kind:     hidden_global_offset_z
      - .offset:         392
        .size:           2
        .value_kind:     hidden_grid_dims
    .group_segment_fixed_size: 0
    .kernarg_segment_align: 8
    .kernarg_segment_size: 584
    .language:       OpenCL C
    .language_version:
      - 2
      - 0
    .max_flat_workgroup_size: 256
    .name:           _ZN2at6native12_GLOBAL__N_143distribution_elementwise_grid_stride_kernelIfLi4EZNS0_9templates4cuda21uniform_and_transformIafPNS_17CUDAGeneratorImplEZZZNS4_16bernoulli_kernelIS7_EEvRNS_18TensorIteratorBaseEdT_ENKUlvE_clEvENKUlvE0_clEvEUlfE_EEvSA_T1_T2_EUlP25hiprandStatePhilox4_32_10E0_ZNS1_27distribution_nullary_kernelIaf15HIP_vector_typeIfLj4EES7_SJ_SE_EEvSA_SG_RKT3_T4_EUlifE0_EEvlNS_15PhiloxCudaStateESF_SG_
    .private_segment_fixed_size: 0
    .sgpr_count:     71
    .sgpr_spill_count: 0
    .symbol:         _ZN2at6native12_GLOBAL__N_143distribution_elementwise_grid_stride_kernelIfLi4EZNS0_9templates4cuda21uniform_and_transformIafPNS_17CUDAGeneratorImplEZZZNS4_16bernoulli_kernelIS7_EEvRNS_18TensorIteratorBaseEdT_ENKUlvE_clEvENKUlvE0_clEvEUlfE_EEvSA_T1_T2_EUlP25hiprandStatePhilox4_32_10E0_ZNS1_27distribution_nullary_kernelIaf15HIP_vector_typeIfLj4EES7_SJ_SE_EEvSA_SG_RKT3_T4_EUlifE0_EEvlNS_15PhiloxCudaStateESF_SG_.kd
    .uniform_work_group_size: 1
    .uses_dynamic_stack: false
    .vgpr_count:     42
    .vgpr_spill_count: 0
    .wavefront_size: 64
  - .agpr_count:     0
    .args:
      - .offset:         0
        .size:           8
        .value_kind:     by_value
      - .offset:         8
        .size:           32
        .value_kind:     by_value
      - .offset:         40
        .size:           1
        .value_kind:     by_value
      - .offset:         48
        .size:           24
        .value_kind:     by_value
      - .offset:         72
        .size:           4
        .value_kind:     hidden_block_count_x
      - .offset:         76
        .size:           4
        .value_kind:     hidden_block_count_y
      - .offset:         80
        .size:           4
        .value_kind:     hidden_block_count_z
      - .offset:         84
        .size:           2
        .value_kind:     hidden_group_size_x
      - .offset:         86
        .size:           2
        .value_kind:     hidden_group_size_y
      - .offset:         88
        .size:           2
        .value_kind:     hidden_group_size_z
      - .offset:         90
        .size:           2
        .value_kind:     hidden_remainder_x
      - .offset:         92
        .size:           2
        .value_kind:     hidden_remainder_y
      - .offset:         94
        .size:           2
        .value_kind:     hidden_remainder_z
      - .offset:         112
        .size:           8
        .value_kind:     hidden_global_offset_x
      - .offset:         120
        .size:           8
        .value_kind:     hidden_global_offset_y
      - .offset:         128
        .size:           8
        .value_kind:     hidden_global_offset_z
      - .offset:         136
        .size:           2
        .value_kind:     hidden_grid_dims
    .group_segment_fixed_size: 0
    .kernarg_segment_align: 8
    .kernarg_segment_size: 328
    .language:       OpenCL C
    .language_version:
      - 2
      - 0
    .max_flat_workgroup_size: 256
    .name:           _ZN2at6native12_GLOBAL__N_143distribution_elementwise_grid_stride_kernelIfLi4EZNS0_9templates4cuda21uniform_and_transformIifPNS_17CUDAGeneratorImplEZZZNS4_16bernoulli_kernelIS7_EEvRNS_18TensorIteratorBaseEdT_ENKUlvE_clEvENKUlvE1_clEvEUlfE_EEvSA_T1_T2_EUlP25hiprandStatePhilox4_32_10E_ZNS1_27distribution_nullary_kernelIif15HIP_vector_typeIdLj2EES7_SJ_SE_EEvSA_SG_RKT3_T4_EUlifE_EEvlNS_15PhiloxCudaStateESF_SG_
    .private_segment_fixed_size: 0
    .sgpr_count:     28
    .sgpr_spill_count: 0
    .symbol:         _ZN2at6native12_GLOBAL__N_143distribution_elementwise_grid_stride_kernelIfLi4EZNS0_9templates4cuda21uniform_and_transformIifPNS_17CUDAGeneratorImplEZZZNS4_16bernoulli_kernelIS7_EEvRNS_18TensorIteratorBaseEdT_ENKUlvE_clEvENKUlvE1_clEvEUlfE_EEvSA_T1_T2_EUlP25hiprandStatePhilox4_32_10E_ZNS1_27distribution_nullary_kernelIif15HIP_vector_typeIdLj2EES7_SJ_SE_EEvSA_SG_RKT3_T4_EUlifE_EEvlNS_15PhiloxCudaStateESF_SG_.kd
    .uniform_work_group_size: 1
    .uses_dynamic_stack: false
    .vgpr_count:     46
    .vgpr_spill_count: 0
    .wavefront_size: 64
  - .agpr_count:     0
    .args:
      - .offset:         0
        .size:           8
        .value_kind:     by_value
      - .offset:         8
        .size:           32
        .value_kind:     by_value
      - .offset:         40
        .size:           1
        .value_kind:     by_value
      - .offset:         48
        .size:           280
        .value_kind:     by_value
      - .offset:         328
        .size:           4
        .value_kind:     hidden_block_count_x
      - .offset:         332
        .size:           4
        .value_kind:     hidden_block_count_y
      - .offset:         336
        .size:           4
        .value_kind:     hidden_block_count_z
      - .offset:         340
        .size:           2
        .value_kind:     hidden_group_size_x
      - .offset:         342
        .size:           2
        .value_kind:     hidden_group_size_y
      - .offset:         344
        .size:           2
        .value_kind:     hidden_group_size_z
      - .offset:         346
        .size:           2
        .value_kind:     hidden_remainder_x
      - .offset:         348
        .size:           2
        .value_kind:     hidden_remainder_y
      - .offset:         350
        .size:           2
        .value_kind:     hidden_remainder_z
      - .offset:         368
        .size:           8
        .value_kind:     hidden_global_offset_x
      - .offset:         376
        .size:           8
        .value_kind:     hidden_global_offset_y
      - .offset:         384
        .size:           8
        .value_kind:     hidden_global_offset_z
      - .offset:         392
        .size:           2
        .value_kind:     hidden_grid_dims
    .group_segment_fixed_size: 0
    .kernarg_segment_align: 8
    .kernarg_segment_size: 584
    .language:       OpenCL C
    .language_version:
      - 2
      - 0
    .max_flat_workgroup_size: 256
    .name:           _ZN2at6native12_GLOBAL__N_143distribution_elementwise_grid_stride_kernelIfLi4EZNS0_9templates4cuda21uniform_and_transformIifPNS_17CUDAGeneratorImplEZZZNS4_16bernoulli_kernelIS7_EEvRNS_18TensorIteratorBaseEdT_ENKUlvE_clEvENKUlvE1_clEvEUlfE_EEvSA_T1_T2_EUlP25hiprandStatePhilox4_32_10E_ZNS1_27distribution_nullary_kernelIif15HIP_vector_typeIdLj2EES7_SJ_SE_EEvSA_SG_RKT3_T4_EUlifE0_EEvlNS_15PhiloxCudaStateESF_SG_
    .private_segment_fixed_size: 0
    .sgpr_count:     67
    .sgpr_spill_count: 0
    .symbol:         _ZN2at6native12_GLOBAL__N_143distribution_elementwise_grid_stride_kernelIfLi4EZNS0_9templates4cuda21uniform_and_transformIifPNS_17CUDAGeneratorImplEZZZNS4_16bernoulli_kernelIS7_EEvRNS_18TensorIteratorBaseEdT_ENKUlvE_clEvENKUlvE1_clEvEUlfE_EEvSA_T1_T2_EUlP25hiprandStatePhilox4_32_10E_ZNS1_27distribution_nullary_kernelIif15HIP_vector_typeIdLj2EES7_SJ_SE_EEvSA_SG_RKT3_T4_EUlifE0_EEvlNS_15PhiloxCudaStateESF_SG_.kd
    .uniform_work_group_size: 1
    .uses_dynamic_stack: false
    .vgpr_count:     42
    .vgpr_spill_count: 0
    .wavefront_size: 64
  - .agpr_count:     0
    .args:
      - .offset:         0
        .size:           8
        .value_kind:     by_value
      - .offset:         8
        .size:           32
        .value_kind:     by_value
      - .offset:         40
        .size:           1
        .value_kind:     by_value
      - .offset:         48
        .size:           24
        .value_kind:     by_value
      - .offset:         72
        .size:           4
        .value_kind:     hidden_block_count_x
      - .offset:         76
        .size:           4
        .value_kind:     hidden_block_count_y
      - .offset:         80
        .size:           4
        .value_kind:     hidden_block_count_z
      - .offset:         84
        .size:           2
        .value_kind:     hidden_group_size_x
      - .offset:         86
        .size:           2
        .value_kind:     hidden_group_size_y
      - .offset:         88
        .size:           2
        .value_kind:     hidden_group_size_z
      - .offset:         90
        .size:           2
        .value_kind:     hidden_remainder_x
      - .offset:         92
        .size:           2
        .value_kind:     hidden_remainder_y
      - .offset:         94
        .size:           2
        .value_kind:     hidden_remainder_z
      - .offset:         112
        .size:           8
        .value_kind:     hidden_global_offset_x
      - .offset:         120
        .size:           8
        .value_kind:     hidden_global_offset_y
      - .offset:         128
        .size:           8
        .value_kind:     hidden_global_offset_z
      - .offset:         136
        .size:           2
        .value_kind:     hidden_grid_dims
    .group_segment_fixed_size: 0
    .kernarg_segment_align: 8
    .kernarg_segment_size: 328
    .language:       OpenCL C
    .language_version:
      - 2
      - 0
    .max_flat_workgroup_size: 256
    .name:           _ZN2at6native12_GLOBAL__N_143distribution_elementwise_grid_stride_kernelIfLi4EZNS0_9templates4cuda21uniform_and_transformIifPNS_17CUDAGeneratorImplEZZZNS4_16bernoulli_kernelIS7_EEvRNS_18TensorIteratorBaseEdT_ENKUlvE_clEvENKUlvE1_clEvEUlfE_EEvSA_T1_T2_EUlP25hiprandStatePhilox4_32_10E0_ZNS1_27distribution_nullary_kernelIif15HIP_vector_typeIfLj4EES7_SJ_SE_EEvSA_SG_RKT3_T4_EUlifE_EEvlNS_15PhiloxCudaStateESF_SG_
    .private_segment_fixed_size: 0
    .sgpr_count:     28
    .sgpr_spill_count: 0
    .symbol:         _ZN2at6native12_GLOBAL__N_143distribution_elementwise_grid_stride_kernelIfLi4EZNS0_9templates4cuda21uniform_and_transformIifPNS_17CUDAGeneratorImplEZZZNS4_16bernoulli_kernelIS7_EEvRNS_18TensorIteratorBaseEdT_ENKUlvE_clEvENKUlvE1_clEvEUlfE_EEvSA_T1_T2_EUlP25hiprandStatePhilox4_32_10E0_ZNS1_27distribution_nullary_kernelIif15HIP_vector_typeIfLj4EES7_SJ_SE_EEvSA_SG_RKT3_T4_EUlifE_EEvlNS_15PhiloxCudaStateESF_SG_.kd
    .uniform_work_group_size: 1
    .uses_dynamic_stack: false
    .vgpr_count:     48
    .vgpr_spill_count: 0
    .wavefront_size: 64
  - .agpr_count:     0
    .args:
      - .offset:         0
        .size:           8
        .value_kind:     by_value
      - .offset:         8
        .size:           32
        .value_kind:     by_value
      - .offset:         40
        .size:           1
        .value_kind:     by_value
      - .offset:         48
        .size:           280
        .value_kind:     by_value
      - .offset:         328
        .size:           4
        .value_kind:     hidden_block_count_x
      - .offset:         332
        .size:           4
        .value_kind:     hidden_block_count_y
      - .offset:         336
        .size:           4
        .value_kind:     hidden_block_count_z
      - .offset:         340
        .size:           2
        .value_kind:     hidden_group_size_x
      - .offset:         342
        .size:           2
        .value_kind:     hidden_group_size_y
      - .offset:         344
        .size:           2
        .value_kind:     hidden_group_size_z
      - .offset:         346
        .size:           2
        .value_kind:     hidden_remainder_x
      - .offset:         348
        .size:           2
        .value_kind:     hidden_remainder_y
      - .offset:         350
        .size:           2
        .value_kind:     hidden_remainder_z
      - .offset:         368
        .size:           8
        .value_kind:     hidden_global_offset_x
      - .offset:         376
        .size:           8
        .value_kind:     hidden_global_offset_y
      - .offset:         384
        .size:           8
        .value_kind:     hidden_global_offset_z
      - .offset:         392
        .size:           2
        .value_kind:     hidden_grid_dims
    .group_segment_fixed_size: 0
    .kernarg_segment_align: 8
    .kernarg_segment_size: 584
    .language:       OpenCL C
    .language_version:
      - 2
      - 0
    .max_flat_workgroup_size: 256
    .name:           _ZN2at6native12_GLOBAL__N_143distribution_elementwise_grid_stride_kernelIfLi4EZNS0_9templates4cuda21uniform_and_transformIifPNS_17CUDAGeneratorImplEZZZNS4_16bernoulli_kernelIS7_EEvRNS_18TensorIteratorBaseEdT_ENKUlvE_clEvENKUlvE1_clEvEUlfE_EEvSA_T1_T2_EUlP25hiprandStatePhilox4_32_10E0_ZNS1_27distribution_nullary_kernelIif15HIP_vector_typeIfLj4EES7_SJ_SE_EEvSA_SG_RKT3_T4_EUlifE0_EEvlNS_15PhiloxCudaStateESF_SG_
    .private_segment_fixed_size: 0
    .sgpr_count:     71
    .sgpr_spill_count: 0
    .symbol:         _ZN2at6native12_GLOBAL__N_143distribution_elementwise_grid_stride_kernelIfLi4EZNS0_9templates4cuda21uniform_and_transformIifPNS_17CUDAGeneratorImplEZZZNS4_16bernoulli_kernelIS7_EEvRNS_18TensorIteratorBaseEdT_ENKUlvE_clEvENKUlvE1_clEvEUlfE_EEvSA_T1_T2_EUlP25hiprandStatePhilox4_32_10E0_ZNS1_27distribution_nullary_kernelIif15HIP_vector_typeIfLj4EES7_SJ_SE_EEvSA_SG_RKT3_T4_EUlifE0_EEvlNS_15PhiloxCudaStateESF_SG_.kd
    .uniform_work_group_size: 1
    .uses_dynamic_stack: false
    .vgpr_count:     42
    .vgpr_spill_count: 0
    .wavefront_size: 64
  - .agpr_count:     0
    .args:
      - .offset:         0
        .size:           8
        .value_kind:     by_value
      - .offset:         8
        .size:           32
        .value_kind:     by_value
      - .offset:         40
        .size:           1
        .value_kind:     by_value
      - .offset:         48
        .size:           24
        .value_kind:     by_value
      - .offset:         72
        .size:           4
        .value_kind:     hidden_block_count_x
      - .offset:         76
        .size:           4
        .value_kind:     hidden_block_count_y
      - .offset:         80
        .size:           4
        .value_kind:     hidden_block_count_z
      - .offset:         84
        .size:           2
        .value_kind:     hidden_group_size_x
      - .offset:         86
        .size:           2
        .value_kind:     hidden_group_size_y
      - .offset:         88
        .size:           2
        .value_kind:     hidden_group_size_z
      - .offset:         90
        .size:           2
        .value_kind:     hidden_remainder_x
      - .offset:         92
        .size:           2
        .value_kind:     hidden_remainder_y
      - .offset:         94
        .size:           2
        .value_kind:     hidden_remainder_z
      - .offset:         112
        .size:           8
        .value_kind:     hidden_global_offset_x
      - .offset:         120
        .size:           8
        .value_kind:     hidden_global_offset_y
      - .offset:         128
        .size:           8
        .value_kind:     hidden_global_offset_z
      - .offset:         136
        .size:           2
        .value_kind:     hidden_grid_dims
    .group_segment_fixed_size: 0
    .kernarg_segment_align: 8
    .kernarg_segment_size: 328
    .language:       OpenCL C
    .language_version:
      - 2
      - 0
    .max_flat_workgroup_size: 256
    .name:           _ZN2at6native12_GLOBAL__N_143distribution_elementwise_grid_stride_kernelIfLi4EZNS0_9templates4cuda21uniform_and_transformIlfPNS_17CUDAGeneratorImplEZZZNS4_16bernoulli_kernelIS7_EEvRNS_18TensorIteratorBaseEdT_ENKUlvE_clEvENKUlvE2_clEvEUlfE_EEvSA_T1_T2_EUlP25hiprandStatePhilox4_32_10E_ZNS1_27distribution_nullary_kernelIlf15HIP_vector_typeIdLj2EES7_SJ_SE_EEvSA_SG_RKT3_T4_EUlifE_EEvlNS_15PhiloxCudaStateESF_SG_
    .private_segment_fixed_size: 0
    .sgpr_count:     28
    .sgpr_spill_count: 0
    .symbol:         _ZN2at6native12_GLOBAL__N_143distribution_elementwise_grid_stride_kernelIfLi4EZNS0_9templates4cuda21uniform_and_transformIlfPNS_17CUDAGeneratorImplEZZZNS4_16bernoulli_kernelIS7_EEvRNS_18TensorIteratorBaseEdT_ENKUlvE_clEvENKUlvE2_clEvEUlfE_EEvSA_T1_T2_EUlP25hiprandStatePhilox4_32_10E_ZNS1_27distribution_nullary_kernelIlf15HIP_vector_typeIdLj2EES7_SJ_SE_EEvSA_SG_RKT3_T4_EUlifE_EEvlNS_15PhiloxCudaStateESF_SG_.kd
    .uniform_work_group_size: 1
    .uses_dynamic_stack: false
    .vgpr_count:     46
    .vgpr_spill_count: 0
    .wavefront_size: 64
  - .agpr_count:     0
    .args:
      - .offset:         0
        .size:           8
        .value_kind:     by_value
      - .offset:         8
        .size:           32
        .value_kind:     by_value
      - .offset:         40
        .size:           1
        .value_kind:     by_value
      - .offset:         48
        .size:           280
        .value_kind:     by_value
      - .offset:         328
        .size:           4
        .value_kind:     hidden_block_count_x
      - .offset:         332
        .size:           4
        .value_kind:     hidden_block_count_y
      - .offset:         336
        .size:           4
        .value_kind:     hidden_block_count_z
      - .offset:         340
        .size:           2
        .value_kind:     hidden_group_size_x
      - .offset:         342
        .size:           2
        .value_kind:     hidden_group_size_y
      - .offset:         344
        .size:           2
        .value_kind:     hidden_group_size_z
      - .offset:         346
        .size:           2
        .value_kind:     hidden_remainder_x
      - .offset:         348
        .size:           2
        .value_kind:     hidden_remainder_y
      - .offset:         350
        .size:           2
        .value_kind:     hidden_remainder_z
      - .offset:         368
        .size:           8
        .value_kind:     hidden_global_offset_x
      - .offset:         376
        .size:           8
        .value_kind:     hidden_global_offset_y
      - .offset:         384
        .size:           8
        .value_kind:     hidden_global_offset_z
      - .offset:         392
        .size:           2
        .value_kind:     hidden_grid_dims
    .group_segment_fixed_size: 0
    .kernarg_segment_align: 8
    .kernarg_segment_size: 584
    .language:       OpenCL C
    .language_version:
      - 2
      - 0
    .max_flat_workgroup_size: 256
    .name:           _ZN2at6native12_GLOBAL__N_143distribution_elementwise_grid_stride_kernelIfLi4EZNS0_9templates4cuda21uniform_and_transformIlfPNS_17CUDAGeneratorImplEZZZNS4_16bernoulli_kernelIS7_EEvRNS_18TensorIteratorBaseEdT_ENKUlvE_clEvENKUlvE2_clEvEUlfE_EEvSA_T1_T2_EUlP25hiprandStatePhilox4_32_10E_ZNS1_27distribution_nullary_kernelIlf15HIP_vector_typeIdLj2EES7_SJ_SE_EEvSA_SG_RKT3_T4_EUlifE0_EEvlNS_15PhiloxCudaStateESF_SG_
    .private_segment_fixed_size: 0
    .sgpr_count:     67
    .sgpr_spill_count: 0
    .symbol:         _ZN2at6native12_GLOBAL__N_143distribution_elementwise_grid_stride_kernelIfLi4EZNS0_9templates4cuda21uniform_and_transformIlfPNS_17CUDAGeneratorImplEZZZNS4_16bernoulli_kernelIS7_EEvRNS_18TensorIteratorBaseEdT_ENKUlvE_clEvENKUlvE2_clEvEUlfE_EEvSA_T1_T2_EUlP25hiprandStatePhilox4_32_10E_ZNS1_27distribution_nullary_kernelIlf15HIP_vector_typeIdLj2EES7_SJ_SE_EEvSA_SG_RKT3_T4_EUlifE0_EEvlNS_15PhiloxCudaStateESF_SG_.kd
    .uniform_work_group_size: 1
    .uses_dynamic_stack: false
    .vgpr_count:     42
    .vgpr_spill_count: 0
    .wavefront_size: 64
  - .agpr_count:     0
    .args:
      - .offset:         0
        .size:           8
        .value_kind:     by_value
      - .offset:         8
        .size:           32
        .value_kind:     by_value
      - .offset:         40
        .size:           1
        .value_kind:     by_value
      - .offset:         48
        .size:           24
        .value_kind:     by_value
      - .offset:         72
        .size:           4
        .value_kind:     hidden_block_count_x
      - .offset:         76
        .size:           4
        .value_kind:     hidden_block_count_y
      - .offset:         80
        .size:           4
        .value_kind:     hidden_block_count_z
      - .offset:         84
        .size:           2
        .value_kind:     hidden_group_size_x
      - .offset:         86
        .size:           2
        .value_kind:     hidden_group_size_y
      - .offset:         88
        .size:           2
        .value_kind:     hidden_group_size_z
      - .offset:         90
        .size:           2
        .value_kind:     hidden_remainder_x
      - .offset:         92
        .size:           2
        .value_kind:     hidden_remainder_y
      - .offset:         94
        .size:           2
        .value_kind:     hidden_remainder_z
      - .offset:         112
        .size:           8
        .value_kind:     hidden_global_offset_x
      - .offset:         120
        .size:           8
        .value_kind:     hidden_global_offset_y
      - .offset:         128
        .size:           8
        .value_kind:     hidden_global_offset_z
      - .offset:         136
        .size:           2
        .value_kind:     hidden_grid_dims
    .group_segment_fixed_size: 0
    .kernarg_segment_align: 8
    .kernarg_segment_size: 328
    .language:       OpenCL C
    .language_version:
      - 2
      - 0
    .max_flat_workgroup_size: 256
    .name:           _ZN2at6native12_GLOBAL__N_143distribution_elementwise_grid_stride_kernelIfLi4EZNS0_9templates4cuda21uniform_and_transformIlfPNS_17CUDAGeneratorImplEZZZNS4_16bernoulli_kernelIS7_EEvRNS_18TensorIteratorBaseEdT_ENKUlvE_clEvENKUlvE2_clEvEUlfE_EEvSA_T1_T2_EUlP25hiprandStatePhilox4_32_10E0_ZNS1_27distribution_nullary_kernelIlf15HIP_vector_typeIfLj4EES7_SJ_SE_EEvSA_SG_RKT3_T4_EUlifE_EEvlNS_15PhiloxCudaStateESF_SG_
    .private_segment_fixed_size: 0
    .sgpr_count:     28
    .sgpr_spill_count: 0
    .symbol:         _ZN2at6native12_GLOBAL__N_143distribution_elementwise_grid_stride_kernelIfLi4EZNS0_9templates4cuda21uniform_and_transformIlfPNS_17CUDAGeneratorImplEZZZNS4_16bernoulli_kernelIS7_EEvRNS_18TensorIteratorBaseEdT_ENKUlvE_clEvENKUlvE2_clEvEUlfE_EEvSA_T1_T2_EUlP25hiprandStatePhilox4_32_10E0_ZNS1_27distribution_nullary_kernelIlf15HIP_vector_typeIfLj4EES7_SJ_SE_EEvSA_SG_RKT3_T4_EUlifE_EEvlNS_15PhiloxCudaStateESF_SG_.kd
    .uniform_work_group_size: 1
    .uses_dynamic_stack: false
    .vgpr_count:     48
    .vgpr_spill_count: 0
    .wavefront_size: 64
  - .agpr_count:     0
    .args:
      - .offset:         0
        .size:           8
        .value_kind:     by_value
      - .offset:         8
        .size:           32
        .value_kind:     by_value
      - .offset:         40
        .size:           1
        .value_kind:     by_value
      - .offset:         48
        .size:           280
        .value_kind:     by_value
      - .offset:         328
        .size:           4
        .value_kind:     hidden_block_count_x
      - .offset:         332
        .size:           4
        .value_kind:     hidden_block_count_y
      - .offset:         336
        .size:           4
        .value_kind:     hidden_block_count_z
      - .offset:         340
        .size:           2
        .value_kind:     hidden_group_size_x
      - .offset:         342
        .size:           2
        .value_kind:     hidden_group_size_y
      - .offset:         344
        .size:           2
        .value_kind:     hidden_group_size_z
      - .offset:         346
        .size:           2
        .value_kind:     hidden_remainder_x
      - .offset:         348
        .size:           2
        .value_kind:     hidden_remainder_y
      - .offset:         350
        .size:           2
        .value_kind:     hidden_remainder_z
      - .offset:         368
        .size:           8
        .value_kind:     hidden_global_offset_x
      - .offset:         376
        .size:           8
        .value_kind:     hidden_global_offset_y
      - .offset:         384
        .size:           8
        .value_kind:     hidden_global_offset_z
      - .offset:         392
        .size:           2
        .value_kind:     hidden_grid_dims
    .group_segment_fixed_size: 0
    .kernarg_segment_align: 8
    .kernarg_segment_size: 584
    .language:       OpenCL C
    .language_version:
      - 2
      - 0
    .max_flat_workgroup_size: 256
    .name:           _ZN2at6native12_GLOBAL__N_143distribution_elementwise_grid_stride_kernelIfLi4EZNS0_9templates4cuda21uniform_and_transformIlfPNS_17CUDAGeneratorImplEZZZNS4_16bernoulli_kernelIS7_EEvRNS_18TensorIteratorBaseEdT_ENKUlvE_clEvENKUlvE2_clEvEUlfE_EEvSA_T1_T2_EUlP25hiprandStatePhilox4_32_10E0_ZNS1_27distribution_nullary_kernelIlf15HIP_vector_typeIfLj4EES7_SJ_SE_EEvSA_SG_RKT3_T4_EUlifE0_EEvlNS_15PhiloxCudaStateESF_SG_
    .private_segment_fixed_size: 0
    .sgpr_count:     71
    .sgpr_spill_count: 0
    .symbol:         _ZN2at6native12_GLOBAL__N_143distribution_elementwise_grid_stride_kernelIfLi4EZNS0_9templates4cuda21uniform_and_transformIlfPNS_17CUDAGeneratorImplEZZZNS4_16bernoulli_kernelIS7_EEvRNS_18TensorIteratorBaseEdT_ENKUlvE_clEvENKUlvE2_clEvEUlfE_EEvSA_T1_T2_EUlP25hiprandStatePhilox4_32_10E0_ZNS1_27distribution_nullary_kernelIlf15HIP_vector_typeIfLj4EES7_SJ_SE_EEvSA_SG_RKT3_T4_EUlifE0_EEvlNS_15PhiloxCudaStateESF_SG_.kd
    .uniform_work_group_size: 1
    .uses_dynamic_stack: false
    .vgpr_count:     42
    .vgpr_spill_count: 0
    .wavefront_size: 64
  - .agpr_count:     0
    .args:
      - .offset:         0
        .size:           8
        .value_kind:     by_value
      - .offset:         8
        .size:           32
        .value_kind:     by_value
      - .offset:         40
        .size:           1
        .value_kind:     by_value
      - .offset:         48
        .size:           24
        .value_kind:     by_value
      - .offset:         72
        .size:           4
        .value_kind:     hidden_block_count_x
      - .offset:         76
        .size:           4
        .value_kind:     hidden_block_count_y
      - .offset:         80
        .size:           4
        .value_kind:     hidden_block_count_z
      - .offset:         84
        .size:           2
        .value_kind:     hidden_group_size_x
      - .offset:         86
        .size:           2
        .value_kind:     hidden_group_size_y
      - .offset:         88
        .size:           2
        .value_kind:     hidden_group_size_z
      - .offset:         90
        .size:           2
        .value_kind:     hidden_remainder_x
      - .offset:         92
        .size:           2
        .value_kind:     hidden_remainder_y
      - .offset:         94
        .size:           2
        .value_kind:     hidden_remainder_z
      - .offset:         112
        .size:           8
        .value_kind:     hidden_global_offset_x
      - .offset:         120
        .size:           8
        .value_kind:     hidden_global_offset_y
      - .offset:         128
        .size:           8
        .value_kind:     hidden_global_offset_z
      - .offset:         136
        .size:           2
        .value_kind:     hidden_grid_dims
    .group_segment_fixed_size: 0
    .kernarg_segment_align: 8
    .kernarg_segment_size: 328
    .language:       OpenCL C
    .language_version:
      - 2
      - 0
    .max_flat_workgroup_size: 256
    .name:           _ZN2at6native12_GLOBAL__N_143distribution_elementwise_grid_stride_kernelIfLi4EZNS0_9templates4cuda21uniform_and_transformIsfPNS_17CUDAGeneratorImplEZZZNS4_16bernoulli_kernelIS7_EEvRNS_18TensorIteratorBaseEdT_ENKUlvE_clEvENKUlvE3_clEvEUlfE_EEvSA_T1_T2_EUlP25hiprandStatePhilox4_32_10E_ZNS1_27distribution_nullary_kernelIsf15HIP_vector_typeIdLj2EES7_SJ_SE_EEvSA_SG_RKT3_T4_EUlifE_EEvlNS_15PhiloxCudaStateESF_SG_
    .private_segment_fixed_size: 0
    .sgpr_count:     28
    .sgpr_spill_count: 0
    .symbol:         _ZN2at6native12_GLOBAL__N_143distribution_elementwise_grid_stride_kernelIfLi4EZNS0_9templates4cuda21uniform_and_transformIsfPNS_17CUDAGeneratorImplEZZZNS4_16bernoulli_kernelIS7_EEvRNS_18TensorIteratorBaseEdT_ENKUlvE_clEvENKUlvE3_clEvEUlfE_EEvSA_T1_T2_EUlP25hiprandStatePhilox4_32_10E_ZNS1_27distribution_nullary_kernelIsf15HIP_vector_typeIdLj2EES7_SJ_SE_EEvSA_SG_RKT3_T4_EUlifE_EEvlNS_15PhiloxCudaStateESF_SG_.kd
    .uniform_work_group_size: 1
    .uses_dynamic_stack: false
    .vgpr_count:     46
    .vgpr_spill_count: 0
    .wavefront_size: 64
  - .agpr_count:     0
    .args:
      - .offset:         0
        .size:           8
        .value_kind:     by_value
      - .offset:         8
        .size:           32
        .value_kind:     by_value
      - .offset:         40
        .size:           1
        .value_kind:     by_value
      - .offset:         48
        .size:           280
        .value_kind:     by_value
      - .offset:         328
        .size:           4
        .value_kind:     hidden_block_count_x
      - .offset:         332
        .size:           4
        .value_kind:     hidden_block_count_y
      - .offset:         336
        .size:           4
        .value_kind:     hidden_block_count_z
      - .offset:         340
        .size:           2
        .value_kind:     hidden_group_size_x
      - .offset:         342
        .size:           2
        .value_kind:     hidden_group_size_y
      - .offset:         344
        .size:           2
        .value_kind:     hidden_group_size_z
      - .offset:         346
        .size:           2
        .value_kind:     hidden_remainder_x
      - .offset:         348
        .size:           2
        .value_kind:     hidden_remainder_y
      - .offset:         350
        .size:           2
        .value_kind:     hidden_remainder_z
      - .offset:         368
        .size:           8
        .value_kind:     hidden_global_offset_x
      - .offset:         376
        .size:           8
        .value_kind:     hidden_global_offset_y
      - .offset:         384
        .size:           8
        .value_kind:     hidden_global_offset_z
      - .offset:         392
        .size:           2
        .value_kind:     hidden_grid_dims
    .group_segment_fixed_size: 0
    .kernarg_segment_align: 8
    .kernarg_segment_size: 584
    .language:       OpenCL C
    .language_version:
      - 2
      - 0
    .max_flat_workgroup_size: 256
    .name:           _ZN2at6native12_GLOBAL__N_143distribution_elementwise_grid_stride_kernelIfLi4EZNS0_9templates4cuda21uniform_and_transformIsfPNS_17CUDAGeneratorImplEZZZNS4_16bernoulli_kernelIS7_EEvRNS_18TensorIteratorBaseEdT_ENKUlvE_clEvENKUlvE3_clEvEUlfE_EEvSA_T1_T2_EUlP25hiprandStatePhilox4_32_10E_ZNS1_27distribution_nullary_kernelIsf15HIP_vector_typeIdLj2EES7_SJ_SE_EEvSA_SG_RKT3_T4_EUlifE0_EEvlNS_15PhiloxCudaStateESF_SG_
    .private_segment_fixed_size: 0
    .sgpr_count:     67
    .sgpr_spill_count: 0
    .symbol:         _ZN2at6native12_GLOBAL__N_143distribution_elementwise_grid_stride_kernelIfLi4EZNS0_9templates4cuda21uniform_and_transformIsfPNS_17CUDAGeneratorImplEZZZNS4_16bernoulli_kernelIS7_EEvRNS_18TensorIteratorBaseEdT_ENKUlvE_clEvENKUlvE3_clEvEUlfE_EEvSA_T1_T2_EUlP25hiprandStatePhilox4_32_10E_ZNS1_27distribution_nullary_kernelIsf15HIP_vector_typeIdLj2EES7_SJ_SE_EEvSA_SG_RKT3_T4_EUlifE0_EEvlNS_15PhiloxCudaStateESF_SG_.kd
    .uniform_work_group_size: 1
    .uses_dynamic_stack: false
    .vgpr_count:     42
    .vgpr_spill_count: 0
    .wavefront_size: 64
  - .agpr_count:     0
    .args:
      - .offset:         0
        .size:           8
        .value_kind:     by_value
      - .offset:         8
        .size:           32
        .value_kind:     by_value
      - .offset:         40
        .size:           1
        .value_kind:     by_value
      - .offset:         48
        .size:           24
        .value_kind:     by_value
      - .offset:         72
        .size:           4
        .value_kind:     hidden_block_count_x
      - .offset:         76
        .size:           4
        .value_kind:     hidden_block_count_y
      - .offset:         80
        .size:           4
        .value_kind:     hidden_block_count_z
      - .offset:         84
        .size:           2
        .value_kind:     hidden_group_size_x
      - .offset:         86
        .size:           2
        .value_kind:     hidden_group_size_y
      - .offset:         88
        .size:           2
        .value_kind:     hidden_group_size_z
      - .offset:         90
        .size:           2
        .value_kind:     hidden_remainder_x
      - .offset:         92
        .size:           2
        .value_kind:     hidden_remainder_y
      - .offset:         94
        .size:           2
        .value_kind:     hidden_remainder_z
      - .offset:         112
        .size:           8
        .value_kind:     hidden_global_offset_x
      - .offset:         120
        .size:           8
        .value_kind:     hidden_global_offset_y
      - .offset:         128
        .size:           8
        .value_kind:     hidden_global_offset_z
      - .offset:         136
        .size:           2
        .value_kind:     hidden_grid_dims
    .group_segment_fixed_size: 0
    .kernarg_segment_align: 8
    .kernarg_segment_size: 328
    .language:       OpenCL C
    .language_version:
      - 2
      - 0
    .max_flat_workgroup_size: 256
    .name:           _ZN2at6native12_GLOBAL__N_143distribution_elementwise_grid_stride_kernelIfLi4EZNS0_9templates4cuda21uniform_and_transformIsfPNS_17CUDAGeneratorImplEZZZNS4_16bernoulli_kernelIS7_EEvRNS_18TensorIteratorBaseEdT_ENKUlvE_clEvENKUlvE3_clEvEUlfE_EEvSA_T1_T2_EUlP25hiprandStatePhilox4_32_10E0_ZNS1_27distribution_nullary_kernelIsf15HIP_vector_typeIfLj4EES7_SJ_SE_EEvSA_SG_RKT3_T4_EUlifE_EEvlNS_15PhiloxCudaStateESF_SG_
    .private_segment_fixed_size: 0
    .sgpr_count:     28
    .sgpr_spill_count: 0
    .symbol:         _ZN2at6native12_GLOBAL__N_143distribution_elementwise_grid_stride_kernelIfLi4EZNS0_9templates4cuda21uniform_and_transformIsfPNS_17CUDAGeneratorImplEZZZNS4_16bernoulli_kernelIS7_EEvRNS_18TensorIteratorBaseEdT_ENKUlvE_clEvENKUlvE3_clEvEUlfE_EEvSA_T1_T2_EUlP25hiprandStatePhilox4_32_10E0_ZNS1_27distribution_nullary_kernelIsf15HIP_vector_typeIfLj4EES7_SJ_SE_EEvSA_SG_RKT3_T4_EUlifE_EEvlNS_15PhiloxCudaStateESF_SG_.kd
    .uniform_work_group_size: 1
    .uses_dynamic_stack: false
    .vgpr_count:     48
    .vgpr_spill_count: 0
    .wavefront_size: 64
  - .agpr_count:     0
    .args:
      - .offset:         0
        .size:           8
        .value_kind:     by_value
      - .offset:         8
        .size:           32
        .value_kind:     by_value
      - .offset:         40
        .size:           1
        .value_kind:     by_value
      - .offset:         48
        .size:           280
        .value_kind:     by_value
      - .offset:         328
        .size:           4
        .value_kind:     hidden_block_count_x
      - .offset:         332
        .size:           4
        .value_kind:     hidden_block_count_y
      - .offset:         336
        .size:           4
        .value_kind:     hidden_block_count_z
      - .offset:         340
        .size:           2
        .value_kind:     hidden_group_size_x
      - .offset:         342
        .size:           2
        .value_kind:     hidden_group_size_y
      - .offset:         344
        .size:           2
        .value_kind:     hidden_group_size_z
      - .offset:         346
        .size:           2
        .value_kind:     hidden_remainder_x
      - .offset:         348
        .size:           2
        .value_kind:     hidden_remainder_y
      - .offset:         350
        .size:           2
        .value_kind:     hidden_remainder_z
      - .offset:         368
        .size:           8
        .value_kind:     hidden_global_offset_x
      - .offset:         376
        .size:           8
        .value_kind:     hidden_global_offset_y
      - .offset:         384
        .size:           8
        .value_kind:     hidden_global_offset_z
      - .offset:         392
        .size:           2
        .value_kind:     hidden_grid_dims
    .group_segment_fixed_size: 0
    .kernarg_segment_align: 8
    .kernarg_segment_size: 584
    .language:       OpenCL C
    .language_version:
      - 2
      - 0
    .max_flat_workgroup_size: 256
    .name:           _ZN2at6native12_GLOBAL__N_143distribution_elementwise_grid_stride_kernelIfLi4EZNS0_9templates4cuda21uniform_and_transformIsfPNS_17CUDAGeneratorImplEZZZNS4_16bernoulli_kernelIS7_EEvRNS_18TensorIteratorBaseEdT_ENKUlvE_clEvENKUlvE3_clEvEUlfE_EEvSA_T1_T2_EUlP25hiprandStatePhilox4_32_10E0_ZNS1_27distribution_nullary_kernelIsf15HIP_vector_typeIfLj4EES7_SJ_SE_EEvSA_SG_RKT3_T4_EUlifE0_EEvlNS_15PhiloxCudaStateESF_SG_
    .private_segment_fixed_size: 0
    .sgpr_count:     71
    .sgpr_spill_count: 0
    .symbol:         _ZN2at6native12_GLOBAL__N_143distribution_elementwise_grid_stride_kernelIfLi4EZNS0_9templates4cuda21uniform_and_transformIsfPNS_17CUDAGeneratorImplEZZZNS4_16bernoulli_kernelIS7_EEvRNS_18TensorIteratorBaseEdT_ENKUlvE_clEvENKUlvE3_clEvEUlfE_EEvSA_T1_T2_EUlP25hiprandStatePhilox4_32_10E0_ZNS1_27distribution_nullary_kernelIsf15HIP_vector_typeIfLj4EES7_SJ_SE_EEvSA_SG_RKT3_T4_EUlifE0_EEvlNS_15PhiloxCudaStateESF_SG_.kd
    .uniform_work_group_size: 1
    .uses_dynamic_stack: false
    .vgpr_count:     42
    .vgpr_spill_count: 0
    .wavefront_size: 64
  - .agpr_count:     0
    .args:
      - .offset:         0
        .size:           8
        .value_kind:     by_value
      - .offset:         8
        .size:           32
        .value_kind:     by_value
      - .offset:         40
        .size:           1
        .value_kind:     by_value
      - .offset:         48
        .size:           24
        .value_kind:     by_value
      - .offset:         72
        .size:           4
        .value_kind:     hidden_block_count_x
      - .offset:         76
        .size:           4
        .value_kind:     hidden_block_count_y
      - .offset:         80
        .size:           4
        .value_kind:     hidden_block_count_z
      - .offset:         84
        .size:           2
        .value_kind:     hidden_group_size_x
      - .offset:         86
        .size:           2
        .value_kind:     hidden_group_size_y
      - .offset:         88
        .size:           2
        .value_kind:     hidden_group_size_z
      - .offset:         90
        .size:           2
        .value_kind:     hidden_remainder_x
      - .offset:         92
        .size:           2
        .value_kind:     hidden_remainder_y
      - .offset:         94
        .size:           2
        .value_kind:     hidden_remainder_z
      - .offset:         112
        .size:           8
        .value_kind:     hidden_global_offset_x
      - .offset:         120
        .size:           8
        .value_kind:     hidden_global_offset_y
      - .offset:         128
        .size:           8
        .value_kind:     hidden_global_offset_z
      - .offset:         136
        .size:           2
        .value_kind:     hidden_grid_dims
    .group_segment_fixed_size: 0
    .kernarg_segment_align: 8
    .kernarg_segment_size: 328
    .language:       OpenCL C
    .language_version:
      - 2
      - 0
    .max_flat_workgroup_size: 256
    .name:           _ZN2at6native12_GLOBAL__N_143distribution_elementwise_grid_stride_kernelIdLi2EZNS0_9templates4cuda21uniform_and_transformIddPNS_17CUDAGeneratorImplEZZZNS4_16bernoulli_kernelIS7_EEvRNS_18TensorIteratorBaseEdT_ENKUlvE_clEvENKUlvE4_clEvEUldE_EEvSA_T1_T2_EUlP25hiprandStatePhilox4_32_10E_ZNS1_27distribution_nullary_kernelIdd15HIP_vector_typeIdLj2EES7_SJ_SE_EEvSA_SG_RKT3_T4_EUlidE_EEvlNS_15PhiloxCudaStateESF_SG_
    .private_segment_fixed_size: 0
    .sgpr_count:     28
    .sgpr_spill_count: 0
    .symbol:         _ZN2at6native12_GLOBAL__N_143distribution_elementwise_grid_stride_kernelIdLi2EZNS0_9templates4cuda21uniform_and_transformIddPNS_17CUDAGeneratorImplEZZZNS4_16bernoulli_kernelIS7_EEvRNS_18TensorIteratorBaseEdT_ENKUlvE_clEvENKUlvE4_clEvEUldE_EEvSA_T1_T2_EUlP25hiprandStatePhilox4_32_10E_ZNS1_27distribution_nullary_kernelIdd15HIP_vector_typeIdLj2EES7_SJ_SE_EEvSA_SG_RKT3_T4_EUlidE_EEvlNS_15PhiloxCudaStateESF_SG_.kd
    .uniform_work_group_size: 1
    .uses_dynamic_stack: false
    .vgpr_count:     48
    .vgpr_spill_count: 0
    .wavefront_size: 64
  - .agpr_count:     0
    .args:
      - .offset:         0
        .size:           8
        .value_kind:     by_value
      - .offset:         8
        .size:           32
        .value_kind:     by_value
      - .offset:         40
        .size:           1
        .value_kind:     by_value
      - .offset:         48
        .size:           280
        .value_kind:     by_value
      - .offset:         328
        .size:           4
        .value_kind:     hidden_block_count_x
      - .offset:         332
        .size:           4
        .value_kind:     hidden_block_count_y
      - .offset:         336
        .size:           4
        .value_kind:     hidden_block_count_z
      - .offset:         340
        .size:           2
        .value_kind:     hidden_group_size_x
      - .offset:         342
        .size:           2
        .value_kind:     hidden_group_size_y
      - .offset:         344
        .size:           2
        .value_kind:     hidden_group_size_z
      - .offset:         346
        .size:           2
        .value_kind:     hidden_remainder_x
      - .offset:         348
        .size:           2
        .value_kind:     hidden_remainder_y
      - .offset:         350
        .size:           2
        .value_kind:     hidden_remainder_z
      - .offset:         368
        .size:           8
        .value_kind:     hidden_global_offset_x
      - .offset:         376
        .size:           8
        .value_kind:     hidden_global_offset_y
      - .offset:         384
        .size:           8
        .value_kind:     hidden_global_offset_z
      - .offset:         392
        .size:           2
        .value_kind:     hidden_grid_dims
    .group_segment_fixed_size: 0
    .kernarg_segment_align: 8
    .kernarg_segment_size: 584
    .language:       OpenCL C
    .language_version:
      - 2
      - 0
    .max_flat_workgroup_size: 256
    .name:           _ZN2at6native12_GLOBAL__N_143distribution_elementwise_grid_stride_kernelIdLi2EZNS0_9templates4cuda21uniform_and_transformIddPNS_17CUDAGeneratorImplEZZZNS4_16bernoulli_kernelIS7_EEvRNS_18TensorIteratorBaseEdT_ENKUlvE_clEvENKUlvE4_clEvEUldE_EEvSA_T1_T2_EUlP25hiprandStatePhilox4_32_10E_ZNS1_27distribution_nullary_kernelIdd15HIP_vector_typeIdLj2EES7_SJ_SE_EEvSA_SG_RKT3_T4_EUlidE0_EEvlNS_15PhiloxCudaStateESF_SG_
    .private_segment_fixed_size: 0
    .sgpr_count:     69
    .sgpr_spill_count: 0
    .symbol:         _ZN2at6native12_GLOBAL__N_143distribution_elementwise_grid_stride_kernelIdLi2EZNS0_9templates4cuda21uniform_and_transformIddPNS_17CUDAGeneratorImplEZZZNS4_16bernoulli_kernelIS7_EEvRNS_18TensorIteratorBaseEdT_ENKUlvE_clEvENKUlvE4_clEvEUldE_EEvSA_T1_T2_EUlP25hiprandStatePhilox4_32_10E_ZNS1_27distribution_nullary_kernelIdd15HIP_vector_typeIdLj2EES7_SJ_SE_EEvSA_SG_RKT3_T4_EUlidE0_EEvlNS_15PhiloxCudaStateESF_SG_.kd
    .uniform_work_group_size: 1
    .uses_dynamic_stack: false
    .vgpr_count:     44
    .vgpr_spill_count: 0
    .wavefront_size: 64
  - .agpr_count:     0
    .args:
      - .offset:         0
        .size:           8
        .value_kind:     by_value
      - .offset:         8
        .size:           32
        .value_kind:     by_value
      - .offset:         40
        .size:           1
        .value_kind:     by_value
      - .offset:         48
        .size:           24
        .value_kind:     by_value
      - .offset:         72
        .size:           4
        .value_kind:     hidden_block_count_x
      - .offset:         76
        .size:           4
        .value_kind:     hidden_block_count_y
      - .offset:         80
        .size:           4
        .value_kind:     hidden_block_count_z
      - .offset:         84
        .size:           2
        .value_kind:     hidden_group_size_x
      - .offset:         86
        .size:           2
        .value_kind:     hidden_group_size_y
      - .offset:         88
        .size:           2
        .value_kind:     hidden_group_size_z
      - .offset:         90
        .size:           2
        .value_kind:     hidden_remainder_x
      - .offset:         92
        .size:           2
        .value_kind:     hidden_remainder_y
      - .offset:         94
        .size:           2
        .value_kind:     hidden_remainder_z
      - .offset:         112
        .size:           8
        .value_kind:     hidden_global_offset_x
      - .offset:         120
        .size:           8
        .value_kind:     hidden_global_offset_y
      - .offset:         128
        .size:           8
        .value_kind:     hidden_global_offset_z
      - .offset:         136
        .size:           2
        .value_kind:     hidden_grid_dims
    .group_segment_fixed_size: 0
    .kernarg_segment_align: 8
    .kernarg_segment_size: 328
    .language:       OpenCL C
    .language_version:
      - 2
      - 0
    .max_flat_workgroup_size: 256
    .name:           _ZN2at6native12_GLOBAL__N_143distribution_elementwise_grid_stride_kernelIdLi2EZNS0_9templates4cuda21uniform_and_transformIddPNS_17CUDAGeneratorImplEZZZNS4_16bernoulli_kernelIS7_EEvRNS_18TensorIteratorBaseEdT_ENKUlvE_clEvENKUlvE4_clEvEUldE_EEvSA_T1_T2_EUlP25hiprandStatePhilox4_32_10E0_ZNS1_27distribution_nullary_kernelIdd15HIP_vector_typeIfLj4EES7_SJ_SE_EEvSA_SG_RKT3_T4_EUlidE_EEvlNS_15PhiloxCudaStateESF_SG_
    .private_segment_fixed_size: 0
    .sgpr_count:     28
    .sgpr_spill_count: 0
    .symbol:         _ZN2at6native12_GLOBAL__N_143distribution_elementwise_grid_stride_kernelIdLi2EZNS0_9templates4cuda21uniform_and_transformIddPNS_17CUDAGeneratorImplEZZZNS4_16bernoulli_kernelIS7_EEvRNS_18TensorIteratorBaseEdT_ENKUlvE_clEvENKUlvE4_clEvEUldE_EEvSA_T1_T2_EUlP25hiprandStatePhilox4_32_10E0_ZNS1_27distribution_nullary_kernelIdd15HIP_vector_typeIfLj4EES7_SJ_SE_EEvSA_SG_RKT3_T4_EUlidE_EEvlNS_15PhiloxCudaStateESF_SG_.kd
    .uniform_work_group_size: 1
    .uses_dynamic_stack: false
    .vgpr_count:     46
    .vgpr_spill_count: 0
    .wavefront_size: 64
  - .agpr_count:     0
    .args:
      - .offset:         0
        .size:           8
        .value_kind:     by_value
      - .offset:         8
        .size:           32
        .value_kind:     by_value
      - .offset:         40
        .size:           1
        .value_kind:     by_value
      - .offset:         48
        .size:           280
        .value_kind:     by_value
      - .offset:         328
        .size:           4
        .value_kind:     hidden_block_count_x
      - .offset:         332
        .size:           4
        .value_kind:     hidden_block_count_y
      - .offset:         336
        .size:           4
        .value_kind:     hidden_block_count_z
      - .offset:         340
        .size:           2
        .value_kind:     hidden_group_size_x
      - .offset:         342
        .size:           2
        .value_kind:     hidden_group_size_y
      - .offset:         344
        .size:           2
        .value_kind:     hidden_group_size_z
      - .offset:         346
        .size:           2
        .value_kind:     hidden_remainder_x
      - .offset:         348
        .size:           2
        .value_kind:     hidden_remainder_y
      - .offset:         350
        .size:           2
        .value_kind:     hidden_remainder_z
      - .offset:         368
        .size:           8
        .value_kind:     hidden_global_offset_x
      - .offset:         376
        .size:           8
        .value_kind:     hidden_global_offset_y
      - .offset:         384
        .size:           8
        .value_kind:     hidden_global_offset_z
      - .offset:         392
        .size:           2
        .value_kind:     hidden_grid_dims
    .group_segment_fixed_size: 0
    .kernarg_segment_align: 8
    .kernarg_segment_size: 584
    .language:       OpenCL C
    .language_version:
      - 2
      - 0
    .max_flat_workgroup_size: 256
    .name:           _ZN2at6native12_GLOBAL__N_143distribution_elementwise_grid_stride_kernelIdLi2EZNS0_9templates4cuda21uniform_and_transformIddPNS_17CUDAGeneratorImplEZZZNS4_16bernoulli_kernelIS7_EEvRNS_18TensorIteratorBaseEdT_ENKUlvE_clEvENKUlvE4_clEvEUldE_EEvSA_T1_T2_EUlP25hiprandStatePhilox4_32_10E0_ZNS1_27distribution_nullary_kernelIdd15HIP_vector_typeIfLj4EES7_SJ_SE_EEvSA_SG_RKT3_T4_EUlidE0_EEvlNS_15PhiloxCudaStateESF_SG_
    .private_segment_fixed_size: 0
    .sgpr_count:     69
    .sgpr_spill_count: 0
    .symbol:         _ZN2at6native12_GLOBAL__N_143distribution_elementwise_grid_stride_kernelIdLi2EZNS0_9templates4cuda21uniform_and_transformIddPNS_17CUDAGeneratorImplEZZZNS4_16bernoulli_kernelIS7_EEvRNS_18TensorIteratorBaseEdT_ENKUlvE_clEvENKUlvE4_clEvEUldE_EEvSA_T1_T2_EUlP25hiprandStatePhilox4_32_10E0_ZNS1_27distribution_nullary_kernelIdd15HIP_vector_typeIfLj4EES7_SJ_SE_EEvSA_SG_RKT3_T4_EUlidE0_EEvlNS_15PhiloxCudaStateESF_SG_.kd
    .uniform_work_group_size: 1
    .uses_dynamic_stack: false
    .vgpr_count:     42
    .vgpr_spill_count: 0
    .wavefront_size: 64
  - .agpr_count:     0
    .args:
      - .offset:         0
        .size:           8
        .value_kind:     by_value
      - .offset:         8
        .size:           32
        .value_kind:     by_value
      - .offset:         40
        .size:           1
        .value_kind:     by_value
      - .offset:         48
        .size:           24
        .value_kind:     by_value
      - .offset:         72
        .size:           4
        .value_kind:     hidden_block_count_x
      - .offset:         76
        .size:           4
        .value_kind:     hidden_block_count_y
      - .offset:         80
        .size:           4
        .value_kind:     hidden_block_count_z
      - .offset:         84
        .size:           2
        .value_kind:     hidden_group_size_x
      - .offset:         86
        .size:           2
        .value_kind:     hidden_group_size_y
      - .offset:         88
        .size:           2
        .value_kind:     hidden_group_size_z
      - .offset:         90
        .size:           2
        .value_kind:     hidden_remainder_x
      - .offset:         92
        .size:           2
        .value_kind:     hidden_remainder_y
      - .offset:         94
        .size:           2
        .value_kind:     hidden_remainder_z
      - .offset:         112
        .size:           8
        .value_kind:     hidden_global_offset_x
      - .offset:         120
        .size:           8
        .value_kind:     hidden_global_offset_y
      - .offset:         128
        .size:           8
        .value_kind:     hidden_global_offset_z
      - .offset:         136
        .size:           2
        .value_kind:     hidden_grid_dims
    .group_segment_fixed_size: 0
    .kernarg_segment_align: 8
    .kernarg_segment_size: 328
    .language:       OpenCL C
    .language_version:
      - 2
      - 0
    .max_flat_workgroup_size: 256
    .name:           _ZN2at6native12_GLOBAL__N_143distribution_elementwise_grid_stride_kernelIfLi4EZNS0_9templates4cuda21uniform_and_transformIffPNS_17CUDAGeneratorImplEZZZNS4_16bernoulli_kernelIS7_EEvRNS_18TensorIteratorBaseEdT_ENKUlvE_clEvENKUlvE5_clEvEUlfE_EEvSA_T1_T2_EUlP25hiprandStatePhilox4_32_10E_ZNS1_27distribution_nullary_kernelIff15HIP_vector_typeIdLj2EES7_SJ_SE_EEvSA_SG_RKT3_T4_EUlifE_EEvlNS_15PhiloxCudaStateESF_SG_
    .private_segment_fixed_size: 0
    .sgpr_count:     28
    .sgpr_spill_count: 0
    .symbol:         _ZN2at6native12_GLOBAL__N_143distribution_elementwise_grid_stride_kernelIfLi4EZNS0_9templates4cuda21uniform_and_transformIffPNS_17CUDAGeneratorImplEZZZNS4_16bernoulli_kernelIS7_EEvRNS_18TensorIteratorBaseEdT_ENKUlvE_clEvENKUlvE5_clEvEUlfE_EEvSA_T1_T2_EUlP25hiprandStatePhilox4_32_10E_ZNS1_27distribution_nullary_kernelIff15HIP_vector_typeIdLj2EES7_SJ_SE_EEvSA_SG_RKT3_T4_EUlifE_EEvlNS_15PhiloxCudaStateESF_SG_.kd
    .uniform_work_group_size: 1
    .uses_dynamic_stack: false
    .vgpr_count:     46
    .vgpr_spill_count: 0
    .wavefront_size: 64
  - .agpr_count:     0
    .args:
      - .offset:         0
        .size:           8
        .value_kind:     by_value
      - .offset:         8
        .size:           32
        .value_kind:     by_value
      - .offset:         40
        .size:           1
        .value_kind:     by_value
      - .offset:         48
        .size:           280
        .value_kind:     by_value
      - .offset:         328
        .size:           4
        .value_kind:     hidden_block_count_x
      - .offset:         332
        .size:           4
        .value_kind:     hidden_block_count_y
      - .offset:         336
        .size:           4
        .value_kind:     hidden_block_count_z
      - .offset:         340
        .size:           2
        .value_kind:     hidden_group_size_x
      - .offset:         342
        .size:           2
        .value_kind:     hidden_group_size_y
      - .offset:         344
        .size:           2
        .value_kind:     hidden_group_size_z
      - .offset:         346
        .size:           2
        .value_kind:     hidden_remainder_x
      - .offset:         348
        .size:           2
        .value_kind:     hidden_remainder_y
      - .offset:         350
        .size:           2
        .value_kind:     hidden_remainder_z
      - .offset:         368
        .size:           8
        .value_kind:     hidden_global_offset_x
      - .offset:         376
        .size:           8
        .value_kind:     hidden_global_offset_y
      - .offset:         384
        .size:           8
        .value_kind:     hidden_global_offset_z
      - .offset:         392
        .size:           2
        .value_kind:     hidden_grid_dims
    .group_segment_fixed_size: 0
    .kernarg_segment_align: 8
    .kernarg_segment_size: 584
    .language:       OpenCL C
    .language_version:
      - 2
      - 0
    .max_flat_workgroup_size: 256
    .name:           _ZN2at6native12_GLOBAL__N_143distribution_elementwise_grid_stride_kernelIfLi4EZNS0_9templates4cuda21uniform_and_transformIffPNS_17CUDAGeneratorImplEZZZNS4_16bernoulli_kernelIS7_EEvRNS_18TensorIteratorBaseEdT_ENKUlvE_clEvENKUlvE5_clEvEUlfE_EEvSA_T1_T2_EUlP25hiprandStatePhilox4_32_10E_ZNS1_27distribution_nullary_kernelIff15HIP_vector_typeIdLj2EES7_SJ_SE_EEvSA_SG_RKT3_T4_EUlifE0_EEvlNS_15PhiloxCudaStateESF_SG_
    .private_segment_fixed_size: 0
    .sgpr_count:     67
    .sgpr_spill_count: 0
    .symbol:         _ZN2at6native12_GLOBAL__N_143distribution_elementwise_grid_stride_kernelIfLi4EZNS0_9templates4cuda21uniform_and_transformIffPNS_17CUDAGeneratorImplEZZZNS4_16bernoulli_kernelIS7_EEvRNS_18TensorIteratorBaseEdT_ENKUlvE_clEvENKUlvE5_clEvEUlfE_EEvSA_T1_T2_EUlP25hiprandStatePhilox4_32_10E_ZNS1_27distribution_nullary_kernelIff15HIP_vector_typeIdLj2EES7_SJ_SE_EEvSA_SG_RKT3_T4_EUlifE0_EEvlNS_15PhiloxCudaStateESF_SG_.kd
    .uniform_work_group_size: 1
    .uses_dynamic_stack: false
    .vgpr_count:     42
    .vgpr_spill_count: 0
    .wavefront_size: 64
  - .agpr_count:     0
    .args:
      - .offset:         0
        .size:           8
        .value_kind:     by_value
      - .offset:         8
        .size:           32
        .value_kind:     by_value
      - .offset:         40
        .size:           1
        .value_kind:     by_value
      - .offset:         48
        .size:           24
        .value_kind:     by_value
      - .offset:         72
        .size:           4
        .value_kind:     hidden_block_count_x
      - .offset:         76
        .size:           4
        .value_kind:     hidden_block_count_y
      - .offset:         80
        .size:           4
        .value_kind:     hidden_block_count_z
      - .offset:         84
        .size:           2
        .value_kind:     hidden_group_size_x
      - .offset:         86
        .size:           2
        .value_kind:     hidden_group_size_y
      - .offset:         88
        .size:           2
        .value_kind:     hidden_group_size_z
      - .offset:         90
        .size:           2
        .value_kind:     hidden_remainder_x
      - .offset:         92
        .size:           2
        .value_kind:     hidden_remainder_y
      - .offset:         94
        .size:           2
        .value_kind:     hidden_remainder_z
      - .offset:         112
        .size:           8
        .value_kind:     hidden_global_offset_x
      - .offset:         120
        .size:           8
        .value_kind:     hidden_global_offset_y
      - .offset:         128
        .size:           8
        .value_kind:     hidden_global_offset_z
      - .offset:         136
        .size:           2
        .value_kind:     hidden_grid_dims
    .group_segment_fixed_size: 0
    .kernarg_segment_align: 8
    .kernarg_segment_size: 328
    .language:       OpenCL C
    .language_version:
      - 2
      - 0
    .max_flat_workgroup_size: 256
    .name:           _ZN2at6native12_GLOBAL__N_143distribution_elementwise_grid_stride_kernelIfLi4EZNS0_9templates4cuda21uniform_and_transformIffPNS_17CUDAGeneratorImplEZZZNS4_16bernoulli_kernelIS7_EEvRNS_18TensorIteratorBaseEdT_ENKUlvE_clEvENKUlvE5_clEvEUlfE_EEvSA_T1_T2_EUlP25hiprandStatePhilox4_32_10E0_ZNS1_27distribution_nullary_kernelIff15HIP_vector_typeIfLj4EES7_SJ_SE_EEvSA_SG_RKT3_T4_EUlifE_EEvlNS_15PhiloxCudaStateESF_SG_
    .private_segment_fixed_size: 0
    .sgpr_count:     28
    .sgpr_spill_count: 0
    .symbol:         _ZN2at6native12_GLOBAL__N_143distribution_elementwise_grid_stride_kernelIfLi4EZNS0_9templates4cuda21uniform_and_transformIffPNS_17CUDAGeneratorImplEZZZNS4_16bernoulli_kernelIS7_EEvRNS_18TensorIteratorBaseEdT_ENKUlvE_clEvENKUlvE5_clEvEUlfE_EEvSA_T1_T2_EUlP25hiprandStatePhilox4_32_10E0_ZNS1_27distribution_nullary_kernelIff15HIP_vector_typeIfLj4EES7_SJ_SE_EEvSA_SG_RKT3_T4_EUlifE_EEvlNS_15PhiloxCudaStateESF_SG_.kd
    .uniform_work_group_size: 1
    .uses_dynamic_stack: false
    .vgpr_count:     48
    .vgpr_spill_count: 0
    .wavefront_size: 64
  - .agpr_count:     0
    .args:
      - .offset:         0
        .size:           8
        .value_kind:     by_value
      - .offset:         8
        .size:           32
        .value_kind:     by_value
      - .offset:         40
        .size:           1
        .value_kind:     by_value
      - .offset:         48
        .size:           280
        .value_kind:     by_value
      - .offset:         328
        .size:           4
        .value_kind:     hidden_block_count_x
      - .offset:         332
        .size:           4
        .value_kind:     hidden_block_count_y
      - .offset:         336
        .size:           4
        .value_kind:     hidden_block_count_z
      - .offset:         340
        .size:           2
        .value_kind:     hidden_group_size_x
      - .offset:         342
        .size:           2
        .value_kind:     hidden_group_size_y
      - .offset:         344
        .size:           2
        .value_kind:     hidden_group_size_z
      - .offset:         346
        .size:           2
        .value_kind:     hidden_remainder_x
      - .offset:         348
        .size:           2
        .value_kind:     hidden_remainder_y
      - .offset:         350
        .size:           2
        .value_kind:     hidden_remainder_z
      - .offset:         368
        .size:           8
        .value_kind:     hidden_global_offset_x
      - .offset:         376
        .size:           8
        .value_kind:     hidden_global_offset_y
      - .offset:         384
        .size:           8
        .value_kind:     hidden_global_offset_z
      - .offset:         392
        .size:           2
        .value_kind:     hidden_grid_dims
    .group_segment_fixed_size: 0
    .kernarg_segment_align: 8
    .kernarg_segment_size: 584
    .language:       OpenCL C
    .language_version:
      - 2
      - 0
    .max_flat_workgroup_size: 256
    .name:           _ZN2at6native12_GLOBAL__N_143distribution_elementwise_grid_stride_kernelIfLi4EZNS0_9templates4cuda21uniform_and_transformIffPNS_17CUDAGeneratorImplEZZZNS4_16bernoulli_kernelIS7_EEvRNS_18TensorIteratorBaseEdT_ENKUlvE_clEvENKUlvE5_clEvEUlfE_EEvSA_T1_T2_EUlP25hiprandStatePhilox4_32_10E0_ZNS1_27distribution_nullary_kernelIff15HIP_vector_typeIfLj4EES7_SJ_SE_EEvSA_SG_RKT3_T4_EUlifE0_EEvlNS_15PhiloxCudaStateESF_SG_
    .private_segment_fixed_size: 0
    .sgpr_count:     71
    .sgpr_spill_count: 0
    .symbol:         _ZN2at6native12_GLOBAL__N_143distribution_elementwise_grid_stride_kernelIfLi4EZNS0_9templates4cuda21uniform_and_transformIffPNS_17CUDAGeneratorImplEZZZNS4_16bernoulli_kernelIS7_EEvRNS_18TensorIteratorBaseEdT_ENKUlvE_clEvENKUlvE5_clEvEUlfE_EEvSA_T1_T2_EUlP25hiprandStatePhilox4_32_10E0_ZNS1_27distribution_nullary_kernelIff15HIP_vector_typeIfLj4EES7_SJ_SE_EEvSA_SG_RKT3_T4_EUlifE0_EEvlNS_15PhiloxCudaStateESF_SG_.kd
    .uniform_work_group_size: 1
    .uses_dynamic_stack: false
    .vgpr_count:     42
    .vgpr_spill_count: 0
    .wavefront_size: 64
  - .agpr_count:     0
    .args:
      - .offset:         0
        .size:           8
        .value_kind:     by_value
      - .offset:         8
        .size:           32
        .value_kind:     by_value
      - .offset:         40
        .size:           1
        .value_kind:     by_value
      - .offset:         48
        .size:           24
        .value_kind:     by_value
      - .offset:         72
        .size:           4
        .value_kind:     hidden_block_count_x
      - .offset:         76
        .size:           4
        .value_kind:     hidden_block_count_y
      - .offset:         80
        .size:           4
        .value_kind:     hidden_block_count_z
      - .offset:         84
        .size:           2
        .value_kind:     hidden_group_size_x
      - .offset:         86
        .size:           2
        .value_kind:     hidden_group_size_y
      - .offset:         88
        .size:           2
        .value_kind:     hidden_group_size_z
      - .offset:         90
        .size:           2
        .value_kind:     hidden_remainder_x
      - .offset:         92
        .size:           2
        .value_kind:     hidden_remainder_y
      - .offset:         94
        .size:           2
        .value_kind:     hidden_remainder_z
      - .offset:         112
        .size:           8
        .value_kind:     hidden_global_offset_x
      - .offset:         120
        .size:           8
        .value_kind:     hidden_global_offset_y
      - .offset:         128
        .size:           8
        .value_kind:     hidden_global_offset_z
      - .offset:         136
        .size:           2
        .value_kind:     hidden_grid_dims
    .group_segment_fixed_size: 0
    .kernarg_segment_align: 8
    .kernarg_segment_size: 328
    .language:       OpenCL C
    .language_version:
      - 2
      - 0
    .max_flat_workgroup_size: 256
    .name:           _ZN2at6native12_GLOBAL__N_143distribution_elementwise_grid_stride_kernelIfLi4EZNS0_9templates4cuda21uniform_and_transformIN3c104HalfEfPNS_17CUDAGeneratorImplEZZZNS4_16bernoulli_kernelIS9_EEvRNS_18TensorIteratorBaseEdT_ENKUlvE_clEvENKUlvE6_clEvEUlfE_EEvSC_T1_T2_EUlP25hiprandStatePhilox4_32_10E_ZNS1_27distribution_nullary_kernelIS7_f15HIP_vector_typeIdLj2EES9_SL_SG_EEvSC_SI_RKT3_T4_EUlifE_EEvlNS_15PhiloxCudaStateESH_SI_
    .private_segment_fixed_size: 0
    .sgpr_count:     28
    .sgpr_spill_count: 0
    .symbol:         _ZN2at6native12_GLOBAL__N_143distribution_elementwise_grid_stride_kernelIfLi4EZNS0_9templates4cuda21uniform_and_transformIN3c104HalfEfPNS_17CUDAGeneratorImplEZZZNS4_16bernoulli_kernelIS9_EEvRNS_18TensorIteratorBaseEdT_ENKUlvE_clEvENKUlvE6_clEvEUlfE_EEvSC_T1_T2_EUlP25hiprandStatePhilox4_32_10E_ZNS1_27distribution_nullary_kernelIS7_f15HIP_vector_typeIdLj2EES9_SL_SG_EEvSC_SI_RKT3_T4_EUlifE_EEvlNS_15PhiloxCudaStateESH_SI_.kd
    .uniform_work_group_size: 1
    .uses_dynamic_stack: false
    .vgpr_count:     48
    .vgpr_spill_count: 0
    .wavefront_size: 64
  - .agpr_count:     0
    .args:
      - .offset:         0
        .size:           8
        .value_kind:     by_value
      - .offset:         8
        .size:           32
        .value_kind:     by_value
      - .offset:         40
        .size:           1
        .value_kind:     by_value
      - .offset:         48
        .size:           280
        .value_kind:     by_value
      - .offset:         328
        .size:           4
        .value_kind:     hidden_block_count_x
      - .offset:         332
        .size:           4
        .value_kind:     hidden_block_count_y
      - .offset:         336
        .size:           4
        .value_kind:     hidden_block_count_z
      - .offset:         340
        .size:           2
        .value_kind:     hidden_group_size_x
      - .offset:         342
        .size:           2
        .value_kind:     hidden_group_size_y
      - .offset:         344
        .size:           2
        .value_kind:     hidden_group_size_z
      - .offset:         346
        .size:           2
        .value_kind:     hidden_remainder_x
      - .offset:         348
        .size:           2
        .value_kind:     hidden_remainder_y
      - .offset:         350
        .size:           2
        .value_kind:     hidden_remainder_z
      - .offset:         368
        .size:           8
        .value_kind:     hidden_global_offset_x
      - .offset:         376
        .size:           8
        .value_kind:     hidden_global_offset_y
      - .offset:         384
        .size:           8
        .value_kind:     hidden_global_offset_z
      - .offset:         392
        .size:           2
        .value_kind:     hidden_grid_dims
    .group_segment_fixed_size: 0
    .kernarg_segment_align: 8
    .kernarg_segment_size: 584
    .language:       OpenCL C
    .language_version:
      - 2
      - 0
    .max_flat_workgroup_size: 256
    .name:           _ZN2at6native12_GLOBAL__N_143distribution_elementwise_grid_stride_kernelIfLi4EZNS0_9templates4cuda21uniform_and_transformIN3c104HalfEfPNS_17CUDAGeneratorImplEZZZNS4_16bernoulli_kernelIS9_EEvRNS_18TensorIteratorBaseEdT_ENKUlvE_clEvENKUlvE6_clEvEUlfE_EEvSC_T1_T2_EUlP25hiprandStatePhilox4_32_10E_ZNS1_27distribution_nullary_kernelIS7_f15HIP_vector_typeIdLj2EES9_SL_SG_EEvSC_SI_RKT3_T4_EUlifE0_EEvlNS_15PhiloxCudaStateESH_SI_
    .private_segment_fixed_size: 0
    .sgpr_count:     67
    .sgpr_spill_count: 0
    .symbol:         _ZN2at6native12_GLOBAL__N_143distribution_elementwise_grid_stride_kernelIfLi4EZNS0_9templates4cuda21uniform_and_transformIN3c104HalfEfPNS_17CUDAGeneratorImplEZZZNS4_16bernoulli_kernelIS9_EEvRNS_18TensorIteratorBaseEdT_ENKUlvE_clEvENKUlvE6_clEvEUlfE_EEvSC_T1_T2_EUlP25hiprandStatePhilox4_32_10E_ZNS1_27distribution_nullary_kernelIS7_f15HIP_vector_typeIdLj2EES9_SL_SG_EEvSC_SI_RKT3_T4_EUlifE0_EEvlNS_15PhiloxCudaStateESH_SI_.kd
    .uniform_work_group_size: 1
    .uses_dynamic_stack: false
    .vgpr_count:     43
    .vgpr_spill_count: 0
    .wavefront_size: 64
  - .agpr_count:     0
    .args:
      - .offset:         0
        .size:           8
        .value_kind:     by_value
      - .offset:         8
        .size:           32
        .value_kind:     by_value
      - .offset:         40
        .size:           1
        .value_kind:     by_value
      - .offset:         48
        .size:           24
        .value_kind:     by_value
      - .offset:         72
        .size:           4
        .value_kind:     hidden_block_count_x
      - .offset:         76
        .size:           4
        .value_kind:     hidden_block_count_y
      - .offset:         80
        .size:           4
        .value_kind:     hidden_block_count_z
      - .offset:         84
        .size:           2
        .value_kind:     hidden_group_size_x
      - .offset:         86
        .size:           2
        .value_kind:     hidden_group_size_y
      - .offset:         88
        .size:           2
        .value_kind:     hidden_group_size_z
      - .offset:         90
        .size:           2
        .value_kind:     hidden_remainder_x
      - .offset:         92
        .size:           2
        .value_kind:     hidden_remainder_y
      - .offset:         94
        .size:           2
        .value_kind:     hidden_remainder_z
      - .offset:         112
        .size:           8
        .value_kind:     hidden_global_offset_x
      - .offset:         120
        .size:           8
        .value_kind:     hidden_global_offset_y
      - .offset:         128
        .size:           8
        .value_kind:     hidden_global_offset_z
      - .offset:         136
        .size:           2
        .value_kind:     hidden_grid_dims
    .group_segment_fixed_size: 0
    .kernarg_segment_align: 8
    .kernarg_segment_size: 328
    .language:       OpenCL C
    .language_version:
      - 2
      - 0
    .max_flat_workgroup_size: 256
    .name:           _ZN2at6native12_GLOBAL__N_143distribution_elementwise_grid_stride_kernelIfLi4EZNS0_9templates4cuda21uniform_and_transformIN3c104HalfEfPNS_17CUDAGeneratorImplEZZZNS4_16bernoulli_kernelIS9_EEvRNS_18TensorIteratorBaseEdT_ENKUlvE_clEvENKUlvE6_clEvEUlfE_EEvSC_T1_T2_EUlP25hiprandStatePhilox4_32_10E0_ZNS1_27distribution_nullary_kernelIS7_f15HIP_vector_typeIfLj4EES9_SL_SG_EEvSC_SI_RKT3_T4_EUlifE_EEvlNS_15PhiloxCudaStateESH_SI_
    .private_segment_fixed_size: 0
    .sgpr_count:     28
    .sgpr_spill_count: 0
    .symbol:         _ZN2at6native12_GLOBAL__N_143distribution_elementwise_grid_stride_kernelIfLi4EZNS0_9templates4cuda21uniform_and_transformIN3c104HalfEfPNS_17CUDAGeneratorImplEZZZNS4_16bernoulli_kernelIS9_EEvRNS_18TensorIteratorBaseEdT_ENKUlvE_clEvENKUlvE6_clEvEUlfE_EEvSC_T1_T2_EUlP25hiprandStatePhilox4_32_10E0_ZNS1_27distribution_nullary_kernelIS7_f15HIP_vector_typeIfLj4EES9_SL_SG_EEvSC_SI_RKT3_T4_EUlifE_EEvlNS_15PhiloxCudaStateESH_SI_.kd
    .uniform_work_group_size: 1
    .uses_dynamic_stack: false
    .vgpr_count:     50
    .vgpr_spill_count: 0
    .wavefront_size: 64
  - .agpr_count:     0
    .args:
      - .offset:         0
        .size:           8
        .value_kind:     by_value
      - .offset:         8
        .size:           32
        .value_kind:     by_value
      - .offset:         40
        .size:           1
        .value_kind:     by_value
      - .offset:         48
        .size:           280
        .value_kind:     by_value
      - .offset:         328
        .size:           4
        .value_kind:     hidden_block_count_x
      - .offset:         332
        .size:           4
        .value_kind:     hidden_block_count_y
      - .offset:         336
        .size:           4
        .value_kind:     hidden_block_count_z
      - .offset:         340
        .size:           2
        .value_kind:     hidden_group_size_x
      - .offset:         342
        .size:           2
        .value_kind:     hidden_group_size_y
      - .offset:         344
        .size:           2
        .value_kind:     hidden_group_size_z
      - .offset:         346
        .size:           2
        .value_kind:     hidden_remainder_x
      - .offset:         348
        .size:           2
        .value_kind:     hidden_remainder_y
      - .offset:         350
        .size:           2
        .value_kind:     hidden_remainder_z
      - .offset:         368
        .size:           8
        .value_kind:     hidden_global_offset_x
      - .offset:         376
        .size:           8
        .value_kind:     hidden_global_offset_y
      - .offset:         384
        .size:           8
        .value_kind:     hidden_global_offset_z
      - .offset:         392
        .size:           2
        .value_kind:     hidden_grid_dims
    .group_segment_fixed_size: 0
    .kernarg_segment_align: 8
    .kernarg_segment_size: 584
    .language:       OpenCL C
    .language_version:
      - 2
      - 0
    .max_flat_workgroup_size: 256
    .name:           _ZN2at6native12_GLOBAL__N_143distribution_elementwise_grid_stride_kernelIfLi4EZNS0_9templates4cuda21uniform_and_transformIN3c104HalfEfPNS_17CUDAGeneratorImplEZZZNS4_16bernoulli_kernelIS9_EEvRNS_18TensorIteratorBaseEdT_ENKUlvE_clEvENKUlvE6_clEvEUlfE_EEvSC_T1_T2_EUlP25hiprandStatePhilox4_32_10E0_ZNS1_27distribution_nullary_kernelIS7_f15HIP_vector_typeIfLj4EES9_SL_SG_EEvSC_SI_RKT3_T4_EUlifE0_EEvlNS_15PhiloxCudaStateESH_SI_
    .private_segment_fixed_size: 0
    .sgpr_count:     71
    .sgpr_spill_count: 0
    .symbol:         _ZN2at6native12_GLOBAL__N_143distribution_elementwise_grid_stride_kernelIfLi4EZNS0_9templates4cuda21uniform_and_transformIN3c104HalfEfPNS_17CUDAGeneratorImplEZZZNS4_16bernoulli_kernelIS9_EEvRNS_18TensorIteratorBaseEdT_ENKUlvE_clEvENKUlvE6_clEvEUlfE_EEvSC_T1_T2_EUlP25hiprandStatePhilox4_32_10E0_ZNS1_27distribution_nullary_kernelIS7_f15HIP_vector_typeIfLj4EES9_SL_SG_EEvSC_SI_RKT3_T4_EUlifE0_EEvlNS_15PhiloxCudaStateESH_SI_.kd
    .uniform_work_group_size: 1
    .uses_dynamic_stack: false
    .vgpr_count:     43
    .vgpr_spill_count: 0
    .wavefront_size: 64
  - .agpr_count:     0
    .args:
      - .offset:         0
        .size:           8
        .value_kind:     by_value
      - .offset:         8
        .size:           32
        .value_kind:     by_value
      - .offset:         40
        .size:           1
        .value_kind:     by_value
      - .offset:         48
        .size:           24
        .value_kind:     by_value
      - .offset:         72
        .size:           4
        .value_kind:     hidden_block_count_x
      - .offset:         76
        .size:           4
        .value_kind:     hidden_block_count_y
      - .offset:         80
        .size:           4
        .value_kind:     hidden_block_count_z
      - .offset:         84
        .size:           2
        .value_kind:     hidden_group_size_x
      - .offset:         86
        .size:           2
        .value_kind:     hidden_group_size_y
      - .offset:         88
        .size:           2
        .value_kind:     hidden_group_size_z
      - .offset:         90
        .size:           2
        .value_kind:     hidden_remainder_x
      - .offset:         92
        .size:           2
        .value_kind:     hidden_remainder_y
      - .offset:         94
        .size:           2
        .value_kind:     hidden_remainder_z
      - .offset:         112
        .size:           8
        .value_kind:     hidden_global_offset_x
      - .offset:         120
        .size:           8
        .value_kind:     hidden_global_offset_y
      - .offset:         128
        .size:           8
        .value_kind:     hidden_global_offset_z
      - .offset:         136
        .size:           2
        .value_kind:     hidden_grid_dims
    .group_segment_fixed_size: 0
    .kernarg_segment_align: 8
    .kernarg_segment_size: 328
    .language:       OpenCL C
    .language_version:
      - 2
      - 0
    .max_flat_workgroup_size: 256
    .name:           _ZN2at6native12_GLOBAL__N_143distribution_elementwise_grid_stride_kernelIfLi4EZNS0_9templates4cuda21uniform_and_transformIN3c108BFloat16EfPNS_17CUDAGeneratorImplEZZZNS4_16bernoulli_kernelIS9_EEvRNS_18TensorIteratorBaseEdT_ENKUlvE_clEvENKUlvE7_clEvEUlfE_EEvSC_T1_T2_EUlP25hiprandStatePhilox4_32_10E_ZNS1_27distribution_nullary_kernelIS7_f15HIP_vector_typeIdLj2EES9_SL_SG_EEvSC_SI_RKT3_T4_EUlifE_EEvlNS_15PhiloxCudaStateESH_SI_
    .private_segment_fixed_size: 0
    .sgpr_count:     28
    .sgpr_spill_count: 0
    .symbol:         _ZN2at6native12_GLOBAL__N_143distribution_elementwise_grid_stride_kernelIfLi4EZNS0_9templates4cuda21uniform_and_transformIN3c108BFloat16EfPNS_17CUDAGeneratorImplEZZZNS4_16bernoulli_kernelIS9_EEvRNS_18TensorIteratorBaseEdT_ENKUlvE_clEvENKUlvE7_clEvEUlfE_EEvSC_T1_T2_EUlP25hiprandStatePhilox4_32_10E_ZNS1_27distribution_nullary_kernelIS7_f15HIP_vector_typeIdLj2EES9_SL_SG_EEvSC_SI_RKT3_T4_EUlifE_EEvlNS_15PhiloxCudaStateESH_SI_.kd
    .uniform_work_group_size: 1
    .uses_dynamic_stack: false
    .vgpr_count:     46
    .vgpr_spill_count: 0
    .wavefront_size: 64
  - .agpr_count:     0
    .args:
      - .offset:         0
        .size:           8
        .value_kind:     by_value
      - .offset:         8
        .size:           32
        .value_kind:     by_value
      - .offset:         40
        .size:           1
        .value_kind:     by_value
      - .offset:         48
        .size:           280
        .value_kind:     by_value
      - .offset:         328
        .size:           4
        .value_kind:     hidden_block_count_x
      - .offset:         332
        .size:           4
        .value_kind:     hidden_block_count_y
      - .offset:         336
        .size:           4
        .value_kind:     hidden_block_count_z
      - .offset:         340
        .size:           2
        .value_kind:     hidden_group_size_x
      - .offset:         342
        .size:           2
        .value_kind:     hidden_group_size_y
      - .offset:         344
        .size:           2
        .value_kind:     hidden_group_size_z
      - .offset:         346
        .size:           2
        .value_kind:     hidden_remainder_x
      - .offset:         348
        .size:           2
        .value_kind:     hidden_remainder_y
      - .offset:         350
        .size:           2
        .value_kind:     hidden_remainder_z
      - .offset:         368
        .size:           8
        .value_kind:     hidden_global_offset_x
      - .offset:         376
        .size:           8
        .value_kind:     hidden_global_offset_y
      - .offset:         384
        .size:           8
        .value_kind:     hidden_global_offset_z
      - .offset:         392
        .size:           2
        .value_kind:     hidden_grid_dims
    .group_segment_fixed_size: 0
    .kernarg_segment_align: 8
    .kernarg_segment_size: 584
    .language:       OpenCL C
    .language_version:
      - 2
      - 0
    .max_flat_workgroup_size: 256
    .name:           _ZN2at6native12_GLOBAL__N_143distribution_elementwise_grid_stride_kernelIfLi4EZNS0_9templates4cuda21uniform_and_transformIN3c108BFloat16EfPNS_17CUDAGeneratorImplEZZZNS4_16bernoulli_kernelIS9_EEvRNS_18TensorIteratorBaseEdT_ENKUlvE_clEvENKUlvE7_clEvEUlfE_EEvSC_T1_T2_EUlP25hiprandStatePhilox4_32_10E_ZNS1_27distribution_nullary_kernelIS7_f15HIP_vector_typeIdLj2EES9_SL_SG_EEvSC_SI_RKT3_T4_EUlifE0_EEvlNS_15PhiloxCudaStateESH_SI_
    .private_segment_fixed_size: 0
    .sgpr_count:     67
    .sgpr_spill_count: 0
    .symbol:         _ZN2at6native12_GLOBAL__N_143distribution_elementwise_grid_stride_kernelIfLi4EZNS0_9templates4cuda21uniform_and_transformIN3c108BFloat16EfPNS_17CUDAGeneratorImplEZZZNS4_16bernoulli_kernelIS9_EEvRNS_18TensorIteratorBaseEdT_ENKUlvE_clEvENKUlvE7_clEvEUlfE_EEvSC_T1_T2_EUlP25hiprandStatePhilox4_32_10E_ZNS1_27distribution_nullary_kernelIS7_f15HIP_vector_typeIdLj2EES9_SL_SG_EEvSC_SI_RKT3_T4_EUlifE0_EEvlNS_15PhiloxCudaStateESH_SI_.kd
    .uniform_work_group_size: 1
    .uses_dynamic_stack: false
    .vgpr_count:     42
    .vgpr_spill_count: 0
    .wavefront_size: 64
  - .agpr_count:     0
    .args:
      - .offset:         0
        .size:           8
        .value_kind:     by_value
      - .offset:         8
        .size:           32
        .value_kind:     by_value
      - .offset:         40
        .size:           1
        .value_kind:     by_value
      - .offset:         48
        .size:           24
        .value_kind:     by_value
      - .offset:         72
        .size:           4
        .value_kind:     hidden_block_count_x
      - .offset:         76
        .size:           4
        .value_kind:     hidden_block_count_y
      - .offset:         80
        .size:           4
        .value_kind:     hidden_block_count_z
      - .offset:         84
        .size:           2
        .value_kind:     hidden_group_size_x
      - .offset:         86
        .size:           2
        .value_kind:     hidden_group_size_y
      - .offset:         88
        .size:           2
        .value_kind:     hidden_group_size_z
      - .offset:         90
        .size:           2
        .value_kind:     hidden_remainder_x
      - .offset:         92
        .size:           2
        .value_kind:     hidden_remainder_y
      - .offset:         94
        .size:           2
        .value_kind:     hidden_remainder_z
      - .offset:         112
        .size:           8
        .value_kind:     hidden_global_offset_x
      - .offset:         120
        .size:           8
        .value_kind:     hidden_global_offset_y
      - .offset:         128
        .size:           8
        .value_kind:     hidden_global_offset_z
      - .offset:         136
        .size:           2
        .value_kind:     hidden_grid_dims
    .group_segment_fixed_size: 0
    .kernarg_segment_align: 8
    .kernarg_segment_size: 328
    .language:       OpenCL C
    .language_version:
      - 2
      - 0
    .max_flat_workgroup_size: 256
    .name:           _ZN2at6native12_GLOBAL__N_143distribution_elementwise_grid_stride_kernelIfLi4EZNS0_9templates4cuda21uniform_and_transformIN3c108BFloat16EfPNS_17CUDAGeneratorImplEZZZNS4_16bernoulli_kernelIS9_EEvRNS_18TensorIteratorBaseEdT_ENKUlvE_clEvENKUlvE7_clEvEUlfE_EEvSC_T1_T2_EUlP25hiprandStatePhilox4_32_10E0_ZNS1_27distribution_nullary_kernelIS7_f15HIP_vector_typeIfLj4EES9_SL_SG_EEvSC_SI_RKT3_T4_EUlifE_EEvlNS_15PhiloxCudaStateESH_SI_
    .private_segment_fixed_size: 0
    .sgpr_count:     28
    .sgpr_spill_count: 0
    .symbol:         _ZN2at6native12_GLOBAL__N_143distribution_elementwise_grid_stride_kernelIfLi4EZNS0_9templates4cuda21uniform_and_transformIN3c108BFloat16EfPNS_17CUDAGeneratorImplEZZZNS4_16bernoulli_kernelIS9_EEvRNS_18TensorIteratorBaseEdT_ENKUlvE_clEvENKUlvE7_clEvEUlfE_EEvSC_T1_T2_EUlP25hiprandStatePhilox4_32_10E0_ZNS1_27distribution_nullary_kernelIS7_f15HIP_vector_typeIfLj4EES9_SL_SG_EEvSC_SI_RKT3_T4_EUlifE_EEvlNS_15PhiloxCudaStateESH_SI_.kd
    .uniform_work_group_size: 1
    .uses_dynamic_stack: false
    .vgpr_count:     48
    .vgpr_spill_count: 0
    .wavefront_size: 64
  - .agpr_count:     0
    .args:
      - .offset:         0
        .size:           8
        .value_kind:     by_value
      - .offset:         8
        .size:           32
        .value_kind:     by_value
      - .offset:         40
        .size:           1
        .value_kind:     by_value
      - .offset:         48
        .size:           280
        .value_kind:     by_value
      - .offset:         328
        .size:           4
        .value_kind:     hidden_block_count_x
      - .offset:         332
        .size:           4
        .value_kind:     hidden_block_count_y
      - .offset:         336
        .size:           4
        .value_kind:     hidden_block_count_z
      - .offset:         340
        .size:           2
        .value_kind:     hidden_group_size_x
      - .offset:         342
        .size:           2
        .value_kind:     hidden_group_size_y
      - .offset:         344
        .size:           2
        .value_kind:     hidden_group_size_z
      - .offset:         346
        .size:           2
        .value_kind:     hidden_remainder_x
      - .offset:         348
        .size:           2
        .value_kind:     hidden_remainder_y
      - .offset:         350
        .size:           2
        .value_kind:     hidden_remainder_z
      - .offset:         368
        .size:           8
        .value_kind:     hidden_global_offset_x
      - .offset:         376
        .size:           8
        .value_kind:     hidden_global_offset_y
      - .offset:         384
        .size:           8
        .value_kind:     hidden_global_offset_z
      - .offset:         392
        .size:           2
        .value_kind:     hidden_grid_dims
    .group_segment_fixed_size: 0
    .kernarg_segment_align: 8
    .kernarg_segment_size: 584
    .language:       OpenCL C
    .language_version:
      - 2
      - 0
    .max_flat_workgroup_size: 256
    .name:           _ZN2at6native12_GLOBAL__N_143distribution_elementwise_grid_stride_kernelIfLi4EZNS0_9templates4cuda21uniform_and_transformIN3c108BFloat16EfPNS_17CUDAGeneratorImplEZZZNS4_16bernoulli_kernelIS9_EEvRNS_18TensorIteratorBaseEdT_ENKUlvE_clEvENKUlvE7_clEvEUlfE_EEvSC_T1_T2_EUlP25hiprandStatePhilox4_32_10E0_ZNS1_27distribution_nullary_kernelIS7_f15HIP_vector_typeIfLj4EES9_SL_SG_EEvSC_SI_RKT3_T4_EUlifE0_EEvlNS_15PhiloxCudaStateESH_SI_
    .private_segment_fixed_size: 0
    .sgpr_count:     71
    .sgpr_spill_count: 0
    .symbol:         _ZN2at6native12_GLOBAL__N_143distribution_elementwise_grid_stride_kernelIfLi4EZNS0_9templates4cuda21uniform_and_transformIN3c108BFloat16EfPNS_17CUDAGeneratorImplEZZZNS4_16bernoulli_kernelIS9_EEvRNS_18TensorIteratorBaseEdT_ENKUlvE_clEvENKUlvE7_clEvEUlfE_EEvSC_T1_T2_EUlP25hiprandStatePhilox4_32_10E0_ZNS1_27distribution_nullary_kernelIS7_f15HIP_vector_typeIfLj4EES9_SL_SG_EEvSC_SI_RKT3_T4_EUlifE0_EEvlNS_15PhiloxCudaStateESH_SI_.kd
    .uniform_work_group_size: 1
    .uses_dynamic_stack: false
    .vgpr_count:     42
    .vgpr_spill_count: 0
    .wavefront_size: 64
  - .agpr_count:     0
    .args:
      - .offset:         0
        .size:           8
        .value_kind:     by_value
      - .offset:         8
        .size:           32
        .value_kind:     by_value
      - .offset:         40
        .size:           1
        .value_kind:     by_value
      - .offset:         48
        .size:           24
        .value_kind:     by_value
      - .offset:         72
        .size:           4
        .value_kind:     hidden_block_count_x
      - .offset:         76
        .size:           4
        .value_kind:     hidden_block_count_y
      - .offset:         80
        .size:           4
        .value_kind:     hidden_block_count_z
      - .offset:         84
        .size:           2
        .value_kind:     hidden_group_size_x
      - .offset:         86
        .size:           2
        .value_kind:     hidden_group_size_y
      - .offset:         88
        .size:           2
        .value_kind:     hidden_group_size_z
      - .offset:         90
        .size:           2
        .value_kind:     hidden_remainder_x
      - .offset:         92
        .size:           2
        .value_kind:     hidden_remainder_y
      - .offset:         94
        .size:           2
        .value_kind:     hidden_remainder_z
      - .offset:         112
        .size:           8
        .value_kind:     hidden_global_offset_x
      - .offset:         120
        .size:           8
        .value_kind:     hidden_global_offset_y
      - .offset:         128
        .size:           8
        .value_kind:     hidden_global_offset_z
      - .offset:         136
        .size:           2
        .value_kind:     hidden_grid_dims
    .group_segment_fixed_size: 0
    .kernarg_segment_align: 8
    .kernarg_segment_size: 328
    .language:       OpenCL C
    .language_version:
      - 2
      - 0
    .max_flat_workgroup_size: 256
    .name:           _ZN2at6native12_GLOBAL__N_143distribution_elementwise_grid_stride_kernelIfLi4EZNS0_9templates4cuda21uniform_and_transformIbfPNS_17CUDAGeneratorImplEZZZNS4_16bernoulli_kernelIS7_EEvRNS_18TensorIteratorBaseEdT_ENKUlvE_clEvENKUlvE8_clEvEUlfE_EEvSA_T1_T2_EUlP25hiprandStatePhilox4_32_10E_ZNS1_27distribution_nullary_kernelIbf15HIP_vector_typeIdLj2EES7_SJ_SE_EEvSA_SG_RKT3_T4_EUlifE_EEvlNS_15PhiloxCudaStateESF_SG_
    .private_segment_fixed_size: 0
    .sgpr_count:     28
    .sgpr_spill_count: 0
    .symbol:         _ZN2at6native12_GLOBAL__N_143distribution_elementwise_grid_stride_kernelIfLi4EZNS0_9templates4cuda21uniform_and_transformIbfPNS_17CUDAGeneratorImplEZZZNS4_16bernoulli_kernelIS7_EEvRNS_18TensorIteratorBaseEdT_ENKUlvE_clEvENKUlvE8_clEvEUlfE_EEvSA_T1_T2_EUlP25hiprandStatePhilox4_32_10E_ZNS1_27distribution_nullary_kernelIbf15HIP_vector_typeIdLj2EES7_SJ_SE_EEvSA_SG_RKT3_T4_EUlifE_EEvlNS_15PhiloxCudaStateESF_SG_.kd
    .uniform_work_group_size: 1
    .uses_dynamic_stack: false
    .vgpr_count:     46
    .vgpr_spill_count: 0
    .wavefront_size: 64
  - .agpr_count:     0
    .args:
      - .offset:         0
        .size:           8
        .value_kind:     by_value
      - .offset:         8
        .size:           32
        .value_kind:     by_value
      - .offset:         40
        .size:           1
        .value_kind:     by_value
      - .offset:         48
        .size:           280
        .value_kind:     by_value
      - .offset:         328
        .size:           4
        .value_kind:     hidden_block_count_x
      - .offset:         332
        .size:           4
        .value_kind:     hidden_block_count_y
      - .offset:         336
        .size:           4
        .value_kind:     hidden_block_count_z
      - .offset:         340
        .size:           2
        .value_kind:     hidden_group_size_x
      - .offset:         342
        .size:           2
        .value_kind:     hidden_group_size_y
      - .offset:         344
        .size:           2
        .value_kind:     hidden_group_size_z
      - .offset:         346
        .size:           2
        .value_kind:     hidden_remainder_x
      - .offset:         348
        .size:           2
        .value_kind:     hidden_remainder_y
      - .offset:         350
        .size:           2
        .value_kind:     hidden_remainder_z
      - .offset:         368
        .size:           8
        .value_kind:     hidden_global_offset_x
      - .offset:         376
        .size:           8
        .value_kind:     hidden_global_offset_y
      - .offset:         384
        .size:           8
        .value_kind:     hidden_global_offset_z
      - .offset:         392
        .size:           2
        .value_kind:     hidden_grid_dims
    .group_segment_fixed_size: 0
    .kernarg_segment_align: 8
    .kernarg_segment_size: 584
    .language:       OpenCL C
    .language_version:
      - 2
      - 0
    .max_flat_workgroup_size: 256
    .name:           _ZN2at6native12_GLOBAL__N_143distribution_elementwise_grid_stride_kernelIfLi4EZNS0_9templates4cuda21uniform_and_transformIbfPNS_17CUDAGeneratorImplEZZZNS4_16bernoulli_kernelIS7_EEvRNS_18TensorIteratorBaseEdT_ENKUlvE_clEvENKUlvE8_clEvEUlfE_EEvSA_T1_T2_EUlP25hiprandStatePhilox4_32_10E_ZNS1_27distribution_nullary_kernelIbf15HIP_vector_typeIdLj2EES7_SJ_SE_EEvSA_SG_RKT3_T4_EUlifE0_EEvlNS_15PhiloxCudaStateESF_SG_
    .private_segment_fixed_size: 0
    .sgpr_count:     67
    .sgpr_spill_count: 0
    .symbol:         _ZN2at6native12_GLOBAL__N_143distribution_elementwise_grid_stride_kernelIfLi4EZNS0_9templates4cuda21uniform_and_transformIbfPNS_17CUDAGeneratorImplEZZZNS4_16bernoulli_kernelIS7_EEvRNS_18TensorIteratorBaseEdT_ENKUlvE_clEvENKUlvE8_clEvEUlfE_EEvSA_T1_T2_EUlP25hiprandStatePhilox4_32_10E_ZNS1_27distribution_nullary_kernelIbf15HIP_vector_typeIdLj2EES7_SJ_SE_EEvSA_SG_RKT3_T4_EUlifE0_EEvlNS_15PhiloxCudaStateESF_SG_.kd
    .uniform_work_group_size: 1
    .uses_dynamic_stack: false
    .vgpr_count:     42
    .vgpr_spill_count: 0
    .wavefront_size: 64
  - .agpr_count:     0
    .args:
      - .offset:         0
        .size:           8
        .value_kind:     by_value
      - .offset:         8
        .size:           32
        .value_kind:     by_value
      - .offset:         40
        .size:           1
        .value_kind:     by_value
      - .offset:         48
        .size:           24
        .value_kind:     by_value
      - .offset:         72
        .size:           4
        .value_kind:     hidden_block_count_x
      - .offset:         76
        .size:           4
        .value_kind:     hidden_block_count_y
      - .offset:         80
        .size:           4
        .value_kind:     hidden_block_count_z
      - .offset:         84
        .size:           2
        .value_kind:     hidden_group_size_x
      - .offset:         86
        .size:           2
        .value_kind:     hidden_group_size_y
      - .offset:         88
        .size:           2
        .value_kind:     hidden_group_size_z
      - .offset:         90
        .size:           2
        .value_kind:     hidden_remainder_x
      - .offset:         92
        .size:           2
        .value_kind:     hidden_remainder_y
      - .offset:         94
        .size:           2
        .value_kind:     hidden_remainder_z
      - .offset:         112
        .size:           8
        .value_kind:     hidden_global_offset_x
      - .offset:         120
        .size:           8
        .value_kind:     hidden_global_offset_y
      - .offset:         128
        .size:           8
        .value_kind:     hidden_global_offset_z
      - .offset:         136
        .size:           2
        .value_kind:     hidden_grid_dims
    .group_segment_fixed_size: 0
    .kernarg_segment_align: 8
    .kernarg_segment_size: 328
    .language:       OpenCL C
    .language_version:
      - 2
      - 0
    .max_flat_workgroup_size: 256
    .name:           _ZN2at6native12_GLOBAL__N_143distribution_elementwise_grid_stride_kernelIfLi4EZNS0_9templates4cuda21uniform_and_transformIbfPNS_17CUDAGeneratorImplEZZZNS4_16bernoulli_kernelIS7_EEvRNS_18TensorIteratorBaseEdT_ENKUlvE_clEvENKUlvE8_clEvEUlfE_EEvSA_T1_T2_EUlP25hiprandStatePhilox4_32_10E0_ZNS1_27distribution_nullary_kernelIbf15HIP_vector_typeIfLj4EES7_SJ_SE_EEvSA_SG_RKT3_T4_EUlifE_EEvlNS_15PhiloxCudaStateESF_SG_
    .private_segment_fixed_size: 0
    .sgpr_count:     28
    .sgpr_spill_count: 0
    .symbol:         _ZN2at6native12_GLOBAL__N_143distribution_elementwise_grid_stride_kernelIfLi4EZNS0_9templates4cuda21uniform_and_transformIbfPNS_17CUDAGeneratorImplEZZZNS4_16bernoulli_kernelIS7_EEvRNS_18TensorIteratorBaseEdT_ENKUlvE_clEvENKUlvE8_clEvEUlfE_EEvSA_T1_T2_EUlP25hiprandStatePhilox4_32_10E0_ZNS1_27distribution_nullary_kernelIbf15HIP_vector_typeIfLj4EES7_SJ_SE_EEvSA_SG_RKT3_T4_EUlifE_EEvlNS_15PhiloxCudaStateESF_SG_.kd
    .uniform_work_group_size: 1
    .uses_dynamic_stack: false
    .vgpr_count:     48
    .vgpr_spill_count: 0
    .wavefront_size: 64
  - .agpr_count:     0
    .args:
      - .offset:         0
        .size:           8
        .value_kind:     by_value
      - .offset:         8
        .size:           32
        .value_kind:     by_value
      - .offset:         40
        .size:           1
        .value_kind:     by_value
      - .offset:         48
        .size:           280
        .value_kind:     by_value
      - .offset:         328
        .size:           4
        .value_kind:     hidden_block_count_x
      - .offset:         332
        .size:           4
        .value_kind:     hidden_block_count_y
      - .offset:         336
        .size:           4
        .value_kind:     hidden_block_count_z
      - .offset:         340
        .size:           2
        .value_kind:     hidden_group_size_x
      - .offset:         342
        .size:           2
        .value_kind:     hidden_group_size_y
      - .offset:         344
        .size:           2
        .value_kind:     hidden_group_size_z
      - .offset:         346
        .size:           2
        .value_kind:     hidden_remainder_x
      - .offset:         348
        .size:           2
        .value_kind:     hidden_remainder_y
      - .offset:         350
        .size:           2
        .value_kind:     hidden_remainder_z
      - .offset:         368
        .size:           8
        .value_kind:     hidden_global_offset_x
      - .offset:         376
        .size:           8
        .value_kind:     hidden_global_offset_y
      - .offset:         384
        .size:           8
        .value_kind:     hidden_global_offset_z
      - .offset:         392
        .size:           2
        .value_kind:     hidden_grid_dims
    .group_segment_fixed_size: 0
    .kernarg_segment_align: 8
    .kernarg_segment_size: 584
    .language:       OpenCL C
    .language_version:
      - 2
      - 0
    .max_flat_workgroup_size: 256
    .name:           _ZN2at6native12_GLOBAL__N_143distribution_elementwise_grid_stride_kernelIfLi4EZNS0_9templates4cuda21uniform_and_transformIbfPNS_17CUDAGeneratorImplEZZZNS4_16bernoulli_kernelIS7_EEvRNS_18TensorIteratorBaseEdT_ENKUlvE_clEvENKUlvE8_clEvEUlfE_EEvSA_T1_T2_EUlP25hiprandStatePhilox4_32_10E0_ZNS1_27distribution_nullary_kernelIbf15HIP_vector_typeIfLj4EES7_SJ_SE_EEvSA_SG_RKT3_T4_EUlifE0_EEvlNS_15PhiloxCudaStateESF_SG_
    .private_segment_fixed_size: 0
    .sgpr_count:     71
    .sgpr_spill_count: 0
    .symbol:         _ZN2at6native12_GLOBAL__N_143distribution_elementwise_grid_stride_kernelIfLi4EZNS0_9templates4cuda21uniform_and_transformIbfPNS_17CUDAGeneratorImplEZZZNS4_16bernoulli_kernelIS7_EEvRNS_18TensorIteratorBaseEdT_ENKUlvE_clEvENKUlvE8_clEvEUlfE_EEvSA_T1_T2_EUlP25hiprandStatePhilox4_32_10E0_ZNS1_27distribution_nullary_kernelIbf15HIP_vector_typeIfLj4EES7_SJ_SE_EEvSA_SG_RKT3_T4_EUlifE0_EEvlNS_15PhiloxCudaStateESF_SG_.kd
    .uniform_work_group_size: 1
    .uses_dynamic_stack: false
    .vgpr_count:     42
    .vgpr_spill_count: 0
    .wavefront_size: 64
amdhsa.target:   amdgcn-amd-amdhsa--gfx90a
amdhsa.version:
  - 1
  - 2
...

	.end_amdgpu_metadata
